;; amdgpu-corpus repo=pytorch/pytorch kind=compiled arch=gfx90a opt=O3
	.text
	.amdgcn_target "amdgcn-amd-amdhsa--gfx90a"
	.amdhsa_code_object_version 6
	.section	.text._ZN2at6native12_GLOBAL__N_143distribution_elementwise_grid_stride_kernelImLi2EZZZNS0_9templates4cuda21random_from_to_kernelIPNS_17CUDAGeneratorImplEEEvRNS_18TensorIteratorBaseEmlT_ENKUlvE_clEvENKUlvE_clEvEUlP25hiprandStatePhilox4_32_10E_ZNS1_27distribution_nullary_kernelIhm15HIP_vector_typeIyLj2EES7_SF_ZZZNS5_IS7_EEvS9_mlSA_ENKSB_clEvENKSC_clEvEUlmE_EEvS9_T2_RKT3_T4_EUlimE_EEvlNS_15PhiloxCudaStateET1_SK_,"axG",@progbits,_ZN2at6native12_GLOBAL__N_143distribution_elementwise_grid_stride_kernelImLi2EZZZNS0_9templates4cuda21random_from_to_kernelIPNS_17CUDAGeneratorImplEEEvRNS_18TensorIteratorBaseEmlT_ENKUlvE_clEvENKUlvE_clEvEUlP25hiprandStatePhilox4_32_10E_ZNS1_27distribution_nullary_kernelIhm15HIP_vector_typeIyLj2EES7_SF_ZZZNS5_IS7_EEvS9_mlSA_ENKSB_clEvENKSC_clEvEUlmE_EEvS9_T2_RKT3_T4_EUlimE_EEvlNS_15PhiloxCudaStateET1_SK_,comdat
	.globl	_ZN2at6native12_GLOBAL__N_143distribution_elementwise_grid_stride_kernelImLi2EZZZNS0_9templates4cuda21random_from_to_kernelIPNS_17CUDAGeneratorImplEEEvRNS_18TensorIteratorBaseEmlT_ENKUlvE_clEvENKUlvE_clEvEUlP25hiprandStatePhilox4_32_10E_ZNS1_27distribution_nullary_kernelIhm15HIP_vector_typeIyLj2EES7_SF_ZZZNS5_IS7_EEvS9_mlSA_ENKSB_clEvENKSC_clEvEUlmE_EEvS9_T2_RKT3_T4_EUlimE_EEvlNS_15PhiloxCudaStateET1_SK_ ; -- Begin function _ZN2at6native12_GLOBAL__N_143distribution_elementwise_grid_stride_kernelImLi2EZZZNS0_9templates4cuda21random_from_to_kernelIPNS_17CUDAGeneratorImplEEEvRNS_18TensorIteratorBaseEmlT_ENKUlvE_clEvENKUlvE_clEvEUlP25hiprandStatePhilox4_32_10E_ZNS1_27distribution_nullary_kernelIhm15HIP_vector_typeIyLj2EES7_SF_ZZZNS5_IS7_EEvS9_mlSA_ENKSB_clEvENKSC_clEvEUlmE_EEvS9_T2_RKT3_T4_EUlimE_EEvlNS_15PhiloxCudaStateET1_SK_
	.p2align	8
	.type	_ZN2at6native12_GLOBAL__N_143distribution_elementwise_grid_stride_kernelImLi2EZZZNS0_9templates4cuda21random_from_to_kernelIPNS_17CUDAGeneratorImplEEEvRNS_18TensorIteratorBaseEmlT_ENKUlvE_clEvENKUlvE_clEvEUlP25hiprandStatePhilox4_32_10E_ZNS1_27distribution_nullary_kernelIhm15HIP_vector_typeIyLj2EES7_SF_ZZZNS5_IS7_EEvS9_mlSA_ENKSB_clEvENKSC_clEvEUlmE_EEvS9_T2_RKT3_T4_EUlimE_EEvlNS_15PhiloxCudaStateET1_SK_,@function
_ZN2at6native12_GLOBAL__N_143distribution_elementwise_grid_stride_kernelImLi2EZZZNS0_9templates4cuda21random_from_to_kernelIPNS_17CUDAGeneratorImplEEEvRNS_18TensorIteratorBaseEmlT_ENKUlvE_clEvENKUlvE_clEvEUlP25hiprandStatePhilox4_32_10E_ZNS1_27distribution_nullary_kernelIhm15HIP_vector_typeIyLj2EES7_SF_ZZZNS5_IS7_EEvS9_mlSA_ENKSB_clEvENKSC_clEvEUlmE_EEvS9_T2_RKT3_T4_EUlimE_EEvlNS_15PhiloxCudaStateET1_SK_: ; @_ZN2at6native12_GLOBAL__N_143distribution_elementwise_grid_stride_kernelImLi2EZZZNS0_9templates4cuda21random_from_to_kernelIPNS_17CUDAGeneratorImplEEEvRNS_18TensorIteratorBaseEmlT_ENKUlvE_clEvENKUlvE_clEvEUlP25hiprandStatePhilox4_32_10E_ZNS1_27distribution_nullary_kernelIhm15HIP_vector_typeIyLj2EES7_SF_ZZZNS5_IS7_EEvS9_mlSA_ENKSB_clEvENKSC_clEvEUlmE_EEvS9_T2_RKT3_T4_EUlimE_EEvlNS_15PhiloxCudaStateET1_SK_
; %bb.0:
	s_load_dword s2, s[4:5], 0x20
	s_load_dwordx2 s[0:1], s[4:5], 0x10
	s_load_dwordx4 s[8:11], s[4:5], 0x0
	s_waitcnt lgkmcnt(0)
	s_bitcmp0_b32 s2, 0
	s_mov_b32 s2, 0
	v_pk_mov_b32 v[2:3], s[0:1], s[0:1] op_sel:[0,1]
	v_pk_mov_b32 v[14:15], s[10:11], s[10:11] op_sel:[0,1]
	s_cbranch_scc1 .LBB0_2
; %bb.1:
	v_pk_mov_b32 v[2:3], s[0:1], s[0:1] op_sel:[0,1]
	flat_load_dwordx2 v[2:3], v[2:3]
	v_pk_mov_b32 v[4:5], s[10:11], s[10:11] op_sel:[0,1]
	flat_load_dwordx2 v[14:15], v[4:5]
	s_load_dwordx2 s[0:1], s[4:5], 0x18
	s_waitcnt lgkmcnt(0)
	v_mov_b32_e32 v1, s1
	s_waitcnt vmcnt(0)
	v_add_co_u32_e32 v2, vcc, s0, v2
	v_addc_co_u32_e32 v3, vcc, v3, v1, vcc
.LBB0_2:
	s_load_dword s0, s[4:5], 0x5c
	s_load_dword s16, s[4:5], 0x50
	s_waitcnt lgkmcnt(0)
	s_and_b32 s7, s0, 0xffff
	s_add_u32 s10, s8, -1
	s_mul_i32 s18, s16, s7
	s_addc_u32 s3, s9, -1
	s_lshl_b32 s19, s18, 1
	s_cmp_lg_u64 s[2:3], 0
	s_mov_b64 s[0:1], -1
	s_cbranch_scc0 .LBB0_31
; %bb.3:
	v_cvt_f32_u32_e32 v1, s19
	v_cvt_f32_ubyte0_e32 v4, 0
	s_sub_u32 s2, 0, s19
	s_subb_u32 s11, 0, 0
	v_madmk_f32 v1, v4, 0x4f800000, v1
	v_rcp_f32_e32 v1, v1
	v_mul_f32_e32 v1, 0x5f7ffffc, v1
	v_mul_f32_e32 v4, 0x2f800000, v1
	v_trunc_f32_e32 v4, v4
	v_madmk_f32 v1, v4, 0xcf800000, v1
	v_cvt_u32_f32_e32 v4, v4
	v_cvt_u32_f32_e32 v1, v1
	v_readfirstlane_b32 s12, v4
	v_readfirstlane_b32 s13, v1
	s_mul_i32 s14, s2, s12
	s_mul_hi_u32 s17, s2, s13
	s_mul_i32 s15, s11, s13
	s_add_i32 s14, s17, s14
	s_add_i32 s14, s14, s15
	s_mul_i32 s20, s2, s13
	s_mul_hi_u32 s15, s13, s14
	s_mul_i32 s17, s13, s14
	s_mul_hi_u32 s13, s13, s20
	s_add_u32 s13, s13, s17
	s_addc_u32 s15, 0, s15
	s_mul_hi_u32 s21, s12, s20
	s_mul_i32 s20, s12, s20
	s_add_u32 s13, s13, s20
	s_mul_hi_u32 s17, s12, s14
	s_addc_u32 s13, s15, s21
	s_addc_u32 s15, s17, 0
	s_mul_i32 s14, s12, s14
	s_add_u32 s13, s13, s14
	s_addc_u32 s14, 0, s15
	v_add_co_u32_e32 v1, vcc, s13, v1
	s_cmp_lg_u64 vcc, 0
	s_addc_u32 s12, s12, s14
	v_readfirstlane_b32 s14, v1
	s_mul_i32 s13, s2, s12
	s_mul_hi_u32 s15, s2, s14
	s_add_i32 s13, s15, s13
	s_mul_i32 s11, s11, s14
	s_add_i32 s13, s13, s11
	s_mul_i32 s2, s2, s14
	s_mul_hi_u32 s15, s12, s2
	s_mul_i32 s17, s12, s2
	s_mul_i32 s21, s14, s13
	s_mul_hi_u32 s2, s14, s2
	s_mul_hi_u32 s20, s14, s13
	s_add_u32 s2, s2, s21
	s_addc_u32 s14, 0, s20
	s_add_u32 s2, s2, s17
	s_mul_hi_u32 s11, s12, s13
	s_addc_u32 s2, s14, s15
	s_addc_u32 s11, s11, 0
	s_mul_i32 s13, s12, s13
	s_add_u32 s2, s2, s13
	s_addc_u32 s11, 0, s11
	v_add_co_u32_e32 v1, vcc, s2, v1
	s_cmp_lg_u64 vcc, 0
	s_addc_u32 s11, s12, s11
	s_ashr_i32 s12, s3, 31
	s_add_u32 s2, s10, s12
	s_mov_b32 s13, s12
	s_addc_u32 s3, s3, s12
	s_xor_b64 s[2:3], s[2:3], s[12:13]
	v_readfirstlane_b32 s17, v1
	s_mul_i32 s15, s2, s11
	s_mul_hi_u32 s20, s2, s17
	s_mul_hi_u32 s14, s2, s11
	s_add_u32 s15, s20, s15
	s_addc_u32 s14, 0, s14
	s_mul_hi_u32 s21, s3, s17
	s_mul_i32 s17, s3, s17
	s_add_u32 s15, s15, s17
	s_mul_hi_u32 s20, s3, s11
	s_addc_u32 s14, s14, s21
	s_addc_u32 s15, s20, 0
	s_mul_i32 s11, s3, s11
	s_add_u32 s11, s14, s11
	s_addc_u32 s14, 0, s15
	s_add_u32 s15, s11, 1
	s_addc_u32 s17, s14, 0
	s_add_u32 s20, s11, 2
	s_mul_i32 s22, s19, s14
	s_mul_hi_u32 s23, s19, s11
	s_addc_u32 s21, s14, 0
	s_add_i32 s23, s23, s22
	s_mul_i32 s22, s19, s11
	v_mov_b32_e32 v1, s22
	v_sub_co_u32_e32 v1, vcc, s2, v1
	s_cmp_lg_u64 vcc, 0
	s_subb_u32 s2, s3, s23
	v_subrev_co_u32_e32 v4, vcc, s19, v1
	s_cmp_lg_u64 vcc, 0
	s_subb_u32 s3, s2, 0
	v_readfirstlane_b32 s22, v4
	s_cmp_ge_u32 s22, s19
	s_cselect_b32 s22, -1, 0
	s_cmp_eq_u32 s3, 0
	s_cselect_b32 s3, s22, -1
	s_cmp_lg_u32 s3, 0
	s_cselect_b32 s3, s21, s17
	v_readfirstlane_b32 s17, v1
	s_cselect_b32 s15, s20, s15
	s_cmp_ge_u32 s17, s19
	s_cselect_b32 s17, -1, 0
	s_cmp_eq_u32 s2, 0
	s_cselect_b32 s2, s17, -1
	s_cmp_lg_u32 s2, 0
	s_cselect_b32 s3, s3, s14
	s_cselect_b32 s2, s15, s11
	s_xor_b64 s[2:3], s[2:3], s[12:13]
	s_sub_u32 s2, s2, s12
	s_subb_u32 s3, s3, s12
	s_cbranch_execnz .LBB0_5
.LBB0_4:
	v_cvt_f32_u32_e32 v1, s19
	s_sub_i32 s0, 0, s19
	s_mov_b32 s3, 0
	v_rcp_iflag_f32_e32 v1, v1
	v_mul_f32_e32 v1, 0x4f7ffffe, v1
	v_cvt_u32_f32_e32 v1, v1
	v_readfirstlane_b32 s1, v1
	s_mul_i32 s0, s0, s1
	s_mul_hi_u32 s0, s1, s0
	s_add_i32 s1, s1, s0
	s_mul_hi_u32 s0, s10, s1
	s_mul_i32 s2, s0, s19
	s_sub_i32 s2, s10, s2
	s_add_i32 s1, s0, 1
	s_sub_i32 s10, s2, s19
	s_cmp_ge_u32 s2, s19
	s_cselect_b32 s0, s1, s0
	s_cselect_b32 s2, s10, s2
	s_add_i32 s1, s0, 1
	s_cmp_ge_u32 s2, s19
	s_cselect_b32 s2, s1, s0
.LBB0_5:
	v_mov_b32_e32 v16, 0
	v_mov_b32_e32 v1, v16
	;; [unrolled: 1-line block ×3, first 2 shown]
	v_mad_u64_u32 v[18:19], s[0:1], s7, v4, v[0:1]
	s_add_u32 s0, s2, 1
	s_addc_u32 s1, s3, 0
	s_mul_hi_u32 s2, s16, s7
	s_mul_i32 s1, s18, s1
	s_mul_hi_u32 s3, s18, s0
	s_add_i32 s1, s3, s1
	s_mul_i32 s2, s2, s0
	s_add_i32 s1, s1, s2
	s_mul_i32 s0, s18, s0
	s_lshl_b64 s[2:3], s[0:1], 1
	v_cmp_gt_i64_e32 vcc, s[2:3], v[18:19]
	s_and_saveexec_b64 s[0:1], vcc
	s_cbranch_execz .LBB0_30
; %bb.6:
	v_mov_b32_e32 v4, v15
	s_mov_b32 s0, 0xdb3d7428
	v_add_co_u32_e32 v23, vcc, s0, v4
	s_mov_b32 s0, 0x5384540f
	v_add_co_u32_e32 v24, vcc, s0, v14
	;; [unrolled: 2-line block ×7, first 2 shown]
	s_mov_b32 s0, 0x9e3779b9
	v_alignbit_b32 v31, v3, v2, 2
	s_mov_b32 s20, 0xd2511f53
	v_add_co_u32_e32 v30, vcc, s0, v14
	v_mad_u64_u32 v[6:7], s[0:1], v31, s20, 0
	v_xor_b32_e32 v1, v7, v15
	v_xor_b32_e32 v1, v1, v19
	s_mov_b32 s21, 0xcd9e8d57
	v_mad_u64_u32 v[8:9], s[0:1], v1, s21, 0
	v_xor_b32_e32 v1, v30, v9
	v_mad_u64_u32 v[10:11], s[0:1], v18, s21, 0
	v_and_b32_e32 v20, 3, v2
	v_xor_b32_e32 v1, v1, v10
	v_xor_b32_e32 v2, v14, v11
	v_lshrrev_b32_e32 v32, 2, v3
	v_mad_u64_u32 v[12:13], s[0:1], v1, s20, 0
	v_xor_b32_e32 v2, v2, v32
	v_xor_b32_e32 v1, v29, v13
	v_mad_u64_u32 v[2:3], s[0:1], v2, s20, 0
	v_xor_b32_e32 v1, v1, v2
	v_mad_u64_u32 v[10:11], s[0:1], v1, s21, 0
	s_mov_b32 s0, 0xbb67ae85
	v_add_co_u32_e32 v33, vcc, s0, v4
	v_xor_b32_e32 v2, v33, v3
	v_xor_b32_e32 v2, v2, v6
	v_xor_b32_e32 v1, v28, v11
	v_mad_u64_u32 v[2:3], s[0:1], v2, s21, 0
	v_xor_b32_e32 v1, v1, v2
	v_mad_u64_u32 v[6:7], s[0:1], v1, s20, 0
	s_mov_b32 s0, 0x3c6ef372
	v_add_co_u32_e32 v34, vcc, s0, v14
	v_xor_b32_e32 v2, v34, v3
	;; [unrolled: 8-line block ×7, first 2 shown]
	v_xor_b32_e32 v1, v1, v12
	v_mad_u64_u32 v[2:3], s[0:1], v1, s21, 0
	s_mov_b32 s0, 0xf1bbcdc8
	v_add_u32_e32 v21, 0x8ff34781, v14
	v_xor_b32_e32 v1, v9, v2
	v_add_co_u32_e32 v40, vcc, s0, v14
	s_load_dwordx2 s[10:11], s[4:5], 0x30
	s_load_dword s17, s[4:5], 0x38
	s_load_dwordx4 s[12:15], s[4:5], 0x40
	v_xor_b32_e32 v2, v21, v1
	v_xor_b32_e32 v1, v40, v3
	v_xor_b32_e32 v1, v1, v10
	v_mad_u64_u32 v[10:11], s[0:1], v1, s20, 0
	v_add_u32_e32 v22, 0x96a522ad, v15
	v_xor_b32_e32 v1, v11, v6
	s_mul_i32 s0, s6, s7
	v_xor_b32_e32 v4, v22, v1
	v_add_u32_e32 v1, s0, v0
	s_waitcnt lgkmcnt(0)
	s_mul_i32 s0, s16, s17
	s_mul_i32 s0, s0, s7
	s_lshl_b32 s22, s0, 1
	s_add_i32 s0, s6, s16
	s_mul_i32 s0, s0, s7
	s_mov_b32 s15, 0
	v_add_u32_e32 v0, s0, v0
	v_mov_b32_e32 v3, v8
	v_mov_b32_e32 v5, v10
	v_mul_lo_u32 v41, s17, v1
	v_mul_lo_u32 v42, s17, v0
	s_mov_b64 s[4:5], 0
	s_mov_b32 s23, s15
	v_mov_b32_e32 v43, v18
	v_mov_b32_e32 v44, v19
	s_branch .LBB0_9
.LBB0_7:                                ;   in Loop: Header=BB0_9 Depth=1
	s_or_b64 exec, exec, s[0:1]
	v_add_u32_e32 v1, s23, v42
	v_ashrrev_i32_e32 v3, 31, v1
	v_mov_b32_e32 v4, s11
	v_add_co_u32_e32 v2, vcc, s10, v1
	v_addc_co_u32_e32 v3, vcc, v4, v3, vcc
	v_add_u32_e32 v1, s14, v10
	global_store_byte v[2:3], v1, off
.LBB0_8:                                ;   in Loop: Header=BB0_9 Depth=1
	s_or_b64 exec, exec, s[6:7]
	v_add_co_u32_e32 v18, vcc, s19, v18
	v_addc_co_u32_e32 v19, vcc, 0, v19, vcc
	v_mov_b32_e32 v9, v0
	s_add_i32 s23, s23, s22
	v_cmp_le_i64_e32 vcc, s[2:3], v[18:19]
	v_pk_mov_b32 v[2:3], v[6:7], v[6:7] op_sel:[0,1]
	s_or_b64 s[4:5], vcc, s[4:5]
	v_pk_mov_b32 v[4:5], v[8:9], v[8:9] op_sel:[0,1]
	s_barrier
	s_andn2_b64 exec, exec, s[4:5]
	s_cbranch_execz .LBB0_30
.LBB0_9:                                ; =>This Inner Loop Header: Depth=1
	v_add_co_u32_e32 v31, vcc, 1, v31
	v_cndmask_b32_e64 v0, 0, 1, vcc
	v_addc_co_u32_e32 v32, vcc, 0, v32, vcc
	v_cmp_eq_u32_e32 vcc, 0, v32
	v_cndmask_b32_e32 v0, 0, v0, vcc
	v_add_u32_e32 v43, v0, v43
	v_cmp_eq_u32_e32 vcc, 0, v43
	v_cndmask_b32_e32 v0, 0, v0, vcc
	v_add_u32_e32 v44, v0, v44
	v_mad_u64_u32 v[0:1], s[0:1], v31, s20, 0
	v_mad_u64_u32 v[6:7], s[0:1], v43, s21, 0
	v_xor_b32_e32 v1, v1, v15
	v_xor_b32_e32 v7, v7, v14
	v_xor_b32_e32 v1, v44, v1
	v_xor_b32_e32 v7, v32, v7
	v_mad_u64_u32 v[10:11], s[0:1], v1, s21, 0
	v_mad_u64_u32 v[8:9], s[0:1], v7, s20, 0
	v_xor_b32_e32 v1, v30, v11
	v_xor_b32_e32 v1, v1, v6
	v_xor_b32_e32 v6, v33, v9
	v_xor_b32_e32 v6, v6, v0
	v_mad_u64_u32 v[0:1], s[0:1], v1, s20, 0
	v_mad_u64_u32 v[6:7], s[0:1], v6, s21, 0
	v_xor_b32_e32 v1, v29, v1
	v_xor_b32_e32 v7, v34, v7
	v_xor_b32_e32 v1, v1, v8
	v_xor_b32_e32 v7, v7, v10
	v_mad_u64_u32 v[10:11], s[0:1], v1, s21, 0
	v_mad_u64_u32 v[8:9], s[0:1], v7, s20, 0
	v_xor_b32_e32 v1, v28, v11
	v_xor_b32_e32 v1, v1, v6
	v_xor_b32_e32 v6, v35, v9
	v_xor_b32_e32 v6, v6, v0
	v_mad_u64_u32 v[0:1], s[0:1], v1, s20, 0
	v_mad_u64_u32 v[6:7], s[0:1], v6, s21, 0
	v_xor_b32_e32 v1, v27, v1
	v_xor_b32_e32 v7, v36, v7
	v_xor_b32_e32 v1, v1, v8
	v_xor_b32_e32 v7, v7, v10
	v_mad_u64_u32 v[10:11], s[0:1], v1, s21, 0
	v_mad_u64_u32 v[8:9], s[0:1], v7, s20, 0
	v_xor_b32_e32 v1, v26, v11
	v_xor_b32_e32 v1, v1, v6
	v_xor_b32_e32 v6, v37, v9
	v_xor_b32_e32 v6, v6, v0
	v_mad_u64_u32 v[0:1], s[0:1], v1, s20, 0
	v_mad_u64_u32 v[6:7], s[0:1], v6, s21, 0
	v_xor_b32_e32 v1, v25, v1
	v_xor_b32_e32 v7, v38, v7
	v_xor_b32_e32 v1, v1, v8
	v_xor_b32_e32 v7, v7, v10
	v_mad_u64_u32 v[10:11], s[0:1], v1, s21, 0
	v_mad_u64_u32 v[8:9], s[0:1], v7, s20, 0
	v_xor_b32_e32 v1, v24, v11
	v_xor_b32_e32 v1, v1, v6
	v_xor_b32_e32 v6, v39, v9
	v_xor_b32_e32 v0, v6, v0
	v_mad_u64_u32 v[6:7], s[0:1], v0, s21, 0
	v_mad_u64_u32 v[46:47], s[0:1], v1, s20, 0
	v_xor_b32_e32 v0, v40, v7
	v_xor_b32_e32 v0, v0, v10
	v_xor_b32_e32 v1, v23, v47
	v_xor_b32_e32 v7, v1, v8
	v_mad_u64_u32 v[0:1], s[0:1], v0, s20, 0
	v_mad_u64_u32 v[12:13], s[0:1], v7, s21, 0
	v_xor_b32_e32 v1, v1, v46
	v_xor_b32_e32 v6, v13, v6
	v_xor_b32_e32 v13, v22, v1
	v_xor_b32_e32 v6, v21, v6
	v_mov_b32_e32 v7, v12
	v_mov_b32_e32 v8, v13
	v_cmp_lt_i32_e32 vcc, 1, v20
	s_and_saveexec_b64 s[0:1], vcc
	s_xor_b64 s[0:1], exec, s[0:1]
	s_cbranch_execnz .LBB0_12
; %bb.10:                               ;   in Loop: Header=BB0_9 Depth=1
	s_andn2_saveexec_b64 s[0:1], s[0:1]
	s_cbranch_execnz .LBB0_17
.LBB0_11:                               ;   in Loop: Header=BB0_9 Depth=1
	s_or_b64 exec, exec, s[0:1]
	v_cmp_gt_i64_e32 vcc, s[8:9], v[18:19]
	s_and_saveexec_b64 s[6:7], vcc
	s_cbranch_execnz .LBB0_20
	s_branch .LBB0_25
.LBB0_12:                               ;   in Loop: Header=BB0_9 Depth=1
	v_cmp_lt_i32_e32 vcc, 2, v20
	s_and_saveexec_b64 s[6:7], vcc
	s_xor_b64 s[6:7], exec, s[6:7]
; %bb.13:                               ;   in Loop: Header=BB0_9 Depth=1
	v_mov_b32_e32 v10, v5
	v_mov_b32_e32 v11, v6
	v_pk_mov_b32 v[2:3], v[10:11], v[10:11] op_sel:[0,1]
	v_pk_mov_b32 v[4:5], v[12:13], v[12:13] op_sel:[0,1]
                                        ; implicit-def: $vgpr12_vgpr13
; %bb.14:                               ;   in Loop: Header=BB0_9 Depth=1
	s_andn2_saveexec_b64 s[6:7], s[6:7]
; %bb.15:                               ;   in Loop: Header=BB0_9 Depth=1
	v_mov_b32_e32 v2, v4
	v_mov_b32_e32 v3, v5
	;; [unrolled: 1-line block ×4, first 2 shown]
; %bb.16:                               ;   in Loop: Header=BB0_9 Depth=1
	s_or_b64 exec, exec, s[6:7]
	s_andn2_saveexec_b64 s[0:1], s[0:1]
	s_cbranch_execz .LBB0_11
.LBB0_17:                               ;   in Loop: Header=BB0_9 Depth=1
	v_cmp_eq_u32_e32 vcc, 1, v20
	s_and_saveexec_b64 s[6:7], vcc
; %bb.18:                               ;   in Loop: Header=BB0_9 Depth=1
	v_mov_b32_e32 v2, v3
	v_mov_b32_e32 v3, v4
	;; [unrolled: 1-line block ×4, first 2 shown]
; %bb.19:                               ;   in Loop: Header=BB0_9 Depth=1
	s_or_b64 exec, exec, s[6:7]
	s_or_b64 exec, exec, s[0:1]
	v_cmp_gt_i64_e32 vcc, s[8:9], v[18:19]
	s_and_saveexec_b64 s[6:7], vcc
	s_cbranch_execz .LBB0_25
.LBB0_20:                               ;   in Loop: Header=BB0_9 Depth=1
	v_or_b32_e32 v17, s13, v2
	v_cmp_ne_u64_e32 vcc, 0, v[16:17]
                                        ; implicit-def: $vgpr10_vgpr11
	s_and_saveexec_b64 s[0:1], vcc
	s_xor_b64 s[16:17], exec, s[0:1]
	s_cbranch_execz .LBB0_22
; %bb.21:                               ;   in Loop: Header=BB0_9 Depth=1
	v_cvt_f32_u32_e32 v1, s12
	v_cvt_f32_u32_e32 v9, s13
	s_sub_u32 s0, 0, s12
	s_subb_u32 s1, 0, s13
	v_mac_f32_e32 v1, 0x4f800000, v9
	v_rcp_f32_e32 v1, v1
	v_mul_f32_e32 v1, 0x5f7ffffc, v1
	v_mul_f32_e32 v9, 0x2f800000, v1
	v_trunc_f32_e32 v9, v9
	v_mac_f32_e32 v1, 0xcf800000, v9
	v_cvt_u32_f32_e32 v9, v9
	v_cvt_u32_f32_e32 v1, v1
	v_mul_lo_u32 v10, s0, v9
	v_mul_hi_u32 v12, s0, v1
	v_mul_lo_u32 v11, s1, v1
	v_add_u32_e32 v10, v12, v10
	v_mul_lo_u32 v13, s0, v1
	v_add_u32_e32 v10, v10, v11
	v_mul_hi_u32 v12, v1, v13
	v_mul_lo_u32 v17, v1, v10
	v_mul_hi_u32 v11, v1, v10
	v_add_co_u32_e32 v12, vcc, v12, v17
	v_addc_co_u32_e32 v11, vcc, 0, v11, vcc
	v_mul_hi_u32 v45, v9, v13
	v_mul_lo_u32 v13, v9, v13
	v_add_co_u32_e32 v12, vcc, v12, v13
	v_mul_hi_u32 v17, v9, v10
	v_addc_co_u32_e32 v11, vcc, v11, v45, vcc
	v_addc_co_u32_e32 v12, vcc, 0, v17, vcc
	v_mul_lo_u32 v10, v9, v10
	v_add_co_u32_e32 v10, vcc, v11, v10
	v_addc_co_u32_e32 v11, vcc, 0, v12, vcc
	v_add_co_u32_e32 v1, vcc, v1, v10
	v_addc_co_u32_e32 v9, vcc, v9, v11, vcc
	v_mul_lo_u32 v10, s0, v9
	v_mul_hi_u32 v11, s0, v1
	v_add_u32_e32 v10, v11, v10
	v_mul_lo_u32 v11, s1, v1
	v_add_u32_e32 v10, v10, v11
	v_mul_lo_u32 v12, s0, v1
	v_mul_hi_u32 v13, v9, v12
	v_mul_lo_u32 v17, v9, v12
	v_mul_lo_u32 v46, v1, v10
	v_mul_hi_u32 v12, v1, v12
	v_mul_hi_u32 v45, v1, v10
	v_add_co_u32_e32 v12, vcc, v12, v46
	v_addc_co_u32_e32 v45, vcc, 0, v45, vcc
	v_add_co_u32_e32 v12, vcc, v12, v17
	v_mul_hi_u32 v11, v9, v10
	v_addc_co_u32_e32 v12, vcc, v45, v13, vcc
	v_addc_co_u32_e32 v11, vcc, 0, v11, vcc
	v_mul_lo_u32 v10, v9, v10
	v_add_co_u32_e32 v10, vcc, v12, v10
	v_addc_co_u32_e32 v11, vcc, 0, v11, vcc
	v_add_co_u32_e32 v1, vcc, v1, v10
	v_addc_co_u32_e32 v9, vcc, v9, v11, vcc
	v_mad_u64_u32 v[10:11], s[0:1], v3, v9, 0
	v_mul_hi_u32 v12, v3, v1
	v_add_co_u32_e32 v17, vcc, v12, v10
	v_addc_co_u32_e32 v45, vcc, 0, v11, vcc
	v_mad_u64_u32 v[12:13], s[0:1], v2, v1, 0
	v_add_co_u32_e32 v1, vcc, v17, v12
	v_mad_u64_u32 v[10:11], s[0:1], v2, v9, 0
	v_addc_co_u32_e32 v1, vcc, v45, v13, vcc
	v_addc_co_u32_e32 v9, vcc, 0, v11, vcc
	v_add_co_u32_e32 v1, vcc, v1, v10
	v_addc_co_u32_e32 v9, vcc, 0, v9, vcc
	v_mul_lo_u32 v12, s13, v1
	v_mul_lo_u32 v9, s12, v9
	v_mad_u64_u32 v[10:11], s[0:1], s12, v1, 0
	v_add3_u32 v1, v11, v9, v12
	v_sub_u32_e32 v9, v2, v1
	v_mov_b32_e32 v11, s13
	v_sub_co_u32_e32 v10, vcc, v3, v10
	v_subb_co_u32_e64 v9, s[0:1], v9, v11, vcc
	v_subrev_co_u32_e64 v11, s[0:1], s12, v10
	v_subbrev_co_u32_e64 v9, s[0:1], 0, v9, s[0:1]
	v_cmp_le_u32_e64 s[0:1], s13, v9
	v_subb_co_u32_e32 v1, vcc, v2, v1, vcc
	v_cndmask_b32_e64 v12, 0, -1, s[0:1]
	v_cmp_le_u32_e64 s[0:1], s12, v11
	v_cmp_le_u32_e32 vcc, s13, v1
	v_cndmask_b32_e64 v13, 0, -1, s[0:1]
	v_cmp_eq_u32_e64 s[0:1], s13, v9
	v_cndmask_b32_e64 v2, 0, -1, vcc
	v_cmp_le_u32_e32 vcc, s12, v10
	v_cndmask_b32_e64 v9, v12, v13, s[0:1]
	v_cndmask_b32_e64 v13, 0, -1, vcc
	v_cmp_eq_u32_e32 vcc, s13, v1
	v_subrev_co_u32_e64 v12, s[0:1], s12, v11
	v_cndmask_b32_e32 v1, v2, v13, vcc
	v_cmp_ne_u32_e32 vcc, 0, v9
	v_cndmask_b32_e32 v2, v11, v12, vcc
	v_cmp_ne_u32_e32 vcc, 0, v1
	v_cndmask_b32_e32 v10, v10, v2, vcc
.LBB0_22:                               ;   in Loop: Header=BB0_9 Depth=1
	s_andn2_saveexec_b64 s[0:1], s[16:17]
	s_cbranch_execz .LBB0_24
; %bb.23:                               ;   in Loop: Header=BB0_9 Depth=1
	v_cvt_f32_u32_e32 v1, s12
	s_sub_i32 s16, 0, s12
	v_rcp_iflag_f32_e32 v1, v1
	v_mul_f32_e32 v1, 0x4f7ffffe, v1
	v_cvt_u32_f32_e32 v1, v1
	v_mul_lo_u32 v2, s16, v1
	v_mul_hi_u32 v2, v1, v2
	v_add_u32_e32 v1, v1, v2
	v_mul_hi_u32 v1, v3, v1
	v_mul_lo_u32 v1, v1, s12
	v_sub_u32_e32 v1, v3, v1
	v_subrev_u32_e32 v2, s12, v1
	v_cmp_le_u32_e32 vcc, s12, v1
	v_cndmask_b32_e32 v1, v1, v2, vcc
	v_subrev_u32_e32 v2, s12, v1
	v_cmp_le_u32_e32 vcc, s12, v1
	v_cndmask_b32_e32 v10, v1, v2, vcc
.LBB0_24:                               ;   in Loop: Header=BB0_9 Depth=1
	s_or_b64 exec, exec, s[0:1]
	v_add_u32_e32 v1, s23, v41
	v_ashrrev_i32_e32 v3, 31, v1
	v_mov_b32_e32 v9, s11
	v_add_co_u32_e32 v2, vcc, s10, v1
	v_addc_co_u32_e32 v3, vcc, v9, v3, vcc
	v_add_u32_e32 v1, s14, v10
	global_store_byte v[2:3], v1, off
.LBB0_25:                               ;   in Loop: Header=BB0_9 Depth=1
	s_or_b64 exec, exec, s[6:7]
	v_mov_b32_e32 v1, s15
	v_add_co_u32_e32 v2, vcc, s18, v18
	v_addc_co_u32_e32 v3, vcc, v1, v19, vcc
	v_cmp_gt_i64_e32 vcc, s[8:9], v[2:3]
	s_and_saveexec_b64 s[6:7], vcc
	s_cbranch_execz .LBB0_8
; %bb.26:                               ;   in Loop: Header=BB0_9 Depth=1
	v_or_b32_e32 v17, s13, v4
	v_cmp_ne_u64_e32 vcc, 0, v[16:17]
                                        ; implicit-def: $vgpr10_vgpr11
	s_and_saveexec_b64 s[0:1], vcc
	s_xor_b64 s[16:17], exec, s[0:1]
	s_cbranch_execz .LBB0_28
; %bb.27:                               ;   in Loop: Header=BB0_9 Depth=1
	v_cvt_f32_u32_e32 v1, s12
	v_cvt_f32_u32_e32 v2, s13
	s_sub_u32 s0, 0, s12
	s_subb_u32 s1, 0, s13
	v_mac_f32_e32 v1, 0x4f800000, v2
	v_rcp_f32_e32 v1, v1
	v_mul_f32_e32 v1, 0x5f7ffffc, v1
	v_mul_f32_e32 v2, 0x2f800000, v1
	v_trunc_f32_e32 v2, v2
	v_mac_f32_e32 v1, 0xcf800000, v2
	v_cvt_u32_f32_e32 v2, v2
	v_cvt_u32_f32_e32 v1, v1
	v_mul_lo_u32 v3, s0, v2
	v_mul_hi_u32 v10, s0, v1
	v_mul_lo_u32 v9, s1, v1
	v_add_u32_e32 v3, v10, v3
	v_mul_lo_u32 v11, s0, v1
	v_add_u32_e32 v3, v3, v9
	v_mul_hi_u32 v10, v1, v11
	v_mul_lo_u32 v12, v1, v3
	v_mul_hi_u32 v9, v1, v3
	v_add_co_u32_e32 v10, vcc, v10, v12
	v_addc_co_u32_e32 v9, vcc, 0, v9, vcc
	v_mul_hi_u32 v13, v2, v11
	v_mul_lo_u32 v11, v2, v11
	v_add_co_u32_e32 v10, vcc, v10, v11
	v_mul_hi_u32 v12, v2, v3
	v_addc_co_u32_e32 v9, vcc, v9, v13, vcc
	v_addc_co_u32_e32 v10, vcc, 0, v12, vcc
	v_mul_lo_u32 v3, v2, v3
	v_add_co_u32_e32 v3, vcc, v9, v3
	v_addc_co_u32_e32 v9, vcc, 0, v10, vcc
	v_add_co_u32_e32 v1, vcc, v1, v3
	v_addc_co_u32_e32 v2, vcc, v2, v9, vcc
	v_mul_lo_u32 v3, s0, v2
	v_mul_hi_u32 v9, s0, v1
	v_add_u32_e32 v3, v9, v3
	v_mul_lo_u32 v9, s1, v1
	v_add_u32_e32 v3, v3, v9
	v_mul_lo_u32 v10, s0, v1
	v_mul_hi_u32 v11, v2, v10
	v_mul_lo_u32 v12, v2, v10
	v_mul_lo_u32 v17, v1, v3
	v_mul_hi_u32 v10, v1, v10
	v_mul_hi_u32 v13, v1, v3
	v_add_co_u32_e32 v10, vcc, v10, v17
	v_addc_co_u32_e32 v13, vcc, 0, v13, vcc
	v_add_co_u32_e32 v10, vcc, v10, v12
	v_mul_hi_u32 v9, v2, v3
	v_addc_co_u32_e32 v10, vcc, v13, v11, vcc
	v_addc_co_u32_e32 v9, vcc, 0, v9, vcc
	v_mul_lo_u32 v3, v2, v3
	v_add_co_u32_e32 v3, vcc, v10, v3
	v_addc_co_u32_e32 v9, vcc, 0, v9, vcc
	v_add_co_u32_e32 v1, vcc, v1, v3
	v_addc_co_u32_e32 v9, vcc, v2, v9, vcc
	v_mad_u64_u32 v[2:3], s[0:1], v5, v9, 0
	v_mul_hi_u32 v10, v5, v1
	v_add_co_u32_e32 v12, vcc, v10, v2
	v_addc_co_u32_e32 v13, vcc, 0, v3, vcc
	v_mad_u64_u32 v[10:11], s[0:1], v4, v1, 0
	v_add_co_u32_e32 v1, vcc, v12, v10
	v_mad_u64_u32 v[2:3], s[0:1], v4, v9, 0
	v_addc_co_u32_e32 v1, vcc, v13, v11, vcc
	v_addc_co_u32_e32 v3, vcc, 0, v3, vcc
	v_add_co_u32_e32 v1, vcc, v1, v2
	v_addc_co_u32_e32 v2, vcc, 0, v3, vcc
	v_mul_lo_u32 v9, s13, v1
	v_mul_lo_u32 v10, s12, v2
	v_mad_u64_u32 v[2:3], s[0:1], s12, v1, 0
	v_add3_u32 v1, v3, v10, v9
	v_sub_u32_e32 v3, v4, v1
	v_mov_b32_e32 v9, s13
	v_sub_co_u32_e32 v2, vcc, v5, v2
	v_subb_co_u32_e64 v3, s[0:1], v3, v9, vcc
	v_subrev_co_u32_e64 v5, s[0:1], s12, v2
	v_subbrev_co_u32_e64 v3, s[0:1], 0, v3, s[0:1]
	v_cmp_le_u32_e64 s[0:1], s13, v3
	v_subb_co_u32_e32 v1, vcc, v4, v1, vcc
	v_cndmask_b32_e64 v9, 0, -1, s[0:1]
	v_cmp_le_u32_e64 s[0:1], s12, v5
	v_cmp_le_u32_e32 vcc, s13, v1
	v_cndmask_b32_e64 v10, 0, -1, s[0:1]
	v_cmp_eq_u32_e64 s[0:1], s13, v3
	v_cndmask_b32_e64 v4, 0, -1, vcc
	v_cmp_le_u32_e32 vcc, s12, v2
	v_cndmask_b32_e64 v3, v9, v10, s[0:1]
	v_cndmask_b32_e64 v10, 0, -1, vcc
	v_cmp_eq_u32_e32 vcc, s13, v1
	v_subrev_co_u32_e64 v9, s[0:1], s12, v5
	v_cndmask_b32_e32 v1, v4, v10, vcc
	v_cmp_ne_u32_e32 vcc, 0, v3
	v_cndmask_b32_e32 v3, v5, v9, vcc
	v_cmp_ne_u32_e32 vcc, 0, v1
	v_cndmask_b32_e32 v10, v2, v3, vcc
                                        ; implicit-def: $vgpr2_vgpr3_vgpr4_vgpr5
.LBB0_28:                               ;   in Loop: Header=BB0_9 Depth=1
	s_andn2_saveexec_b64 s[0:1], s[16:17]
	s_cbranch_execz .LBB0_7
; %bb.29:                               ;   in Loop: Header=BB0_9 Depth=1
	v_cvt_f32_u32_e32 v1, s12
	s_sub_i32 s16, 0, s12
	v_rcp_iflag_f32_e32 v1, v1
	v_mul_f32_e32 v1, 0x4f7ffffe, v1
	v_cvt_u32_f32_e32 v1, v1
	v_mul_lo_u32 v2, s16, v1
	v_mul_hi_u32 v2, v1, v2
	v_add_u32_e32 v1, v1, v2
	v_mul_hi_u32 v1, v5, v1
	v_mul_lo_u32 v1, v1, s12
	v_sub_u32_e32 v1, v5, v1
	v_subrev_u32_e32 v2, s12, v1
	v_cmp_le_u32_e32 vcc, s12, v1
	v_cndmask_b32_e32 v1, v1, v2, vcc
	v_subrev_u32_e32 v2, s12, v1
	v_cmp_le_u32_e32 vcc, s12, v1
	v_cndmask_b32_e32 v10, v1, v2, vcc
	s_branch .LBB0_7
.LBB0_30:
	s_endpgm
.LBB0_31:
                                        ; implicit-def: $sgpr2_sgpr3
	s_andn2_b64 vcc, exec, s[0:1]
	s_cbranch_vccz .LBB0_4
	s_branch .LBB0_5
	.section	.rodata,"a",@progbits
	.p2align	6, 0x0
	.amdhsa_kernel _ZN2at6native12_GLOBAL__N_143distribution_elementwise_grid_stride_kernelImLi2EZZZNS0_9templates4cuda21random_from_to_kernelIPNS_17CUDAGeneratorImplEEEvRNS_18TensorIteratorBaseEmlT_ENKUlvE_clEvENKUlvE_clEvEUlP25hiprandStatePhilox4_32_10E_ZNS1_27distribution_nullary_kernelIhm15HIP_vector_typeIyLj2EES7_SF_ZZZNS5_IS7_EEvS9_mlSA_ENKSB_clEvENKSC_clEvEUlmE_EEvS9_T2_RKT3_T4_EUlimE_EEvlNS_15PhiloxCudaStateET1_SK_
		.amdhsa_group_segment_fixed_size 0
		.amdhsa_private_segment_fixed_size 0
		.amdhsa_kernarg_size 336
		.amdhsa_user_sgpr_count 6
		.amdhsa_user_sgpr_private_segment_buffer 1
		.amdhsa_user_sgpr_dispatch_ptr 0
		.amdhsa_user_sgpr_queue_ptr 0
		.amdhsa_user_sgpr_kernarg_segment_ptr 1
		.amdhsa_user_sgpr_dispatch_id 0
		.amdhsa_user_sgpr_flat_scratch_init 0
		.amdhsa_user_sgpr_kernarg_preload_length 0
		.amdhsa_user_sgpr_kernarg_preload_offset 0
		.amdhsa_user_sgpr_private_segment_size 0
		.amdhsa_uses_dynamic_stack 0
		.amdhsa_system_sgpr_private_segment_wavefront_offset 0
		.amdhsa_system_sgpr_workgroup_id_x 1
		.amdhsa_system_sgpr_workgroup_id_y 0
		.amdhsa_system_sgpr_workgroup_id_z 0
		.amdhsa_system_sgpr_workgroup_info 0
		.amdhsa_system_vgpr_workitem_id 0
		.amdhsa_next_free_vgpr 48
		.amdhsa_next_free_sgpr 24
		.amdhsa_accum_offset 48
		.amdhsa_reserve_vcc 1
		.amdhsa_reserve_flat_scratch 0
		.amdhsa_float_round_mode_32 0
		.amdhsa_float_round_mode_16_64 0
		.amdhsa_float_denorm_mode_32 3
		.amdhsa_float_denorm_mode_16_64 3
		.amdhsa_dx10_clamp 1
		.amdhsa_ieee_mode 1
		.amdhsa_fp16_overflow 0
		.amdhsa_tg_split 0
		.amdhsa_exception_fp_ieee_invalid_op 0
		.amdhsa_exception_fp_denorm_src 0
		.amdhsa_exception_fp_ieee_div_zero 0
		.amdhsa_exception_fp_ieee_overflow 0
		.amdhsa_exception_fp_ieee_underflow 0
		.amdhsa_exception_fp_ieee_inexact 0
		.amdhsa_exception_int_div_zero 0
	.end_amdhsa_kernel
	.section	.text._ZN2at6native12_GLOBAL__N_143distribution_elementwise_grid_stride_kernelImLi2EZZZNS0_9templates4cuda21random_from_to_kernelIPNS_17CUDAGeneratorImplEEEvRNS_18TensorIteratorBaseEmlT_ENKUlvE_clEvENKUlvE_clEvEUlP25hiprandStatePhilox4_32_10E_ZNS1_27distribution_nullary_kernelIhm15HIP_vector_typeIyLj2EES7_SF_ZZZNS5_IS7_EEvS9_mlSA_ENKSB_clEvENKSC_clEvEUlmE_EEvS9_T2_RKT3_T4_EUlimE_EEvlNS_15PhiloxCudaStateET1_SK_,"axG",@progbits,_ZN2at6native12_GLOBAL__N_143distribution_elementwise_grid_stride_kernelImLi2EZZZNS0_9templates4cuda21random_from_to_kernelIPNS_17CUDAGeneratorImplEEEvRNS_18TensorIteratorBaseEmlT_ENKUlvE_clEvENKUlvE_clEvEUlP25hiprandStatePhilox4_32_10E_ZNS1_27distribution_nullary_kernelIhm15HIP_vector_typeIyLj2EES7_SF_ZZZNS5_IS7_EEvS9_mlSA_ENKSB_clEvENKSC_clEvEUlmE_EEvS9_T2_RKT3_T4_EUlimE_EEvlNS_15PhiloxCudaStateET1_SK_,comdat
.Lfunc_end0:
	.size	_ZN2at6native12_GLOBAL__N_143distribution_elementwise_grid_stride_kernelImLi2EZZZNS0_9templates4cuda21random_from_to_kernelIPNS_17CUDAGeneratorImplEEEvRNS_18TensorIteratorBaseEmlT_ENKUlvE_clEvENKUlvE_clEvEUlP25hiprandStatePhilox4_32_10E_ZNS1_27distribution_nullary_kernelIhm15HIP_vector_typeIyLj2EES7_SF_ZZZNS5_IS7_EEvS9_mlSA_ENKSB_clEvENKSC_clEvEUlmE_EEvS9_T2_RKT3_T4_EUlimE_EEvlNS_15PhiloxCudaStateET1_SK_, .Lfunc_end0-_ZN2at6native12_GLOBAL__N_143distribution_elementwise_grid_stride_kernelImLi2EZZZNS0_9templates4cuda21random_from_to_kernelIPNS_17CUDAGeneratorImplEEEvRNS_18TensorIteratorBaseEmlT_ENKUlvE_clEvENKUlvE_clEvEUlP25hiprandStatePhilox4_32_10E_ZNS1_27distribution_nullary_kernelIhm15HIP_vector_typeIyLj2EES7_SF_ZZZNS5_IS7_EEvS9_mlSA_ENKSB_clEvENKSC_clEvEUlmE_EEvS9_T2_RKT3_T4_EUlimE_EEvlNS_15PhiloxCudaStateET1_SK_
                                        ; -- End function
	.section	.AMDGPU.csdata,"",@progbits
; Kernel info:
; codeLenInByte = 3552
; NumSgprs: 28
; NumVgprs: 48
; NumAgprs: 0
; TotalNumVgprs: 48
; ScratchSize: 0
; MemoryBound: 0
; FloatMode: 240
; IeeeMode: 1
; LDSByteSize: 0 bytes/workgroup (compile time only)
; SGPRBlocks: 3
; VGPRBlocks: 5
; NumSGPRsForWavesPerEU: 28
; NumVGPRsForWavesPerEU: 48
; AccumOffset: 48
; Occupancy: 8
; WaveLimiterHint : 0
; COMPUTE_PGM_RSRC2:SCRATCH_EN: 0
; COMPUTE_PGM_RSRC2:USER_SGPR: 6
; COMPUTE_PGM_RSRC2:TRAP_HANDLER: 0
; COMPUTE_PGM_RSRC2:TGID_X_EN: 1
; COMPUTE_PGM_RSRC2:TGID_Y_EN: 0
; COMPUTE_PGM_RSRC2:TGID_Z_EN: 0
; COMPUTE_PGM_RSRC2:TIDIG_COMP_CNT: 0
; COMPUTE_PGM_RSRC3_GFX90A:ACCUM_OFFSET: 11
; COMPUTE_PGM_RSRC3_GFX90A:TG_SPLIT: 0
	.section	.text._ZN2at6native12_GLOBAL__N_143distribution_elementwise_grid_stride_kernelImLi2EZZZNS0_9templates4cuda21random_from_to_kernelIPNS_17CUDAGeneratorImplEEEvRNS_18TensorIteratorBaseEmlT_ENKUlvE_clEvENKUlvE_clEvEUlP25hiprandStatePhilox4_32_10E_ZNS1_27distribution_nullary_kernelIhm15HIP_vector_typeIyLj2EES7_SF_ZZZNS5_IS7_EEvS9_mlSA_ENKSB_clEvENKSC_clEvEUlmE_EEvS9_T2_RKT3_T4_EUlimE0_EEvlNS_15PhiloxCudaStateET1_SK_,"axG",@progbits,_ZN2at6native12_GLOBAL__N_143distribution_elementwise_grid_stride_kernelImLi2EZZZNS0_9templates4cuda21random_from_to_kernelIPNS_17CUDAGeneratorImplEEEvRNS_18TensorIteratorBaseEmlT_ENKUlvE_clEvENKUlvE_clEvEUlP25hiprandStatePhilox4_32_10E_ZNS1_27distribution_nullary_kernelIhm15HIP_vector_typeIyLj2EES7_SF_ZZZNS5_IS7_EEvS9_mlSA_ENKSB_clEvENKSC_clEvEUlmE_EEvS9_T2_RKT3_T4_EUlimE0_EEvlNS_15PhiloxCudaStateET1_SK_,comdat
	.globl	_ZN2at6native12_GLOBAL__N_143distribution_elementwise_grid_stride_kernelImLi2EZZZNS0_9templates4cuda21random_from_to_kernelIPNS_17CUDAGeneratorImplEEEvRNS_18TensorIteratorBaseEmlT_ENKUlvE_clEvENKUlvE_clEvEUlP25hiprandStatePhilox4_32_10E_ZNS1_27distribution_nullary_kernelIhm15HIP_vector_typeIyLj2EES7_SF_ZZZNS5_IS7_EEvS9_mlSA_ENKSB_clEvENKSC_clEvEUlmE_EEvS9_T2_RKT3_T4_EUlimE0_EEvlNS_15PhiloxCudaStateET1_SK_ ; -- Begin function _ZN2at6native12_GLOBAL__N_143distribution_elementwise_grid_stride_kernelImLi2EZZZNS0_9templates4cuda21random_from_to_kernelIPNS_17CUDAGeneratorImplEEEvRNS_18TensorIteratorBaseEmlT_ENKUlvE_clEvENKUlvE_clEvEUlP25hiprandStatePhilox4_32_10E_ZNS1_27distribution_nullary_kernelIhm15HIP_vector_typeIyLj2EES7_SF_ZZZNS5_IS7_EEvS9_mlSA_ENKSB_clEvENKSC_clEvEUlmE_EEvS9_T2_RKT3_T4_EUlimE0_EEvlNS_15PhiloxCudaStateET1_SK_
	.p2align	8
	.type	_ZN2at6native12_GLOBAL__N_143distribution_elementwise_grid_stride_kernelImLi2EZZZNS0_9templates4cuda21random_from_to_kernelIPNS_17CUDAGeneratorImplEEEvRNS_18TensorIteratorBaseEmlT_ENKUlvE_clEvENKUlvE_clEvEUlP25hiprandStatePhilox4_32_10E_ZNS1_27distribution_nullary_kernelIhm15HIP_vector_typeIyLj2EES7_SF_ZZZNS5_IS7_EEvS9_mlSA_ENKSB_clEvENKSC_clEvEUlmE_EEvS9_T2_RKT3_T4_EUlimE0_EEvlNS_15PhiloxCudaStateET1_SK_,@function
_ZN2at6native12_GLOBAL__N_143distribution_elementwise_grid_stride_kernelImLi2EZZZNS0_9templates4cuda21random_from_to_kernelIPNS_17CUDAGeneratorImplEEEvRNS_18TensorIteratorBaseEmlT_ENKUlvE_clEvENKUlvE_clEvEUlP25hiprandStatePhilox4_32_10E_ZNS1_27distribution_nullary_kernelIhm15HIP_vector_typeIyLj2EES7_SF_ZZZNS5_IS7_EEvS9_mlSA_ENKSB_clEvENKSC_clEvEUlmE_EEvS9_T2_RKT3_T4_EUlimE0_EEvlNS_15PhiloxCudaStateET1_SK_: ; @_ZN2at6native12_GLOBAL__N_143distribution_elementwise_grid_stride_kernelImLi2EZZZNS0_9templates4cuda21random_from_to_kernelIPNS_17CUDAGeneratorImplEEEvRNS_18TensorIteratorBaseEmlT_ENKUlvE_clEvENKUlvE_clEvEUlP25hiprandStatePhilox4_32_10E_ZNS1_27distribution_nullary_kernelIhm15HIP_vector_typeIyLj2EES7_SF_ZZZNS5_IS7_EEvS9_mlSA_ENKSB_clEvENKSC_clEvEUlmE_EEvS9_T2_RKT3_T4_EUlimE0_EEvlNS_15PhiloxCudaStateET1_SK_
; %bb.0:
	s_load_dword s2, s[4:5], 0x20
	s_load_dwordx2 s[0:1], s[4:5], 0x10
	s_load_dwordx4 s[24:27], s[4:5], 0x0
	s_waitcnt lgkmcnt(0)
	s_bitcmp0_b32 s2, 0
	s_mov_b32 s2, 0
	v_pk_mov_b32 v[2:3], s[0:1], s[0:1] op_sel:[0,1]
	v_pk_mov_b32 v[12:13], s[26:27], s[26:27] op_sel:[0,1]
	s_cbranch_scc1 .LBB1_2
; %bb.1:
	v_pk_mov_b32 v[2:3], s[0:1], s[0:1] op_sel:[0,1]
	flat_load_dwordx2 v[2:3], v[2:3]
	v_pk_mov_b32 v[4:5], s[26:27], s[26:27] op_sel:[0,1]
	flat_load_dwordx2 v[12:13], v[4:5]
	s_load_dwordx2 s[0:1], s[4:5], 0x18
	s_waitcnt lgkmcnt(0)
	v_mov_b32_e32 v1, s1
	s_waitcnt vmcnt(0)
	v_add_co_u32_e32 v2, vcc, s0, v2
	v_addc_co_u32_e32 v3, vcc, v3, v1, vcc
.LBB1_2:
	s_load_dword s0, s[4:5], 0x15c
	s_load_dword s7, s[4:5], 0x150
	s_waitcnt lgkmcnt(0)
	s_and_b32 s8, s0, 0xffff
	s_add_u32 s9, s24, -1
	s_mul_i32 s33, s7, s8
	s_addc_u32 s3, s25, -1
	s_lshl_b32 s62, s33, 1
	s_cmp_lg_u64 s[2:3], 0
	s_mov_b64 s[0:1], -1
	s_cbranch_scc0 .LBB1_59
; %bb.3:
	v_cvt_f32_u32_e32 v1, s62
	v_cvt_f32_ubyte0_e32 v4, 0
	s_sub_u32 s2, 0, s62
	s_subb_u32 s10, 0, 0
	v_madmk_f32 v1, v4, 0x4f800000, v1
	v_rcp_f32_e32 v1, v1
	v_mul_f32_e32 v1, 0x5f7ffffc, v1
	v_mul_f32_e32 v4, 0x2f800000, v1
	v_trunc_f32_e32 v4, v4
	v_madmk_f32 v1, v4, 0xcf800000, v1
	v_cvt_u32_f32_e32 v4, v4
	v_cvt_u32_f32_e32 v1, v1
	v_readfirstlane_b32 s11, v4
	v_readfirstlane_b32 s12, v1
	s_mul_i32 s13, s2, s11
	s_mul_hi_u32 s15, s2, s12
	s_mul_i32 s14, s10, s12
	s_add_i32 s13, s15, s13
	s_add_i32 s13, s13, s14
	s_mul_i32 s16, s2, s12
	s_mul_hi_u32 s14, s12, s13
	s_mul_i32 s15, s12, s13
	s_mul_hi_u32 s12, s12, s16
	s_add_u32 s12, s12, s15
	s_addc_u32 s14, 0, s14
	s_mul_hi_u32 s17, s11, s16
	s_mul_i32 s16, s11, s16
	s_add_u32 s12, s12, s16
	s_mul_hi_u32 s15, s11, s13
	s_addc_u32 s12, s14, s17
	s_addc_u32 s14, s15, 0
	s_mul_i32 s13, s11, s13
	s_add_u32 s12, s12, s13
	s_addc_u32 s13, 0, s14
	v_add_co_u32_e32 v1, vcc, s12, v1
	s_cmp_lg_u64 vcc, 0
	s_addc_u32 s11, s11, s13
	v_readfirstlane_b32 s13, v1
	s_mul_i32 s12, s2, s11
	s_mul_hi_u32 s14, s2, s13
	s_add_i32 s12, s14, s12
	s_mul_i32 s10, s10, s13
	s_add_i32 s12, s12, s10
	s_mul_i32 s2, s2, s13
	s_mul_hi_u32 s14, s11, s2
	s_mul_i32 s15, s11, s2
	s_mul_i32 s17, s13, s12
	s_mul_hi_u32 s2, s13, s2
	s_mul_hi_u32 s16, s13, s12
	s_add_u32 s2, s2, s17
	s_addc_u32 s13, 0, s16
	s_add_u32 s2, s2, s15
	s_mul_hi_u32 s10, s11, s12
	s_addc_u32 s2, s13, s14
	s_addc_u32 s10, s10, 0
	s_mul_i32 s12, s11, s12
	s_add_u32 s2, s2, s12
	s_addc_u32 s10, 0, s10
	v_add_co_u32_e32 v1, vcc, s2, v1
	s_cmp_lg_u64 vcc, 0
	s_addc_u32 s12, s11, s10
	s_ashr_i32 s10, s3, 31
	s_add_u32 s2, s9, s10
	s_mov_b32 s11, s10
	s_addc_u32 s3, s3, s10
	s_xor_b64 s[2:3], s[2:3], s[10:11]
	v_readfirstlane_b32 s15, v1
	s_mul_i32 s14, s2, s12
	s_mul_hi_u32 s16, s2, s15
	s_mul_hi_u32 s13, s2, s12
	s_add_u32 s14, s16, s14
	s_addc_u32 s13, 0, s13
	s_mul_hi_u32 s17, s3, s15
	s_mul_i32 s15, s3, s15
	s_add_u32 s14, s14, s15
	s_mul_hi_u32 s16, s3, s12
	s_addc_u32 s13, s13, s17
	s_addc_u32 s14, s16, 0
	s_mul_i32 s12, s3, s12
	s_add_u32 s12, s13, s12
	s_addc_u32 s13, 0, s14
	s_add_u32 s14, s12, 1
	s_addc_u32 s15, s13, 0
	s_add_u32 s16, s12, 2
	s_mul_i32 s18, s62, s13
	s_mul_hi_u32 s19, s62, s12
	s_addc_u32 s17, s13, 0
	s_add_i32 s19, s19, s18
	s_mul_i32 s18, s62, s12
	v_mov_b32_e32 v1, s18
	v_sub_co_u32_e32 v1, vcc, s2, v1
	s_cmp_lg_u64 vcc, 0
	s_subb_u32 s2, s3, s19
	v_subrev_co_u32_e32 v4, vcc, s62, v1
	s_cmp_lg_u64 vcc, 0
	s_subb_u32 s3, s2, 0
	v_readfirstlane_b32 s18, v4
	s_cmp_ge_u32 s18, s62
	s_cselect_b32 s18, -1, 0
	s_cmp_eq_u32 s3, 0
	s_cselect_b32 s3, s18, -1
	s_cmp_lg_u32 s3, 0
	s_cselect_b32 s3, s17, s15
	v_readfirstlane_b32 s15, v1
	s_cselect_b32 s14, s16, s14
	s_cmp_ge_u32 s15, s62
	s_cselect_b32 s15, -1, 0
	s_cmp_eq_u32 s2, 0
	s_cselect_b32 s2, s15, -1
	s_cmp_lg_u32 s2, 0
	s_cselect_b32 s3, s3, s13
	s_cselect_b32 s2, s14, s12
	s_xor_b64 s[2:3], s[2:3], s[10:11]
	s_sub_u32 s2, s2, s10
	s_subb_u32 s3, s3, s10
	s_cbranch_execnz .LBB1_5
.LBB1_4:
	v_cvt_f32_u32_e32 v1, s62
	s_sub_i32 s0, 0, s62
	s_mov_b32 s3, 0
	v_rcp_iflag_f32_e32 v1, v1
	v_mul_f32_e32 v1, 0x4f7ffffe, v1
	v_cvt_u32_f32_e32 v1, v1
	v_readfirstlane_b32 s1, v1
	s_mul_i32 s0, s0, s1
	s_mul_hi_u32 s0, s1, s0
	s_add_i32 s1, s1, s0
	s_mul_hi_u32 s0, s9, s1
	s_mul_i32 s2, s0, s62
	s_sub_i32 s2, s9, s2
	s_add_i32 s1, s0, 1
	s_sub_i32 s9, s2, s62
	s_cmp_ge_u32 s2, s62
	s_cselect_b32 s0, s1, s0
	s_cselect_b32 s2, s9, s2
	s_add_i32 s1, s0, 1
	s_cmp_ge_u32 s2, s62
	s_cselect_b32 s2, s1, s0
.LBB1_5:
	v_mov_b32_e32 v14, 0
	v_mov_b32_e32 v1, v14
	;; [unrolled: 1-line block ×3, first 2 shown]
	v_mad_u64_u32 v[16:17], s[0:1], s8, v4, v[0:1]
	s_add_u32 s0, s2, 1
	s_addc_u32 s1, s3, 0
	s_mul_hi_u32 s2, s7, s8
	s_mul_i32 s1, s33, s1
	s_mul_hi_u32 s3, s33, s0
	s_add_i32 s1, s3, s1
	s_mul_i32 s2, s2, s0
	s_add_i32 s1, s1, s2
	s_mul_i32 s0, s33, s0
	s_lshl_b64 s[26:27], s[0:1], 1
	v_cmp_gt_i64_e32 vcc, s[26:27], v[16:17]
	s_and_saveexec_b64 s[0:1], vcc
	s_cbranch_execz .LBB1_58
; %bb.6:
	s_mov_b32 s0, 0x5384540f
	v_mov_b32_e32 v0, v13
	v_add_co_u32_e32 v24, vcc, s0, v12
	s_mov_b32 s0, 0x646e171e
	v_add_co_u32_e32 v25, vcc, s0, v0
	s_mov_b32 s0, 0x1715609d
	;; [unrolled: 2-line block ×6, first 2 shown]
	v_alignbit_b32 v31, v3, v2, 2
	s_mov_b32 s64, 0xd2511f53
	v_add_co_u32_e32 v30, vcc, s0, v12
	v_mad_u64_u32 v[4:5], s[0:1], v31, s64, 0
	v_xor_b32_e32 v1, v5, v13
	v_xor_b32_e32 v1, v1, v17
	s_mov_b32 s65, 0xcd9e8d57
	v_mad_u64_u32 v[6:7], s[0:1], v1, s65, 0
	v_xor_b32_e32 v1, v30, v7
	v_mad_u64_u32 v[8:9], s[0:1], v16, s65, 0
	v_and_b32_e32 v20, 3, v2
	v_xor_b32_e32 v1, v1, v8
	v_xor_b32_e32 v2, v12, v9
	v_lshrrev_b32_e32 v32, 2, v3
	v_mad_u64_u32 v[10:11], s[0:1], v1, s64, 0
	v_xor_b32_e32 v2, v2, v32
	v_xor_b32_e32 v1, v29, v11
	v_mad_u64_u32 v[2:3], s[0:1], v2, s64, 0
	v_xor_b32_e32 v1, v1, v2
	v_mad_u64_u32 v[8:9], s[0:1], v1, s65, 0
	s_mov_b32 s0, 0xbb67ae85
	v_add_co_u32_e32 v33, vcc, s0, v0
	v_xor_b32_e32 v2, v33, v3
	v_xor_b32_e32 v2, v2, v4
	v_xor_b32_e32 v1, v28, v9
	v_mad_u64_u32 v[2:3], s[0:1], v2, s65, 0
	v_xor_b32_e32 v1, v1, v2
	v_mad_u64_u32 v[4:5], s[0:1], v1, s64, 0
	s_mov_b32 s0, 0x3c6ef372
	v_add_co_u32_e32 v34, vcc, s0, v12
	v_xor_b32_e32 v2, v34, v3
	;; [unrolled: 8-line block ×6, first 2 shown]
	v_add_co_u32_e32 v23, vcc, 0xdb3d7428, v0
	v_xor_b32_e32 v2, v2, v6
	v_xor_b32_e32 v1, v23, v5
	v_mad_u64_u32 v[2:3], s[0:1], v2, s64, 0
	v_xor_b32_e32 v1, v1, v2
	v_mad_u64_u32 v[6:7], s[0:1], v1, s65, 0
	s_mov_b32 s0, 0x1fd5c5a3
	v_add_co_u32_e32 v39, vcc, s0, v0
	v_xor_b32_e32 v0, v39, v3
	v_xor_b32_e32 v0, v0, v10
	v_mad_u64_u32 v[0:1], s[0:1], v0, s65, 0
	s_mov_b32 s0, 0xf1bbcdc8
	s_load_dwordx8 s[8:15], s[4:5], 0x30
	v_add_co_u32_e32 v40, vcc, s0, v12
	v_xor_b32_e32 v1, v40, v1
	v_xor_b32_e32 v1, v1, v8
	s_add_u32 s34, s4, 48
	v_mad_u64_u32 v[8:9], s[0:1], v1, s64, 0
	s_addc_u32 s35, s5, 0
	s_waitcnt lgkmcnt(0)
	s_add_i32 s0, s8, -1
	s_cmp_gt_u32 s0, 1
	s_cselect_b64 s[40:41], -1, 0
	s_cmp_lg_u32 s8, 0
	s_cselect_b64 s[42:43], -1, 0
	s_add_u32 s44, s4, 0xf4
	s_addc_u32 s45, s5, 0
	s_min_u32 s1, s0, 15
	s_cmp_gt_u32 s8, 1
	s_cselect_b64 s[46:47], -1, 0
	s_load_dwordx2 s[48:49], s[4:5], 0x148
	s_load_dwordx2 s[50:51], s[4:5], 0xf4
	s_load_dwordx4 s[28:31], s[4:5], 0x138
	s_add_i32 s1, s1, 1
	s_mov_b32 s8, s13
	s_and_b32 s13, s1, 3
	s_cmp_lg_u32 s0, 2
	s_cselect_b64 s[52:53], -1, 0
	s_and_b32 s15, s1, 28
	v_add_u32_e32 v21, 0x8ff34781, v12
	v_add_u32_e32 v22, 0x96a522ad, v13
	v_xor_b32_e32 v0, v7, v0
	v_xor_b32_e32 v1, v9, v4
	s_cmp_lg_u32 s13, 0
	s_mov_b32 s63, 0
	v_xor_b32_e32 v0, v21, v0
	v_xor_b32_e32 v2, v22, v1
	v_mov_b32_e32 v1, v6
	v_mov_b32_e32 v3, v8
	s_mov_b64 s[54:55], 0
	s_cselect_b64 s[56:57], -1, 0
	v_mov_b32_e32 v41, v16
	v_mov_b32_e32 v42, v17
	s_branch .LBB1_9
.LBB1_7:                                ;   in Loop: Header=BB1_9 Depth=1
	s_or_b64 exec, exec, s[0:1]
	v_add_u32_e32 v0, s48, v10
	global_store_byte v8, v0, s[28:29]
.LBB1_8:                                ;   in Loop: Header=BB1_9 Depth=1
	s_or_b64 exec, exec, s[36:37]
	v_add_co_u32_e32 v16, vcc, s62, v16
	v_addc_co_u32_e32 v17, vcc, 0, v17, vcc
	v_mov_b32_e32 v7, v18
	v_cmp_le_i64_e32 vcc, s[26:27], v[16:17]
	v_pk_mov_b32 v[0:1], v[4:5], v[4:5] op_sel:[0,1]
	s_or_b64 s[54:55], vcc, s[54:55]
	v_pk_mov_b32 v[2:3], v[6:7], v[6:7] op_sel:[0,1]
	s_waitcnt lgkmcnt(0)
	s_barrier
	s_andn2_b64 exec, exec, s[54:55]
	s_cbranch_execz .LBB1_58
.LBB1_9:                                ; =>This Loop Header: Depth=1
                                        ;     Child Loop BB1_24 Depth 2
                                        ;     Child Loop BB1_30 Depth 2
	;; [unrolled: 1-line block ×4, first 2 shown]
	v_add_co_u32_e32 v31, vcc, 1, v31
	v_cndmask_b32_e64 v4, 0, 1, vcc
	v_addc_co_u32_e32 v32, vcc, 0, v32, vcc
	v_cmp_eq_u32_e32 vcc, 0, v32
	v_cndmask_b32_e32 v4, 0, v4, vcc
	v_add_u32_e32 v41, v4, v41
	v_cmp_eq_u32_e32 vcc, 0, v41
	v_cndmask_b32_e32 v4, 0, v4, vcc
	v_add_u32_e32 v42, v4, v42
	v_mad_u64_u32 v[4:5], s[0:1], v31, s64, 0
	v_mad_u64_u32 v[6:7], s[0:1], v41, s65, 0
	v_xor_b32_e32 v5, v5, v13
	v_xor_b32_e32 v7, v7, v12
	v_xor_b32_e32 v5, v42, v5
	v_xor_b32_e32 v7, v32, v7
	v_mad_u64_u32 v[10:11], s[0:1], v5, s65, 0
	v_mad_u64_u32 v[8:9], s[0:1], v7, s64, 0
	v_xor_b32_e32 v5, v30, v11
	v_xor_b32_e32 v5, v5, v6
	v_xor_b32_e32 v6, v33, v9
	v_xor_b32_e32 v6, v6, v4
	v_mad_u64_u32 v[4:5], s[0:1], v5, s64, 0
	v_mad_u64_u32 v[6:7], s[0:1], v6, s65, 0
	v_xor_b32_e32 v5, v29, v5
	v_xor_b32_e32 v7, v34, v7
	v_xor_b32_e32 v5, v5, v8
	v_xor_b32_e32 v7, v7, v10
	v_mad_u64_u32 v[10:11], s[0:1], v5, s65, 0
	v_mad_u64_u32 v[8:9], s[0:1], v7, s64, 0
	v_xor_b32_e32 v5, v28, v11
	v_xor_b32_e32 v5, v5, v6
	v_xor_b32_e32 v6, v35, v9
	v_xor_b32_e32 v6, v6, v4
	v_mad_u64_u32 v[4:5], s[0:1], v5, s64, 0
	v_mad_u64_u32 v[6:7], s[0:1], v6, s65, 0
	v_xor_b32_e32 v5, v27, v5
	v_xor_b32_e32 v7, v36, v7
	v_xor_b32_e32 v5, v5, v8
	v_xor_b32_e32 v7, v7, v10
	v_mad_u64_u32 v[10:11], s[0:1], v5, s65, 0
	v_mad_u64_u32 v[8:9], s[0:1], v7, s64, 0
	v_xor_b32_e32 v5, v26, v11
	v_xor_b32_e32 v5, v5, v6
	v_xor_b32_e32 v6, v37, v9
	v_xor_b32_e32 v6, v6, v4
	v_mad_u64_u32 v[4:5], s[0:1], v5, s64, 0
	v_mad_u64_u32 v[6:7], s[0:1], v6, s65, 0
	v_xor_b32_e32 v5, v25, v5
	v_xor_b32_e32 v7, v38, v7
	v_xor_b32_e32 v5, v5, v8
	v_xor_b32_e32 v7, v7, v10
	v_mad_u64_u32 v[10:11], s[0:1], v5, s65, 0
	v_mad_u64_u32 v[8:9], s[0:1], v7, s64, 0
	v_xor_b32_e32 v5, v24, v11
	v_xor_b32_e32 v5, v5, v6
	v_xor_b32_e32 v6, v39, v9
	v_xor_b32_e32 v4, v6, v4
	v_mad_u64_u32 v[6:7], s[0:1], v5, s64, 0
	v_mad_u64_u32 v[4:5], s[0:1], v4, s65, 0
	v_xor_b32_e32 v5, v40, v5
	v_xor_b32_e32 v5, v5, v10
	v_xor_b32_e32 v7, v23, v7
	v_xor_b32_e32 v7, v7, v8
	v_mad_u64_u32 v[18:19], s[0:1], v5, s64, 0
	v_mad_u64_u32 v[10:11], s[0:1], v7, s65, 0
	v_xor_b32_e32 v5, v19, v6
	v_xor_b32_e32 v4, v11, v4
	v_xor_b32_e32 v11, v22, v5
	v_xor_b32_e32 v4, v21, v4
	v_mov_b32_e32 v5, v10
	v_mov_b32_e32 v6, v11
	v_cmp_lt_i32_e32 vcc, 1, v20
	s_and_saveexec_b64 s[0:1], vcc
	s_xor_b64 s[0:1], exec, s[0:1]
	s_cbranch_execz .LBB1_15
; %bb.10:                               ;   in Loop: Header=BB1_9 Depth=1
	v_cmp_lt_i32_e32 vcc, 2, v20
	s_and_saveexec_b64 s[2:3], vcc
	s_xor_b64 s[2:3], exec, s[2:3]
; %bb.11:                               ;   in Loop: Header=BB1_9 Depth=1
	v_mov_b32_e32 v8, v3
	v_mov_b32_e32 v9, v4
	v_pk_mov_b32 v[0:1], v[8:9], v[8:9] op_sel:[0,1]
	v_pk_mov_b32 v[2:3], v[10:11], v[10:11] op_sel:[0,1]
                                        ; implicit-def: $vgpr10_vgpr11
; %bb.12:                               ;   in Loop: Header=BB1_9 Depth=1
	s_andn2_saveexec_b64 s[2:3], s[2:3]
; %bb.13:                               ;   in Loop: Header=BB1_9 Depth=1
	v_mov_b32_e32 v0, v2
	v_mov_b32_e32 v1, v3
	;; [unrolled: 1-line block ×4, first 2 shown]
; %bb.14:                               ;   in Loop: Header=BB1_9 Depth=1
	s_or_b64 exec, exec, s[2:3]
.LBB1_15:                               ;   in Loop: Header=BB1_9 Depth=1
	s_andn2_saveexec_b64 s[0:1], s[0:1]
	s_cbranch_execz .LBB1_19
; %bb.16:                               ;   in Loop: Header=BB1_9 Depth=1
	v_cmp_eq_u32_e32 vcc, 1, v20
	s_and_saveexec_b64 s[2:3], vcc
; %bb.17:                               ;   in Loop: Header=BB1_9 Depth=1
	v_mov_b32_e32 v0, v1
	v_mov_b32_e32 v1, v2
	v_mov_b32_e32 v2, v3
	v_mov_b32_e32 v3, v4
; %bb.18:                               ;   in Loop: Header=BB1_9 Depth=1
	s_or_b64 exec, exec, s[2:3]
.LBB1_19:                               ;   in Loop: Header=BB1_9 Depth=1
	s_or_b64 exec, exec, s[0:1]
	v_cndmask_b32_e64 v7, 0, 1, s[40:41]
	v_cmp_gt_i64_e32 vcc, s[24:25], v[16:17]
	v_cmp_ne_u32_e64 s[0:1], 1, v7
	s_and_saveexec_b64 s[58:59], vcc
	s_cbranch_execz .LBB1_39
; %bb.20:                               ;   in Loop: Header=BB1_9 Depth=1
	s_and_b64 vcc, exec, s[0:1]
	s_cbranch_vccnz .LBB1_26
; %bb.21:                               ;   in Loop: Header=BB1_9 Depth=1
	s_andn2_b64 vcc, exec, s[42:43]
	s_cbranch_vccnz .LBB1_27
; %bb.22:                               ;   in Loop: Header=BB1_9 Depth=1
	s_mov_b32 s4, 0
	s_andn2_b64 vcc, exec, s[52:53]
	v_mov_b32_e32 v8, 0
	s_cbranch_vccnz .LBB1_28
; %bb.23:                               ;   in Loop: Header=BB1_9 Depth=1
	s_waitcnt lgkmcnt(0)
	s_mov_b32 s49, 0
	v_mov_b32_e32 v8, 0
	s_mov_b64 s[2:3], s[34:35]
	s_mov_b64 s[60:61], s[44:45]
	v_mov_b32_e32 v7, v16
.LBB1_24:                               ;   Parent Loop BB1_9 Depth=1
                                        ; =>  This Inner Loop Header: Depth=2
	s_load_dwordx8 s[16:23], s[2:3], 0x4
	s_load_dwordx4 s[4:7], s[2:3], 0x24
	s_load_dwordx4 s[36:39], s[60:61], 0x0
	s_add_u32 s2, s2, 48
	s_addc_u32 s3, s3, 0
	s_waitcnt lgkmcnt(0)
	v_mul_hi_u32 v9, s17, v7
	v_add_u32_e32 v9, v7, v9
	v_lshrrev_b32_e32 v9, s18, v9
	v_mul_lo_u32 v10, v9, s16
	v_mul_hi_u32 v11, s20, v9
	v_sub_u32_e32 v7, v7, v10
	v_add_u32_e32 v10, v9, v11
	v_lshrrev_b32_e32 v10, s21, v10
	v_mul_lo_u32 v11, v10, s19
	v_mul_hi_u32 v15, s23, v10
	v_sub_u32_e32 v9, v9, v11
	v_add_u32_e32 v11, v10, v15
	v_mul_lo_u32 v7, v7, s36
	v_mul_lo_u32 v9, v9, s37
	v_lshrrev_b32_e32 v11, s4, v11
	v_add3_u32 v8, v7, v8, v9
	v_mul_lo_u32 v7, v11, s22
	v_mul_hi_u32 v9, s6, v11
	v_sub_u32_e32 v7, v10, v7
	v_add_u32_e32 v9, v11, v9
	v_mul_lo_u32 v10, v7, s38
	v_lshrrev_b32_e32 v7, s7, v9
	s_add_i32 s49, s49, 4
	v_mul_lo_u32 v9, v7, s5
	s_add_u32 s60, s60, 16
	v_sub_u32_e32 v9, v11, v9
	s_addc_u32 s61, s61, 0
	v_mul_lo_u32 v9, v9, s39
	s_cmp_lg_u32 s15, s49
	v_add3_u32 v8, v10, v8, v9
	s_cbranch_scc1 .LBB1_24
; %bb.25:                               ;   in Loop: Header=BB1_9 Depth=1
	s_mov_b32 s4, s15
	s_andn2_b64 vcc, exec, s[56:57]
	s_cbranch_vccz .LBB1_29
	s_branch .LBB1_31
.LBB1_26:                               ;   in Loop: Header=BB1_9 Depth=1
                                        ; implicit-def: $vgpr8
	s_branch .LBB1_32
.LBB1_27:                               ;   in Loop: Header=BB1_9 Depth=1
	v_mov_b32_e32 v8, 0
	s_branch .LBB1_31
.LBB1_28:                               ;   in Loop: Header=BB1_9 Depth=1
	v_mov_b32_e32 v7, v16
	s_andn2_b64 vcc, exec, s[56:57]
	s_cbranch_vccnz .LBB1_31
.LBB1_29:                               ;   in Loop: Header=BB1_9 Depth=1
	s_lshl_b32 s2, s4, 2
	s_add_u32 s2, s44, s2
	s_addc_u32 s3, s45, 0
	s_mul_i32 s4, s4, 12
	s_add_u32 s4, s34, s4
	s_addc_u32 s5, s35, 0
	s_mov_b32 s6, s13
.LBB1_30:                               ;   Parent Loop BB1_9 Depth=1
                                        ; =>  This Inner Loop Header: Depth=2
	s_load_dwordx2 s[16:17], s[4:5], 0x4
	s_load_dword s7, s[4:5], 0xc
	s_load_dword s18, s[2:3], 0x0
	s_add_u32 s4, s4, 12
	s_addc_u32 s5, s5, 0
	s_waitcnt lgkmcnt(0)
	v_mul_hi_u32 v9, s17, v7
	v_add_u32_e32 v9, v7, v9
	v_lshrrev_b32_e32 v9, s7, v9
	s_add_u32 s2, s2, 4
	v_mul_lo_u32 v10, v9, s16
	s_addc_u32 s3, s3, 0
	s_add_i32 s6, s6, -1
	v_sub_u32_e32 v10, v7, v10
	s_cmp_lg_u32 s6, 0
	v_mov_b32_e32 v7, v9
	v_mad_u64_u32 v[8:9], s[16:17], v10, s18, v[8:9]
	s_cbranch_scc1 .LBB1_30
.LBB1_31:                               ;   in Loop: Header=BB1_9 Depth=1
	s_cbranch_execnz .LBB1_34
.LBB1_32:                               ;   in Loop: Header=BB1_9 Depth=1
	v_mul_hi_u32 v7, v16, s10
	v_add_u32_e32 v7, v7, v16
	v_lshrrev_b32_e32 v7, s11, v7
	v_mul_lo_u32 v8, v7, s9
	v_sub_u32_e32 v8, v16, v8
	s_andn2_b64 vcc, exec, s[46:47]
	s_waitcnt lgkmcnt(0)
	v_mul_lo_u32 v8, v8, s50
	s_cbranch_vccnz .LBB1_34
; %bb.33:                               ;   in Loop: Header=BB1_9 Depth=1
	v_mul_hi_u32 v9, s8, v7
	v_add_u32_e32 v9, v7, v9
	v_lshrrev_b32_e32 v9, s14, v9
	v_mul_lo_u32 v9, v9, s12
	v_sub_u32_e32 v7, v7, v9
	v_mad_u64_u32 v[8:9], s[2:3], v7, s51, v[8:9]
.LBB1_34:                               ;   in Loop: Header=BB1_9 Depth=1
	s_waitcnt lgkmcnt(0)
	v_or_b32_e32 v15, s31, v0
	v_cmp_ne_u64_e32 vcc, 0, v[14:15]
                                        ; implicit-def: $vgpr10_vgpr11
	s_and_saveexec_b64 s[2:3], vcc
	s_xor_b64 s[4:5], exec, s[2:3]
	s_cbranch_execz .LBB1_36
; %bb.35:                               ;   in Loop: Header=BB1_9 Depth=1
	v_cvt_f32_u32_e32 v7, s30
	v_cvt_f32_u32_e32 v9, s31
	s_sub_u32 s2, 0, s30
	s_subb_u32 s3, 0, s31
	v_mac_f32_e32 v7, 0x4f800000, v9
	v_rcp_f32_e32 v7, v7
	v_mul_f32_e32 v7, 0x5f7ffffc, v7
	v_mul_f32_e32 v9, 0x2f800000, v7
	v_trunc_f32_e32 v9, v9
	v_mac_f32_e32 v7, 0xcf800000, v9
	v_cvt_u32_f32_e32 v9, v9
	v_cvt_u32_f32_e32 v7, v7
	v_mul_lo_u32 v10, s2, v9
	v_mul_hi_u32 v15, s2, v7
	v_mul_lo_u32 v11, s3, v7
	v_add_u32_e32 v10, v15, v10
	v_mul_lo_u32 v19, s2, v7
	v_add_u32_e32 v10, v10, v11
	v_mul_hi_u32 v15, v7, v19
	v_mul_lo_u32 v43, v7, v10
	v_mul_hi_u32 v11, v7, v10
	v_add_co_u32_e32 v15, vcc, v15, v43
	v_addc_co_u32_e32 v11, vcc, 0, v11, vcc
	v_mul_hi_u32 v44, v9, v19
	v_mul_lo_u32 v19, v9, v19
	v_add_co_u32_e32 v15, vcc, v15, v19
	v_mul_hi_u32 v43, v9, v10
	v_addc_co_u32_e32 v11, vcc, v11, v44, vcc
	v_addc_co_u32_e32 v15, vcc, 0, v43, vcc
	v_mul_lo_u32 v10, v9, v10
	v_add_co_u32_e32 v10, vcc, v11, v10
	v_addc_co_u32_e32 v11, vcc, 0, v15, vcc
	v_add_co_u32_e32 v7, vcc, v7, v10
	v_addc_co_u32_e32 v9, vcc, v9, v11, vcc
	v_mul_lo_u32 v10, s2, v9
	v_mul_hi_u32 v11, s2, v7
	v_add_u32_e32 v10, v11, v10
	v_mul_lo_u32 v11, s3, v7
	v_add_u32_e32 v10, v10, v11
	v_mul_lo_u32 v15, s2, v7
	v_mul_hi_u32 v19, v9, v15
	v_mul_lo_u32 v43, v9, v15
	v_mul_lo_u32 v45, v7, v10
	v_mul_hi_u32 v15, v7, v15
	v_mul_hi_u32 v44, v7, v10
	v_add_co_u32_e32 v15, vcc, v15, v45
	v_addc_co_u32_e32 v44, vcc, 0, v44, vcc
	v_add_co_u32_e32 v15, vcc, v15, v43
	v_mul_hi_u32 v11, v9, v10
	v_addc_co_u32_e32 v15, vcc, v44, v19, vcc
	v_addc_co_u32_e32 v11, vcc, 0, v11, vcc
	v_mul_lo_u32 v10, v9, v10
	v_add_co_u32_e32 v10, vcc, v15, v10
	v_addc_co_u32_e32 v11, vcc, 0, v11, vcc
	v_add_co_u32_e32 v7, vcc, v7, v10
	v_addc_co_u32_e32 v9, vcc, v9, v11, vcc
	v_mad_u64_u32 v[10:11], s[2:3], v1, v9, 0
	v_mul_hi_u32 v15, v1, v7
	v_add_co_u32_e32 v15, vcc, v15, v10
	v_addc_co_u32_e32 v19, vcc, 0, v11, vcc
	v_mad_u64_u32 v[44:45], s[2:3], v0, v7, 0
	v_add_co_u32_e32 v7, vcc, v15, v44
	v_mad_u64_u32 v[10:11], s[2:3], v0, v9, 0
	v_addc_co_u32_e32 v7, vcc, v19, v45, vcc
	v_addc_co_u32_e32 v9, vcc, 0, v11, vcc
	v_add_co_u32_e32 v7, vcc, v7, v10
	v_addc_co_u32_e32 v9, vcc, 0, v9, vcc
	v_mul_lo_u32 v15, s31, v7
	v_mul_lo_u32 v9, s30, v9
	v_mad_u64_u32 v[10:11], s[2:3], s30, v7, 0
	v_add3_u32 v7, v11, v9, v15
	v_sub_u32_e32 v9, v0, v7
	v_mov_b32_e32 v11, s31
	v_sub_co_u32_e32 v10, vcc, v1, v10
	v_subb_co_u32_e64 v9, s[2:3], v9, v11, vcc
	v_subrev_co_u32_e64 v11, s[2:3], s30, v10
	v_subbrev_co_u32_e64 v9, s[2:3], 0, v9, s[2:3]
	v_cmp_le_u32_e64 s[2:3], s31, v9
	v_subb_co_u32_e32 v0, vcc, v0, v7, vcc
	v_cndmask_b32_e64 v15, 0, -1, s[2:3]
	v_cmp_le_u32_e64 s[2:3], s30, v11
	v_cmp_le_u32_e32 vcc, s31, v0
	v_cndmask_b32_e64 v19, 0, -1, s[2:3]
	v_cmp_eq_u32_e64 s[2:3], s31, v9
	v_cndmask_b32_e64 v7, 0, -1, vcc
	v_cmp_le_u32_e32 vcc, s30, v10
	v_cndmask_b32_e64 v9, v15, v19, s[2:3]
	v_cndmask_b32_e64 v19, 0, -1, vcc
	v_cmp_eq_u32_e32 vcc, s31, v0
	v_subrev_co_u32_e64 v15, s[2:3], s30, v11
	v_cndmask_b32_e32 v0, v7, v19, vcc
	v_cmp_ne_u32_e32 vcc, 0, v9
	v_cndmask_b32_e32 v7, v11, v15, vcc
	v_cmp_ne_u32_e32 vcc, 0, v0
	v_cndmask_b32_e32 v10, v10, v7, vcc
.LBB1_36:                               ;   in Loop: Header=BB1_9 Depth=1
	s_andn2_saveexec_b64 s[2:3], s[4:5]
	s_cbranch_execz .LBB1_38
; %bb.37:                               ;   in Loop: Header=BB1_9 Depth=1
	v_cvt_f32_u32_e32 v0, s30
	s_sub_i32 s4, 0, s30
	v_rcp_iflag_f32_e32 v0, v0
	v_mul_f32_e32 v0, 0x4f7ffffe, v0
	v_cvt_u32_f32_e32 v0, v0
	v_mul_lo_u32 v7, s4, v0
	v_mul_hi_u32 v7, v0, v7
	v_add_u32_e32 v0, v0, v7
	v_mul_hi_u32 v0, v1, v0
	v_mul_lo_u32 v0, v0, s30
	v_sub_u32_e32 v0, v1, v0
	v_subrev_u32_e32 v1, s30, v0
	v_cmp_le_u32_e32 vcc, s30, v0
	v_cndmask_b32_e32 v0, v0, v1, vcc
	v_subrev_u32_e32 v1, s30, v0
	v_cmp_le_u32_e32 vcc, s30, v0
	v_cndmask_b32_e32 v10, v0, v1, vcc
.LBB1_38:                               ;   in Loop: Header=BB1_9 Depth=1
	s_or_b64 exec, exec, s[2:3]
	v_add_u32_e32 v0, s48, v10
	global_store_byte v8, v0, s[28:29]
.LBB1_39:                               ;   in Loop: Header=BB1_9 Depth=1
	s_or_b64 exec, exec, s[58:59]
	v_mov_b32_e32 v1, s63
	v_add_co_u32_e32 v0, vcc, s33, v16
	v_addc_co_u32_e32 v1, vcc, v17, v1, vcc
	v_cmp_gt_i64_e32 vcc, s[24:25], v[0:1]
	s_and_saveexec_b64 s[36:37], vcc
	s_cbranch_execz .LBB1_8
; %bb.40:                               ;   in Loop: Header=BB1_9 Depth=1
	s_and_b64 vcc, exec, s[0:1]
	s_cbranch_vccnz .LBB1_46
; %bb.41:                               ;   in Loop: Header=BB1_9 Depth=1
	s_andn2_b64 vcc, exec, s[42:43]
	s_cbranch_vccnz .LBB1_47
; %bb.42:                               ;   in Loop: Header=BB1_9 Depth=1
	s_mov_b32 s2, 0
	s_andn2_b64 vcc, exec, s[52:53]
	v_mov_b32_e32 v8, 0
	s_cbranch_vccnz .LBB1_48
; %bb.43:                               ;   in Loop: Header=BB1_9 Depth=1
	s_waitcnt lgkmcnt(0)
	s_mov_b32 s49, 0
	v_mov_b32_e32 v8, 0
	s_mov_b64 s[38:39], s[34:35]
	s_mov_b64 s[58:59], s[44:45]
	v_mov_b32_e32 v1, v0
.LBB1_44:                               ;   Parent Loop BB1_9 Depth=1
                                        ; =>  This Inner Loop Header: Depth=2
	s_load_dwordx8 s[0:7], s[38:39], 0x4
	s_load_dwordx4 s[16:19], s[38:39], 0x24
	s_load_dwordx4 s[20:23], s[58:59], 0x0
	s_add_u32 s38, s38, 48
	s_addc_u32 s39, s39, 0
	s_waitcnt lgkmcnt(0)
	v_mul_hi_u32 v7, s1, v1
	v_add_u32_e32 v7, v1, v7
	v_lshrrev_b32_e32 v7, s2, v7
	v_mul_lo_u32 v9, v7, s0
	v_mul_hi_u32 v10, s4, v7
	v_sub_u32_e32 v1, v1, v9
	v_add_u32_e32 v9, v7, v10
	v_lshrrev_b32_e32 v9, s5, v9
	v_mul_lo_u32 v10, v9, s3
	v_mul_hi_u32 v11, s7, v9
	v_sub_u32_e32 v7, v7, v10
	v_add_u32_e32 v10, v9, v11
	v_mul_lo_u32 v1, v1, s20
	v_mul_lo_u32 v7, v7, s21
	v_lshrrev_b32_e32 v10, s16, v10
	v_add3_u32 v7, v1, v8, v7
	v_mul_lo_u32 v1, v10, s6
	v_mul_hi_u32 v8, s18, v10
	v_sub_u32_e32 v1, v9, v1
	v_add_u32_e32 v8, v10, v8
	v_mul_lo_u32 v9, v1, s22
	v_lshrrev_b32_e32 v1, s19, v8
	s_add_i32 s49, s49, 4
	v_mul_lo_u32 v8, v1, s17
	s_add_u32 s58, s58, 16
	v_sub_u32_e32 v8, v10, v8
	s_addc_u32 s59, s59, 0
	v_mul_lo_u32 v8, v8, s23
	s_cmp_eq_u32 s15, s49
	v_add3_u32 v8, v9, v7, v8
	s_cbranch_scc0 .LBB1_44
; %bb.45:                               ;   in Loop: Header=BB1_9 Depth=1
	s_mov_b32 s2, s15
	s_andn2_b64 vcc, exec, s[56:57]
	s_cbranch_vccz .LBB1_49
	s_branch .LBB1_51
.LBB1_46:                               ;   in Loop: Header=BB1_9 Depth=1
                                        ; implicit-def: $vgpr8
	s_branch .LBB1_52
.LBB1_47:                               ;   in Loop: Header=BB1_9 Depth=1
	v_mov_b32_e32 v8, 0
	s_branch .LBB1_51
.LBB1_48:                               ;   in Loop: Header=BB1_9 Depth=1
	v_mov_b32_e32 v1, v0
	s_andn2_b64 vcc, exec, s[56:57]
	s_cbranch_vccnz .LBB1_51
.LBB1_49:                               ;   in Loop: Header=BB1_9 Depth=1
	s_lshl_b32 s0, s2, 2
	s_add_u32 s0, s44, s0
	s_addc_u32 s1, s45, 0
	s_mul_i32 s2, s2, 12
	s_add_u32 s2, s34, s2
	s_addc_u32 s3, s35, 0
	s_mov_b32 s4, s13
.LBB1_50:                               ;   Parent Loop BB1_9 Depth=1
                                        ; =>  This Inner Loop Header: Depth=2
	s_load_dwordx2 s[6:7], s[2:3], 0x4
	s_load_dword s5, s[2:3], 0xc
	s_load_dword s16, s[0:1], 0x0
	s_add_u32 s2, s2, 12
	s_addc_u32 s3, s3, 0
	s_waitcnt lgkmcnt(0)
	v_mul_hi_u32 v7, s7, v1
	v_add_u32_e32 v7, v1, v7
	v_lshrrev_b32_e32 v7, s5, v7
	s_add_u32 s0, s0, 4
	v_mul_lo_u32 v9, v7, s6
	s_addc_u32 s1, s1, 0
	s_add_i32 s4, s4, -1
	v_sub_u32_e32 v9, v1, v9
	s_cmp_lg_u32 s4, 0
	v_mov_b32_e32 v1, v7
	v_mad_u64_u32 v[8:9], s[6:7], v9, s16, v[8:9]
	s_cbranch_scc1 .LBB1_50
.LBB1_51:                               ;   in Loop: Header=BB1_9 Depth=1
	s_cbranch_execnz .LBB1_54
.LBB1_52:                               ;   in Loop: Header=BB1_9 Depth=1
	v_mul_hi_u32 v1, v0, s10
	v_add_u32_e32 v1, v1, v0
	v_lshrrev_b32_e32 v1, s11, v1
	v_mul_lo_u32 v7, v1, s9
	v_sub_u32_e32 v0, v0, v7
	s_andn2_b64 vcc, exec, s[46:47]
	s_waitcnt lgkmcnt(0)
	v_mul_lo_u32 v8, v0, s50
	s_cbranch_vccnz .LBB1_54
; %bb.53:                               ;   in Loop: Header=BB1_9 Depth=1
	v_mul_hi_u32 v0, s8, v1
	v_add_u32_e32 v0, v1, v0
	v_lshrrev_b32_e32 v0, s14, v0
	v_mul_lo_u32 v0, v0, s12
	v_sub_u32_e32 v0, v1, v0
	v_mad_u64_u32 v[8:9], s[0:1], v0, s51, v[8:9]
.LBB1_54:                               ;   in Loop: Header=BB1_9 Depth=1
	s_waitcnt lgkmcnt(0)
	v_or_b32_e32 v15, s31, v2
	v_cmp_ne_u64_e32 vcc, 0, v[14:15]
                                        ; implicit-def: $vgpr10_vgpr11
	s_and_saveexec_b64 s[0:1], vcc
	s_xor_b64 s[2:3], exec, s[0:1]
	s_cbranch_execz .LBB1_56
; %bb.55:                               ;   in Loop: Header=BB1_9 Depth=1
	v_cvt_f32_u32_e32 v0, s30
	v_cvt_f32_u32_e32 v1, s31
	s_sub_u32 s0, 0, s30
	s_subb_u32 s1, 0, s31
	v_mac_f32_e32 v0, 0x4f800000, v1
	v_rcp_f32_e32 v0, v0
	v_mul_f32_e32 v0, 0x5f7ffffc, v0
	v_mul_f32_e32 v1, 0x2f800000, v0
	v_trunc_f32_e32 v1, v1
	v_mac_f32_e32 v0, 0xcf800000, v1
	v_cvt_u32_f32_e32 v1, v1
	v_cvt_u32_f32_e32 v0, v0
	v_mul_lo_u32 v7, s0, v1
	v_mul_hi_u32 v10, s0, v0
	v_mul_lo_u32 v9, s1, v0
	v_add_u32_e32 v7, v10, v7
	v_mul_lo_u32 v11, s0, v0
	v_add_u32_e32 v7, v7, v9
	v_mul_hi_u32 v10, v0, v11
	v_mul_lo_u32 v15, v0, v7
	v_mul_hi_u32 v9, v0, v7
	v_add_co_u32_e32 v10, vcc, v10, v15
	v_addc_co_u32_e32 v9, vcc, 0, v9, vcc
	v_mul_hi_u32 v19, v1, v11
	v_mul_lo_u32 v11, v1, v11
	v_add_co_u32_e32 v10, vcc, v10, v11
	v_mul_hi_u32 v15, v1, v7
	v_addc_co_u32_e32 v9, vcc, v9, v19, vcc
	v_addc_co_u32_e32 v10, vcc, 0, v15, vcc
	v_mul_lo_u32 v7, v1, v7
	v_add_co_u32_e32 v7, vcc, v9, v7
	v_addc_co_u32_e32 v9, vcc, 0, v10, vcc
	v_add_co_u32_e32 v0, vcc, v0, v7
	v_addc_co_u32_e32 v1, vcc, v1, v9, vcc
	v_mul_lo_u32 v7, s0, v1
	v_mul_hi_u32 v9, s0, v0
	v_add_u32_e32 v7, v9, v7
	v_mul_lo_u32 v9, s1, v0
	v_add_u32_e32 v7, v7, v9
	v_mul_lo_u32 v10, s0, v0
	v_mul_hi_u32 v11, v1, v10
	v_mul_lo_u32 v15, v1, v10
	v_mul_lo_u32 v43, v0, v7
	v_mul_hi_u32 v10, v0, v10
	v_mul_hi_u32 v19, v0, v7
	v_add_co_u32_e32 v10, vcc, v10, v43
	v_addc_co_u32_e32 v19, vcc, 0, v19, vcc
	v_add_co_u32_e32 v10, vcc, v10, v15
	v_mul_hi_u32 v9, v1, v7
	v_addc_co_u32_e32 v10, vcc, v19, v11, vcc
	v_addc_co_u32_e32 v9, vcc, 0, v9, vcc
	v_mul_lo_u32 v7, v1, v7
	v_add_co_u32_e32 v7, vcc, v10, v7
	v_addc_co_u32_e32 v9, vcc, 0, v9, vcc
	v_add_co_u32_e32 v7, vcc, v0, v7
	v_addc_co_u32_e32 v9, vcc, v1, v9, vcc
	v_mad_u64_u32 v[0:1], s[0:1], v3, v9, 0
	v_mul_hi_u32 v10, v3, v7
	v_add_co_u32_e32 v15, vcc, v10, v0
	v_addc_co_u32_e32 v19, vcc, 0, v1, vcc
	v_mad_u64_u32 v[10:11], s[0:1], v2, v7, 0
	v_add_co_u32_e32 v7, vcc, v15, v10
	v_mad_u64_u32 v[0:1], s[0:1], v2, v9, 0
	v_addc_co_u32_e32 v7, vcc, v19, v11, vcc
	v_addc_co_u32_e32 v1, vcc, 0, v1, vcc
	v_add_co_u32_e32 v0, vcc, v7, v0
	v_addc_co_u32_e32 v1, vcc, 0, v1, vcc
	v_mul_lo_u32 v7, s31, v0
	v_mul_lo_u32 v9, s30, v1
	v_mad_u64_u32 v[0:1], s[0:1], s30, v0, 0
	v_add3_u32 v1, v1, v9, v7
	v_sub_u32_e32 v7, v2, v1
	v_mov_b32_e32 v9, s31
	v_sub_co_u32_e32 v0, vcc, v3, v0
	v_subb_co_u32_e64 v3, s[0:1], v7, v9, vcc
	v_subrev_co_u32_e64 v7, s[0:1], s30, v0
	v_subbrev_co_u32_e64 v3, s[0:1], 0, v3, s[0:1]
	v_cmp_le_u32_e64 s[0:1], s31, v3
	v_subb_co_u32_e32 v1, vcc, v2, v1, vcc
	v_cndmask_b32_e64 v9, 0, -1, s[0:1]
	v_cmp_le_u32_e64 s[0:1], s30, v7
	v_cmp_le_u32_e32 vcc, s31, v1
	v_cndmask_b32_e64 v10, 0, -1, s[0:1]
	v_cmp_eq_u32_e64 s[0:1], s31, v3
	v_cndmask_b32_e64 v2, 0, -1, vcc
	v_cmp_le_u32_e32 vcc, s30, v0
	v_cndmask_b32_e64 v3, v9, v10, s[0:1]
	v_cndmask_b32_e64 v10, 0, -1, vcc
	v_cmp_eq_u32_e32 vcc, s31, v1
	v_subrev_co_u32_e64 v9, s[0:1], s30, v7
	v_cndmask_b32_e32 v1, v2, v10, vcc
	v_cmp_ne_u32_e32 vcc, 0, v3
	v_cndmask_b32_e32 v2, v7, v9, vcc
	v_cmp_ne_u32_e32 vcc, 0, v1
	v_cndmask_b32_e32 v10, v0, v2, vcc
                                        ; implicit-def: $vgpr0_vgpr1_vgpr2_vgpr3
.LBB1_56:                               ;   in Loop: Header=BB1_9 Depth=1
	s_andn2_saveexec_b64 s[0:1], s[2:3]
	s_cbranch_execz .LBB1_7
; %bb.57:                               ;   in Loop: Header=BB1_9 Depth=1
	v_cvt_f32_u32_e32 v0, s30
	s_sub_i32 s2, 0, s30
	v_rcp_iflag_f32_e32 v0, v0
	v_mul_f32_e32 v0, 0x4f7ffffe, v0
	v_cvt_u32_f32_e32 v0, v0
	v_mul_lo_u32 v1, s2, v0
	v_mul_hi_u32 v1, v0, v1
	v_add_u32_e32 v0, v0, v1
	v_mul_hi_u32 v0, v3, v0
	v_mul_lo_u32 v0, v0, s30
	v_sub_u32_e32 v0, v3, v0
	v_subrev_u32_e32 v1, s30, v0
	v_cmp_le_u32_e32 vcc, s30, v0
	v_cndmask_b32_e32 v0, v0, v1, vcc
	v_subrev_u32_e32 v1, s30, v0
	v_cmp_le_u32_e32 vcc, s30, v0
	v_cndmask_b32_e32 v10, v0, v1, vcc
	s_branch .LBB1_7
.LBB1_58:
	s_endpgm
.LBB1_59:
                                        ; implicit-def: $sgpr2_sgpr3
	s_andn2_b64 vcc, exec, s[0:1]
	s_cbranch_vccz .LBB1_4
	s_branch .LBB1_5
	.section	.rodata,"a",@progbits
	.p2align	6, 0x0
	.amdhsa_kernel _ZN2at6native12_GLOBAL__N_143distribution_elementwise_grid_stride_kernelImLi2EZZZNS0_9templates4cuda21random_from_to_kernelIPNS_17CUDAGeneratorImplEEEvRNS_18TensorIteratorBaseEmlT_ENKUlvE_clEvENKUlvE_clEvEUlP25hiprandStatePhilox4_32_10E_ZNS1_27distribution_nullary_kernelIhm15HIP_vector_typeIyLj2EES7_SF_ZZZNS5_IS7_EEvS9_mlSA_ENKSB_clEvENKSC_clEvEUlmE_EEvS9_T2_RKT3_T4_EUlimE0_EEvlNS_15PhiloxCudaStateET1_SK_
		.amdhsa_group_segment_fixed_size 0
		.amdhsa_private_segment_fixed_size 0
		.amdhsa_kernarg_size 592
		.amdhsa_user_sgpr_count 6
		.amdhsa_user_sgpr_private_segment_buffer 1
		.amdhsa_user_sgpr_dispatch_ptr 0
		.amdhsa_user_sgpr_queue_ptr 0
		.amdhsa_user_sgpr_kernarg_segment_ptr 1
		.amdhsa_user_sgpr_dispatch_id 0
		.amdhsa_user_sgpr_flat_scratch_init 0
		.amdhsa_user_sgpr_kernarg_preload_length 0
		.amdhsa_user_sgpr_kernarg_preload_offset 0
		.amdhsa_user_sgpr_private_segment_size 0
		.amdhsa_uses_dynamic_stack 0
		.amdhsa_system_sgpr_private_segment_wavefront_offset 0
		.amdhsa_system_sgpr_workgroup_id_x 1
		.amdhsa_system_sgpr_workgroup_id_y 0
		.amdhsa_system_sgpr_workgroup_id_z 0
		.amdhsa_system_sgpr_workgroup_info 0
		.amdhsa_system_vgpr_workitem_id 0
		.amdhsa_next_free_vgpr 46
		.amdhsa_next_free_sgpr 66
		.amdhsa_accum_offset 48
		.amdhsa_reserve_vcc 1
		.amdhsa_reserve_flat_scratch 0
		.amdhsa_float_round_mode_32 0
		.amdhsa_float_round_mode_16_64 0
		.amdhsa_float_denorm_mode_32 3
		.amdhsa_float_denorm_mode_16_64 3
		.amdhsa_dx10_clamp 1
		.amdhsa_ieee_mode 1
		.amdhsa_fp16_overflow 0
		.amdhsa_tg_split 0
		.amdhsa_exception_fp_ieee_invalid_op 0
		.amdhsa_exception_fp_denorm_src 0
		.amdhsa_exception_fp_ieee_div_zero 0
		.amdhsa_exception_fp_ieee_overflow 0
		.amdhsa_exception_fp_ieee_underflow 0
		.amdhsa_exception_fp_ieee_inexact 0
		.amdhsa_exception_int_div_zero 0
	.end_amdhsa_kernel
	.section	.text._ZN2at6native12_GLOBAL__N_143distribution_elementwise_grid_stride_kernelImLi2EZZZNS0_9templates4cuda21random_from_to_kernelIPNS_17CUDAGeneratorImplEEEvRNS_18TensorIteratorBaseEmlT_ENKUlvE_clEvENKUlvE_clEvEUlP25hiprandStatePhilox4_32_10E_ZNS1_27distribution_nullary_kernelIhm15HIP_vector_typeIyLj2EES7_SF_ZZZNS5_IS7_EEvS9_mlSA_ENKSB_clEvENKSC_clEvEUlmE_EEvS9_T2_RKT3_T4_EUlimE0_EEvlNS_15PhiloxCudaStateET1_SK_,"axG",@progbits,_ZN2at6native12_GLOBAL__N_143distribution_elementwise_grid_stride_kernelImLi2EZZZNS0_9templates4cuda21random_from_to_kernelIPNS_17CUDAGeneratorImplEEEvRNS_18TensorIteratorBaseEmlT_ENKUlvE_clEvENKUlvE_clEvEUlP25hiprandStatePhilox4_32_10E_ZNS1_27distribution_nullary_kernelIhm15HIP_vector_typeIyLj2EES7_SF_ZZZNS5_IS7_EEvS9_mlSA_ENKSB_clEvENKSC_clEvEUlmE_EEvS9_T2_RKT3_T4_EUlimE0_EEvlNS_15PhiloxCudaStateET1_SK_,comdat
.Lfunc_end1:
	.size	_ZN2at6native12_GLOBAL__N_143distribution_elementwise_grid_stride_kernelImLi2EZZZNS0_9templates4cuda21random_from_to_kernelIPNS_17CUDAGeneratorImplEEEvRNS_18TensorIteratorBaseEmlT_ENKUlvE_clEvENKUlvE_clEvEUlP25hiprandStatePhilox4_32_10E_ZNS1_27distribution_nullary_kernelIhm15HIP_vector_typeIyLj2EES7_SF_ZZZNS5_IS7_EEvS9_mlSA_ENKSB_clEvENKSC_clEvEUlmE_EEvS9_T2_RKT3_T4_EUlimE0_EEvlNS_15PhiloxCudaStateET1_SK_, .Lfunc_end1-_ZN2at6native12_GLOBAL__N_143distribution_elementwise_grid_stride_kernelImLi2EZZZNS0_9templates4cuda21random_from_to_kernelIPNS_17CUDAGeneratorImplEEEvRNS_18TensorIteratorBaseEmlT_ENKUlvE_clEvENKUlvE_clEvEUlP25hiprandStatePhilox4_32_10E_ZNS1_27distribution_nullary_kernelIhm15HIP_vector_typeIyLj2EES7_SF_ZZZNS5_IS7_EEvS9_mlSA_ENKSB_clEvENKSC_clEvEUlmE_EEvS9_T2_RKT3_T4_EUlimE0_EEvlNS_15PhiloxCudaStateET1_SK_
                                        ; -- End function
	.section	.AMDGPU.csdata,"",@progbits
; Kernel info:
; codeLenInByte = 4592
; NumSgprs: 70
; NumVgprs: 46
; NumAgprs: 0
; TotalNumVgprs: 46
; ScratchSize: 0
; MemoryBound: 0
; FloatMode: 240
; IeeeMode: 1
; LDSByteSize: 0 bytes/workgroup (compile time only)
; SGPRBlocks: 8
; VGPRBlocks: 5
; NumSGPRsForWavesPerEU: 70
; NumVGPRsForWavesPerEU: 46
; AccumOffset: 48
; Occupancy: 8
; WaveLimiterHint : 1
; COMPUTE_PGM_RSRC2:SCRATCH_EN: 0
; COMPUTE_PGM_RSRC2:USER_SGPR: 6
; COMPUTE_PGM_RSRC2:TRAP_HANDLER: 0
; COMPUTE_PGM_RSRC2:TGID_X_EN: 1
; COMPUTE_PGM_RSRC2:TGID_Y_EN: 0
; COMPUTE_PGM_RSRC2:TGID_Z_EN: 0
; COMPUTE_PGM_RSRC2:TIDIG_COMP_CNT: 0
; COMPUTE_PGM_RSRC3_GFX90A:ACCUM_OFFSET: 11
; COMPUTE_PGM_RSRC3_GFX90A:TG_SPLIT: 0
	.section	.text._ZN2at6native12_GLOBAL__N_143distribution_elementwise_grid_stride_kernelIjLi4EZZZNS0_9templates4cuda21random_from_to_kernelIPNS_17CUDAGeneratorImplEEEvRNS_18TensorIteratorBaseEmlT_ENKUlvE_clEvENKUlvE_clEvEUlP25hiprandStatePhilox4_32_10E0_ZNS1_27distribution_nullary_kernelIhj15HIP_vector_typeIjLj4EES7_SF_ZZZNS5_IS7_EEvS9_mlSA_ENKSB_clEvENKSC_clEvEUljE_EEvS9_T2_RKT3_T4_EUlijE_EEvlNS_15PhiloxCudaStateET1_SK_,"axG",@progbits,_ZN2at6native12_GLOBAL__N_143distribution_elementwise_grid_stride_kernelIjLi4EZZZNS0_9templates4cuda21random_from_to_kernelIPNS_17CUDAGeneratorImplEEEvRNS_18TensorIteratorBaseEmlT_ENKUlvE_clEvENKUlvE_clEvEUlP25hiprandStatePhilox4_32_10E0_ZNS1_27distribution_nullary_kernelIhj15HIP_vector_typeIjLj4EES7_SF_ZZZNS5_IS7_EEvS9_mlSA_ENKSB_clEvENKSC_clEvEUljE_EEvS9_T2_RKT3_T4_EUlijE_EEvlNS_15PhiloxCudaStateET1_SK_,comdat
	.globl	_ZN2at6native12_GLOBAL__N_143distribution_elementwise_grid_stride_kernelIjLi4EZZZNS0_9templates4cuda21random_from_to_kernelIPNS_17CUDAGeneratorImplEEEvRNS_18TensorIteratorBaseEmlT_ENKUlvE_clEvENKUlvE_clEvEUlP25hiprandStatePhilox4_32_10E0_ZNS1_27distribution_nullary_kernelIhj15HIP_vector_typeIjLj4EES7_SF_ZZZNS5_IS7_EEvS9_mlSA_ENKSB_clEvENKSC_clEvEUljE_EEvS9_T2_RKT3_T4_EUlijE_EEvlNS_15PhiloxCudaStateET1_SK_ ; -- Begin function _ZN2at6native12_GLOBAL__N_143distribution_elementwise_grid_stride_kernelIjLi4EZZZNS0_9templates4cuda21random_from_to_kernelIPNS_17CUDAGeneratorImplEEEvRNS_18TensorIteratorBaseEmlT_ENKUlvE_clEvENKUlvE_clEvEUlP25hiprandStatePhilox4_32_10E0_ZNS1_27distribution_nullary_kernelIhj15HIP_vector_typeIjLj4EES7_SF_ZZZNS5_IS7_EEvS9_mlSA_ENKSB_clEvENKSC_clEvEUljE_EEvS9_T2_RKT3_T4_EUlijE_EEvlNS_15PhiloxCudaStateET1_SK_
	.p2align	8
	.type	_ZN2at6native12_GLOBAL__N_143distribution_elementwise_grid_stride_kernelIjLi4EZZZNS0_9templates4cuda21random_from_to_kernelIPNS_17CUDAGeneratorImplEEEvRNS_18TensorIteratorBaseEmlT_ENKUlvE_clEvENKUlvE_clEvEUlP25hiprandStatePhilox4_32_10E0_ZNS1_27distribution_nullary_kernelIhj15HIP_vector_typeIjLj4EES7_SF_ZZZNS5_IS7_EEvS9_mlSA_ENKSB_clEvENKSC_clEvEUljE_EEvS9_T2_RKT3_T4_EUlijE_EEvlNS_15PhiloxCudaStateET1_SK_,@function
_ZN2at6native12_GLOBAL__N_143distribution_elementwise_grid_stride_kernelIjLi4EZZZNS0_9templates4cuda21random_from_to_kernelIPNS_17CUDAGeneratorImplEEEvRNS_18TensorIteratorBaseEmlT_ENKUlvE_clEvENKUlvE_clEvEUlP25hiprandStatePhilox4_32_10E0_ZNS1_27distribution_nullary_kernelIhj15HIP_vector_typeIjLj4EES7_SF_ZZZNS5_IS7_EEvS9_mlSA_ENKSB_clEvENKSC_clEvEUljE_EEvS9_T2_RKT3_T4_EUlijE_EEvlNS_15PhiloxCudaStateET1_SK_: ; @_ZN2at6native12_GLOBAL__N_143distribution_elementwise_grid_stride_kernelIjLi4EZZZNS0_9templates4cuda21random_from_to_kernelIPNS_17CUDAGeneratorImplEEEvRNS_18TensorIteratorBaseEmlT_ENKUlvE_clEvENKUlvE_clEvEUlP25hiprandStatePhilox4_32_10E0_ZNS1_27distribution_nullary_kernelIhj15HIP_vector_typeIjLj4EES7_SF_ZZZNS5_IS7_EEvS9_mlSA_ENKSB_clEvENKSC_clEvEUljE_EEvS9_T2_RKT3_T4_EUlijE_EEvlNS_15PhiloxCudaStateET1_SK_
; %bb.0:
	s_load_dword s7, s[4:5], 0x20
	s_load_dwordx2 s[10:11], s[4:5], 0x10
	s_load_dwordx4 s[0:3], s[4:5], 0x0
	s_mov_b32 s8, 0
	s_waitcnt lgkmcnt(0)
	s_bitcmp0_b32 s7, 0
	v_pk_mov_b32 v[2:3], s[10:11], s[10:11] op_sel:[0,1]
	v_pk_mov_b32 v[14:15], s[2:3], s[2:3] op_sel:[0,1]
	s_cbranch_scc1 .LBB2_2
; %bb.1:
	v_pk_mov_b32 v[2:3], s[10:11], s[10:11] op_sel:[0,1]
	flat_load_dwordx2 v[2:3], v[2:3]
	v_pk_mov_b32 v[4:5], s[2:3], s[2:3] op_sel:[0,1]
	flat_load_dwordx2 v[14:15], v[4:5]
	s_load_dwordx2 s[2:3], s[4:5], 0x18
	s_waitcnt lgkmcnt(0)
	v_mov_b32_e32 v1, s3
	s_waitcnt vmcnt(0)
	v_add_co_u32_e32 v2, vcc, s2, v2
	v_addc_co_u32_e32 v3, vcc, v3, v1, vcc
.LBB2_2:
	s_load_dword s2, s[4:5], 0x5c
	s_load_dword s14, s[4:5], 0x50
	s_waitcnt lgkmcnt(0)
	s_and_b32 s7, s2, 0xffff
	s_add_u32 s10, s0, -1
	s_mul_i32 s16, s14, s7
	s_addc_u32 s9, s1, -1
	s_lshl_b32 s17, s16, 2
	s_cmp_lg_u64 s[8:9], 0
	s_mov_b64 s[2:3], -1
	s_cbranch_scc0 .LBB2_35
; %bb.3:
	v_cvt_f32_u32_e32 v1, s17
	v_cvt_f32_ubyte0_e32 v4, 0
	s_sub_u32 s8, 0, s17
	s_subb_u32 s11, 0, 0
	v_madmk_f32 v1, v4, 0x4f800000, v1
	v_rcp_f32_e32 v1, v1
	v_mul_f32_e32 v1, 0x5f7ffffc, v1
	v_mul_f32_e32 v4, 0x2f800000, v1
	v_trunc_f32_e32 v4, v4
	v_madmk_f32 v1, v4, 0xcf800000, v1
	v_cvt_u32_f32_e32 v4, v4
	v_cvt_u32_f32_e32 v1, v1
	v_readfirstlane_b32 s12, v4
	v_readfirstlane_b32 s13, v1
	s_mul_i32 s15, s8, s12
	s_mul_hi_u32 s19, s8, s13
	s_mul_i32 s18, s11, s13
	s_add_i32 s15, s19, s15
	s_add_i32 s15, s15, s18
	s_mul_i32 s20, s8, s13
	s_mul_hi_u32 s18, s13, s15
	s_mul_i32 s19, s13, s15
	s_mul_hi_u32 s13, s13, s20
	s_add_u32 s13, s13, s19
	s_addc_u32 s18, 0, s18
	s_mul_hi_u32 s21, s12, s20
	s_mul_i32 s20, s12, s20
	s_add_u32 s13, s13, s20
	s_mul_hi_u32 s19, s12, s15
	s_addc_u32 s13, s18, s21
	s_addc_u32 s18, s19, 0
	s_mul_i32 s15, s12, s15
	s_add_u32 s13, s13, s15
	s_addc_u32 s15, 0, s18
	v_add_co_u32_e32 v1, vcc, s13, v1
	s_cmp_lg_u64 vcc, 0
	s_addc_u32 s12, s12, s15
	v_readfirstlane_b32 s15, v1
	s_mul_i32 s13, s8, s12
	s_mul_hi_u32 s18, s8, s15
	s_add_i32 s13, s18, s13
	s_mul_i32 s11, s11, s15
	s_add_i32 s13, s13, s11
	s_mul_i32 s8, s8, s15
	s_mul_hi_u32 s18, s12, s8
	s_mul_i32 s19, s12, s8
	s_mul_i32 s21, s15, s13
	s_mul_hi_u32 s8, s15, s8
	s_mul_hi_u32 s20, s15, s13
	s_add_u32 s8, s8, s21
	s_addc_u32 s15, 0, s20
	s_add_u32 s8, s8, s19
	s_mul_hi_u32 s11, s12, s13
	s_addc_u32 s8, s15, s18
	s_addc_u32 s11, s11, 0
	s_mul_i32 s13, s12, s13
	s_add_u32 s8, s8, s13
	s_addc_u32 s11, 0, s11
	v_add_co_u32_e32 v1, vcc, s8, v1
	s_cmp_lg_u64 vcc, 0
	s_addc_u32 s11, s12, s11
	s_ashr_i32 s12, s9, 31
	s_add_u32 s8, s10, s12
	s_mov_b32 s13, s12
	s_addc_u32 s9, s9, s12
	s_xor_b64 s[8:9], s[8:9], s[12:13]
	v_readfirstlane_b32 s19, v1
	s_mul_i32 s18, s8, s11
	s_mul_hi_u32 s20, s8, s19
	s_mul_hi_u32 s15, s8, s11
	s_add_u32 s18, s20, s18
	s_addc_u32 s15, 0, s15
	s_mul_hi_u32 s21, s9, s19
	s_mul_i32 s19, s9, s19
	s_add_u32 s18, s18, s19
	s_mul_hi_u32 s20, s9, s11
	s_addc_u32 s15, s15, s21
	s_addc_u32 s18, s20, 0
	s_mul_i32 s11, s9, s11
	s_add_u32 s11, s15, s11
	s_addc_u32 s15, 0, s18
	s_add_u32 s18, s11, 1
	s_addc_u32 s19, s15, 0
	s_add_u32 s20, s11, 2
	s_mul_i32 s22, s17, s15
	s_mul_hi_u32 s23, s17, s11
	s_addc_u32 s21, s15, 0
	s_add_i32 s23, s23, s22
	s_mul_i32 s22, s17, s11
	v_mov_b32_e32 v1, s22
	v_sub_co_u32_e32 v1, vcc, s8, v1
	s_cmp_lg_u64 vcc, 0
	s_subb_u32 s8, s9, s23
	v_subrev_co_u32_e32 v4, vcc, s17, v1
	s_cmp_lg_u64 vcc, 0
	s_subb_u32 s9, s8, 0
	v_readfirstlane_b32 s22, v4
	s_cmp_ge_u32 s22, s17
	s_cselect_b32 s22, -1, 0
	s_cmp_eq_u32 s9, 0
	s_cselect_b32 s9, s22, -1
	s_cmp_lg_u32 s9, 0
	s_cselect_b32 s9, s21, s19
	v_readfirstlane_b32 s19, v1
	s_cselect_b32 s18, s20, s18
	s_cmp_ge_u32 s19, s17
	s_cselect_b32 s19, -1, 0
	s_cmp_eq_u32 s8, 0
	s_cselect_b32 s8, s19, -1
	s_cmp_lg_u32 s8, 0
	s_cselect_b32 s9, s9, s15
	s_cselect_b32 s8, s18, s11
	s_xor_b64 s[8:9], s[8:9], s[12:13]
	s_sub_u32 s8, s8, s12
	s_subb_u32 s9, s9, s12
	s_cbranch_execnz .LBB2_5
.LBB2_4:
	v_cvt_f32_u32_e32 v1, s17
	s_sub_i32 s2, 0, s17
	s_mov_b32 s9, 0
	v_rcp_iflag_f32_e32 v1, v1
	v_mul_f32_e32 v1, 0x4f7ffffe, v1
	v_cvt_u32_f32_e32 v1, v1
	v_readfirstlane_b32 s3, v1
	s_mul_i32 s2, s2, s3
	s_mul_hi_u32 s2, s3, s2
	s_add_i32 s3, s3, s2
	s_mul_hi_u32 s2, s10, s3
	s_mul_i32 s8, s2, s17
	s_sub_i32 s8, s10, s8
	s_add_i32 s3, s2, 1
	s_sub_i32 s10, s8, s17
	s_cmp_ge_u32 s8, s17
	s_cselect_b32 s2, s3, s2
	s_cselect_b32 s8, s10, s8
	s_add_i32 s3, s2, 1
	s_cmp_ge_u32 s8, s17
	s_cselect_b32 s8, s3, s2
.LBB2_5:
	v_mov_b32_e32 v1, 0
	v_mov_b32_e32 v4, s6
	v_mad_u64_u32 v[16:17], s[2:3], s7, v4, v[0:1]
	s_add_u32 s2, s8, 1
	s_addc_u32 s3, s9, 0
	s_mul_hi_u32 s8, s14, s7
	s_mul_i32 s3, s16, s3
	s_mul_hi_u32 s9, s16, s2
	s_add_i32 s3, s9, s3
	s_mul_i32 s8, s8, s2
	s_add_i32 s3, s3, s8
	s_mul_i32 s2, s16, s2
	s_lshl_b64 s[2:3], s[2:3], 2
	v_cmp_gt_i64_e32 vcc, s[2:3], v[16:17]
	s_and_saveexec_b64 s[8:9], vcc
	s_cbranch_execz .LBB2_34
; %bb.6:
	s_load_dwordx2 s[12:13], s[4:5], 0x30
	s_load_dword s15, s[4:5], 0x38
	s_load_dwordx4 s[8:11], s[4:5], 0x40
	v_mov_b32_e32 v4, v15
	s_mov_b32 s4, 0xdb3d7428
	v_add_co_u32_e32 v23, vcc, s4, v4
	s_mov_b32 s4, 0x5384540f
	v_add_co_u32_e32 v24, vcc, s4, v14
	;; [unrolled: 2-line block ×7, first 2 shown]
	s_mov_b32 s4, 0x9e3779b9
	v_alignbit_b32 v31, v3, v2, 2
	s_mov_b32 s18, 0xd2511f53
	v_add_co_u32_e32 v30, vcc, s4, v14
	v_mad_u64_u32 v[6:7], s[4:5], v31, s18, 0
	v_and_b32_e32 v20, 3, v2
	v_xor_b32_e32 v2, v7, v15
	v_xor_b32_e32 v2, v2, v17
	s_mov_b32 s19, 0xcd9e8d57
	v_mad_u64_u32 v[8:9], s[4:5], v2, s19, 0
	v_xor_b32_e32 v2, v30, v9
	v_mad_u64_u32 v[10:11], s[4:5], v16, s19, 0
	v_xor_b32_e32 v2, v2, v10
	;; [unrolled: 2-line block ×3, first 2 shown]
	v_lshrrev_b32_e32 v32, 2, v3
	v_xor_b32_e32 v2, v2, v32
	v_xor_b32_e32 v5, v29, v13
	v_mad_u64_u32 v[2:3], s[4:5], v2, s18, 0
	v_xor_b32_e32 v2, v5, v2
	v_mad_u64_u32 v[10:11], s[4:5], v2, s19, 0
	s_mov_b32 s4, 0xbb67ae85
	v_add_co_u32_e32 v33, vcc, s4, v4
	v_xor_b32_e32 v2, v33, v3
	v_xor_b32_e32 v2, v2, v6
	v_xor_b32_e32 v5, v28, v11
	v_mad_u64_u32 v[2:3], s[4:5], v2, s19, 0
	v_xor_b32_e32 v2, v5, v2
	v_mad_u64_u32 v[6:7], s[4:5], v2, s18, 0
	s_mov_b32 s4, 0x3c6ef372
	v_add_co_u32_e32 v34, vcc, s4, v14
	v_xor_b32_e32 v2, v34, v3
	;; [unrolled: 8-line block ×7, first 2 shown]
	v_xor_b32_e32 v2, v2, v12
	v_mad_u64_u32 v[2:3], s[4:5], v2, s19, 0
	s_mov_b32 s4, 0xf1bbcdc8
	v_add_co_u32_e32 v40, vcc, s4, v14
	v_xor_b32_e32 v3, v40, v3
	v_xor_b32_e32 v3, v3, v10
	v_mad_u64_u32 v[10:11], s[4:5], v3, s18, 0
	s_mul_i32 s4, s6, s7
	v_xor_b32_e32 v3, v11, v6
	v_add_u32_e32 v6, s4, v0
	s_waitcnt lgkmcnt(0)
	s_mul_i32 s4, s14, s15
	s_mul_i32 s4, s4, s7
	s_lshl_b32 s24, s4, 2
	s_mul_i32 s4, s14, 3
	s_add_i32 s4, s6, s4
	s_mul_i32 s4, s4, s7
	v_mul_lo_u32 v41, s15, v6
	v_add_u32_e32 v6, s4, v0
	s_lshl_b32 s4, s14, 1
	s_add_i32 s4, s6, s4
	s_mul_i32 s4, s4, s7
	v_mul_lo_u32 v42, s15, v6
	v_add_u32_e32 v6, s4, v0
	s_add_i32 s4, s6, s14
	s_mul_i32 s4, s4, s7
	s_mov_b32 s11, 0
	v_add_u32_e32 v21, 0x8ff34781, v14
	v_add_u32_e32 v22, 0x96a522ad, v15
	v_xor_b32_e32 v2, v9, v2
	v_add_u32_e32 v0, s4, v0
	v_xor_b32_e32 v2, v21, v2
	v_xor_b32_e32 v4, v22, v3
	v_mov_b32_e32 v3, v8
	v_mov_b32_e32 v5, v10
	s_lshl_b32 s20, s16, 1
	s_mov_b32 s21, s11
	s_mul_i32 s22, s16, 3
	s_mov_b32 s23, s11
	v_mul_lo_u32 v43, s15, v6
	v_mul_lo_u32 v44, s15, v0
	s_mov_b64 s[4:5], 0
	s_mov_b32 s25, s11
	v_mov_b32_e32 v45, v16
	v_mov_b32_e32 v46, v17
	s_branch .LBB2_9
.LBB2_7:                                ;   in Loop: Header=BB2_9 Depth=1
	s_or_b64 exec, exec, s[14:15]
	v_add_u32_e32 v2, s25, v42
	v_ashrrev_i32_e32 v3, 31, v2
	v_mov_b32_e32 v4, s13
	v_add_co_u32_e32 v2, vcc, s12, v2
	v_addc_co_u32_e32 v3, vcc, v4, v3, vcc
	v_add_u32_e32 v0, s10, v0
	global_store_byte v[2:3], v0, off
.LBB2_8:                                ;   in Loop: Header=BB2_9 Depth=1
	s_or_b64 exec, exec, s[6:7]
	v_add_co_u32_e32 v16, vcc, s17, v16
	v_addc_co_u32_e32 v17, vcc, 0, v17, vcc
	v_mov_b32_e32 v9, v18
	s_add_i32 s25, s25, s24
	v_cmp_le_i64_e32 vcc, s[2:3], v[16:17]
	v_pk_mov_b32 v[2:3], v[6:7], v[6:7] op_sel:[0,1]
	s_or_b64 s[4:5], vcc, s[4:5]
	v_pk_mov_b32 v[4:5], v[8:9], v[8:9] op_sel:[0,1]
	s_barrier
	s_andn2_b64 exec, exec, s[4:5]
	s_cbranch_execz .LBB2_34
.LBB2_9:                                ; =>This Inner Loop Header: Depth=1
	v_add_co_u32_e32 v31, vcc, 1, v31
	v_cndmask_b32_e64 v0, 0, 1, vcc
	v_addc_co_u32_e32 v32, vcc, 0, v32, vcc
	v_cmp_eq_u32_e32 vcc, 0, v32
	v_cndmask_b32_e32 v0, 0, v0, vcc
	v_add_u32_e32 v45, v0, v45
	v_cmp_eq_u32_e32 vcc, 0, v45
	v_cndmask_b32_e32 v0, 0, v0, vcc
	v_mad_u64_u32 v[6:7], s[6:7], v31, s18, 0
	v_mad_u64_u32 v[8:9], s[6:7], v45, s19, 0
	v_add_u32_e32 v46, v0, v46
	v_xor_b32_e32 v0, v9, v14
	v_xor_b32_e32 v7, v7, v15
	v_xor_b32_e32 v0, v32, v0
	v_xor_b32_e32 v7, v46, v7
	v_mad_u64_u32 v[10:11], s[6:7], v0, s18, 0
	v_mad_u64_u32 v[12:13], s[6:7], v7, s19, 0
	v_xor_b32_e32 v0, v30, v13
	v_xor_b32_e32 v7, v33, v11
	v_xor_b32_e32 v0, v0, v8
	v_xor_b32_e32 v8, v7, v6
	v_mad_u64_u32 v[6:7], s[6:7], v0, s18, 0
	v_mad_u64_u32 v[8:9], s[6:7], v8, s19, 0
	;; [unrolled: 6-line block ×9, first 2 shown]
	v_xor_b32_e32 v0, v13, v6
	v_xor_b32_e32 v6, v21, v0
	v_xor_b32_e32 v0, v19, v8
	v_xor_b32_e32 v13, v22, v0
	v_mov_b32_e32 v7, v12
	v_mov_b32_e32 v8, v13
	v_cmp_lt_i32_e32 vcc, 1, v20
	s_and_saveexec_b64 s[6:7], vcc
	s_xor_b64 s[6:7], exec, s[6:7]
	s_cbranch_execnz .LBB2_12
; %bb.10:                               ;   in Loop: Header=BB2_9 Depth=1
	s_andn2_saveexec_b64 s[6:7], s[6:7]
	s_cbranch_execnz .LBB2_17
.LBB2_11:                               ;   in Loop: Header=BB2_9 Depth=1
	s_or_b64 exec, exec, s[6:7]
	v_cmp_gt_i64_e32 vcc, s[0:1], v[16:17]
	s_and_saveexec_b64 s[6:7], vcc
	s_cbranch_execnz .LBB2_20
	s_branch .LBB2_23
.LBB2_12:                               ;   in Loop: Header=BB2_9 Depth=1
	v_cmp_lt_i32_e32 vcc, 2, v20
	s_and_saveexec_b64 s[14:15], vcc
	s_xor_b64 s[14:15], exec, s[14:15]
; %bb.13:                               ;   in Loop: Header=BB2_9 Depth=1
	v_mov_b32_e32 v10, v5
	v_mov_b32_e32 v11, v6
	v_pk_mov_b32 v[2:3], v[10:11], v[10:11] op_sel:[0,1]
	v_pk_mov_b32 v[4:5], v[12:13], v[12:13] op_sel:[0,1]
                                        ; implicit-def: $vgpr12_vgpr13
; %bb.14:                               ;   in Loop: Header=BB2_9 Depth=1
	s_andn2_saveexec_b64 s[14:15], s[14:15]
; %bb.15:                               ;   in Loop: Header=BB2_9 Depth=1
	v_mov_b32_e32 v2, v4
	v_mov_b32_e32 v3, v5
	;; [unrolled: 1-line block ×4, first 2 shown]
; %bb.16:                               ;   in Loop: Header=BB2_9 Depth=1
	s_or_b64 exec, exec, s[14:15]
	s_andn2_saveexec_b64 s[6:7], s[6:7]
	s_cbranch_execz .LBB2_11
.LBB2_17:                               ;   in Loop: Header=BB2_9 Depth=1
	v_cmp_eq_u32_e32 vcc, 1, v20
	s_and_saveexec_b64 s[14:15], vcc
; %bb.18:                               ;   in Loop: Header=BB2_9 Depth=1
	v_mov_b32_e32 v2, v3
	v_mov_b32_e32 v3, v4
	;; [unrolled: 1-line block ×4, first 2 shown]
; %bb.19:                               ;   in Loop: Header=BB2_9 Depth=1
	s_or_b64 exec, exec, s[14:15]
	s_or_b64 exec, exec, s[6:7]
	v_cmp_gt_i64_e32 vcc, s[0:1], v[16:17]
	s_and_saveexec_b64 s[6:7], vcc
	s_cbranch_execz .LBB2_23
.LBB2_20:                               ;   in Loop: Header=BB2_9 Depth=1
	v_mov_b32_e32 v0, v2
	v_cmp_le_u64_e32 vcc, s[8:9], v[0:1]
	s_and_saveexec_b64 s[14:15], vcc
	s_cbranch_execz .LBB2_22
; %bb.21:                               ;   in Loop: Header=BB2_9 Depth=1
	v_cvt_f32_u32_e32 v2, s8
	s_sub_i32 s26, 0, s8
	v_rcp_iflag_f32_e32 v2, v2
	v_mul_f32_e32 v2, 0x4f7ffffe, v2
	v_cvt_u32_f32_e32 v2, v2
	v_mul_lo_u32 v9, s26, v2
	v_mul_hi_u32 v9, v2, v9
	v_add_u32_e32 v2, v2, v9
	v_mul_hi_u32 v2, v0, v2
	v_mul_lo_u32 v2, v2, s8
	v_sub_u32_e32 v0, v0, v2
	v_subrev_u32_e32 v2, s8, v0
	v_cmp_le_u32_e32 vcc, s8, v0
	v_cndmask_b32_e32 v0, v0, v2, vcc
	v_subrev_u32_e32 v2, s8, v0
	v_cmp_le_u32_e32 vcc, s8, v0
	v_cndmask_b32_e32 v0, v0, v2, vcc
.LBB2_22:                               ;   in Loop: Header=BB2_9 Depth=1
	s_or_b64 exec, exec, s[14:15]
	v_add_u32_e32 v2, s25, v41
	v_ashrrev_i32_e32 v9, 31, v2
	v_mov_b32_e32 v11, s13
	v_add_co_u32_e32 v10, vcc, s12, v2
	v_addc_co_u32_e32 v11, vcc, v11, v9, vcc
	v_add_u32_e32 v0, s10, v0
	global_store_byte v[10:11], v0, off
.LBB2_23:                               ;   in Loop: Header=BB2_9 Depth=1
	s_or_b64 exec, exec, s[6:7]
	v_mov_b32_e32 v0, s11
	v_add_co_u32_e32 v10, vcc, s16, v16
	v_addc_co_u32_e32 v11, vcc, v0, v17, vcc
	v_cmp_gt_i64_e32 vcc, s[0:1], v[10:11]
	s_and_saveexec_b64 s[6:7], vcc
	s_cbranch_execz .LBB2_27
; %bb.24:                               ;   in Loop: Header=BB2_9 Depth=1
	v_mov_b32_e32 v0, v3
	v_cmp_le_u64_e32 vcc, s[8:9], v[0:1]
	s_and_saveexec_b64 s[14:15], vcc
	s_cbranch_execz .LBB2_26
; %bb.25:                               ;   in Loop: Header=BB2_9 Depth=1
	v_cvt_f32_u32_e32 v2, s8
	s_sub_i32 s26, 0, s8
	v_rcp_iflag_f32_e32 v2, v2
	v_mul_f32_e32 v2, 0x4f7ffffe, v2
	v_cvt_u32_f32_e32 v2, v2
	v_mul_lo_u32 v3, s26, v2
	v_mul_hi_u32 v3, v2, v3
	v_add_u32_e32 v2, v2, v3
	v_mul_hi_u32 v2, v0, v2
	v_mul_lo_u32 v2, v2, s8
	v_sub_u32_e32 v0, v0, v2
	v_subrev_u32_e32 v2, s8, v0
	v_cmp_le_u32_e32 vcc, s8, v0
	v_cndmask_b32_e32 v0, v0, v2, vcc
	v_subrev_u32_e32 v2, s8, v0
	v_cmp_le_u32_e32 vcc, s8, v0
	v_cndmask_b32_e32 v0, v0, v2, vcc
.LBB2_26:                               ;   in Loop: Header=BB2_9 Depth=1
	s_or_b64 exec, exec, s[14:15]
	v_add_u32_e32 v2, s25, v44
	v_ashrrev_i32_e32 v3, 31, v2
	v_mov_b32_e32 v9, s13
	v_add_co_u32_e32 v2, vcc, s12, v2
	v_addc_co_u32_e32 v3, vcc, v9, v3, vcc
	v_add_u32_e32 v0, s10, v0
	global_store_byte v[2:3], v0, off
.LBB2_27:                               ;   in Loop: Header=BB2_9 Depth=1
	s_or_b64 exec, exec, s[6:7]
	v_mov_b32_e32 v0, s21
	v_add_co_u32_e32 v2, vcc, s20, v16
	v_addc_co_u32_e32 v3, vcc, v0, v17, vcc
	v_cmp_gt_i64_e32 vcc, s[0:1], v[2:3]
	s_and_saveexec_b64 s[6:7], vcc
	s_cbranch_execz .LBB2_31
; %bb.28:                               ;   in Loop: Header=BB2_9 Depth=1
	v_mov_b32_e32 v0, v4
	v_cmp_le_u64_e32 vcc, s[8:9], v[0:1]
	s_and_saveexec_b64 s[14:15], vcc
	s_cbranch_execz .LBB2_30
; %bb.29:                               ;   in Loop: Header=BB2_9 Depth=1
	v_cvt_f32_u32_e32 v2, s8
	s_sub_i32 s26, 0, s8
	v_rcp_iflag_f32_e32 v2, v2
	v_mul_f32_e32 v2, 0x4f7ffffe, v2
	v_cvt_u32_f32_e32 v2, v2
	v_mul_lo_u32 v3, s26, v2
	v_mul_hi_u32 v3, v2, v3
	v_add_u32_e32 v2, v2, v3
	v_mul_hi_u32 v2, v0, v2
	v_mul_lo_u32 v2, v2, s8
	v_sub_u32_e32 v0, v0, v2
	v_subrev_u32_e32 v2, s8, v0
	v_cmp_le_u32_e32 vcc, s8, v0
	v_cndmask_b32_e32 v0, v0, v2, vcc
	v_subrev_u32_e32 v2, s8, v0
	v_cmp_le_u32_e32 vcc, s8, v0
	v_cndmask_b32_e32 v0, v0, v2, vcc
.LBB2_30:                               ;   in Loop: Header=BB2_9 Depth=1
	s_or_b64 exec, exec, s[14:15]
	v_add_u32_e32 v2, s25, v43
	v_ashrrev_i32_e32 v3, 31, v2
	v_mov_b32_e32 v4, s13
	v_add_co_u32_e32 v2, vcc, s12, v2
	v_addc_co_u32_e32 v3, vcc, v4, v3, vcc
	v_add_u32_e32 v0, s10, v0
	global_store_byte v[2:3], v0, off
.LBB2_31:                               ;   in Loop: Header=BB2_9 Depth=1
	s_or_b64 exec, exec, s[6:7]
	v_mov_b32_e32 v0, s23
	v_add_co_u32_e32 v2, vcc, s22, v16
	v_addc_co_u32_e32 v3, vcc, v0, v17, vcc
	v_cmp_gt_i64_e32 vcc, s[0:1], v[2:3]
	s_and_saveexec_b64 s[6:7], vcc
	s_cbranch_execz .LBB2_8
; %bb.32:                               ;   in Loop: Header=BB2_9 Depth=1
	v_mov_b32_e32 v0, v5
	v_cmp_le_u64_e32 vcc, s[8:9], v[0:1]
	s_and_saveexec_b64 s[14:15], vcc
	s_cbranch_execz .LBB2_7
; %bb.33:                               ;   in Loop: Header=BB2_9 Depth=1
	v_cvt_f32_u32_e32 v2, s8
	s_sub_i32 s26, 0, s8
	v_rcp_iflag_f32_e32 v2, v2
	v_mul_f32_e32 v2, 0x4f7ffffe, v2
	v_cvt_u32_f32_e32 v2, v2
	v_mul_lo_u32 v3, s26, v2
	v_mul_hi_u32 v3, v2, v3
	v_add_u32_e32 v2, v2, v3
	v_mul_hi_u32 v2, v0, v2
	v_mul_lo_u32 v2, v2, s8
	v_sub_u32_e32 v0, v0, v2
	v_subrev_u32_e32 v2, s8, v0
	v_cmp_le_u32_e32 vcc, s8, v0
	v_cndmask_b32_e32 v0, v0, v2, vcc
	v_subrev_u32_e32 v2, s8, v0
	v_cmp_le_u32_e32 vcc, s8, v0
	v_cndmask_b32_e32 v0, v0, v2, vcc
	s_branch .LBB2_7
.LBB2_34:
	s_endpgm
.LBB2_35:
                                        ; implicit-def: $sgpr8_sgpr9
	s_andn2_b64 vcc, exec, s[2:3]
	s_cbranch_vccz .LBB2_4
	s_branch .LBB2_5
	.section	.rodata,"a",@progbits
	.p2align	6, 0x0
	.amdhsa_kernel _ZN2at6native12_GLOBAL__N_143distribution_elementwise_grid_stride_kernelIjLi4EZZZNS0_9templates4cuda21random_from_to_kernelIPNS_17CUDAGeneratorImplEEEvRNS_18TensorIteratorBaseEmlT_ENKUlvE_clEvENKUlvE_clEvEUlP25hiprandStatePhilox4_32_10E0_ZNS1_27distribution_nullary_kernelIhj15HIP_vector_typeIjLj4EES7_SF_ZZZNS5_IS7_EEvS9_mlSA_ENKSB_clEvENKSC_clEvEUljE_EEvS9_T2_RKT3_T4_EUlijE_EEvlNS_15PhiloxCudaStateET1_SK_
		.amdhsa_group_segment_fixed_size 0
		.amdhsa_private_segment_fixed_size 0
		.amdhsa_kernarg_size 336
		.amdhsa_user_sgpr_count 6
		.amdhsa_user_sgpr_private_segment_buffer 1
		.amdhsa_user_sgpr_dispatch_ptr 0
		.amdhsa_user_sgpr_queue_ptr 0
		.amdhsa_user_sgpr_kernarg_segment_ptr 1
		.amdhsa_user_sgpr_dispatch_id 0
		.amdhsa_user_sgpr_flat_scratch_init 0
		.amdhsa_user_sgpr_kernarg_preload_length 0
		.amdhsa_user_sgpr_kernarg_preload_offset 0
		.amdhsa_user_sgpr_private_segment_size 0
		.amdhsa_uses_dynamic_stack 0
		.amdhsa_system_sgpr_private_segment_wavefront_offset 0
		.amdhsa_system_sgpr_workgroup_id_x 1
		.amdhsa_system_sgpr_workgroup_id_y 0
		.amdhsa_system_sgpr_workgroup_id_z 0
		.amdhsa_system_sgpr_workgroup_info 0
		.amdhsa_system_vgpr_workitem_id 0
		.amdhsa_next_free_vgpr 47
		.amdhsa_next_free_sgpr 27
		.amdhsa_accum_offset 48
		.amdhsa_reserve_vcc 1
		.amdhsa_reserve_flat_scratch 0
		.amdhsa_float_round_mode_32 0
		.amdhsa_float_round_mode_16_64 0
		.amdhsa_float_denorm_mode_32 3
		.amdhsa_float_denorm_mode_16_64 3
		.amdhsa_dx10_clamp 1
		.amdhsa_ieee_mode 1
		.amdhsa_fp16_overflow 0
		.amdhsa_tg_split 0
		.amdhsa_exception_fp_ieee_invalid_op 0
		.amdhsa_exception_fp_denorm_src 0
		.amdhsa_exception_fp_ieee_div_zero 0
		.amdhsa_exception_fp_ieee_overflow 0
		.amdhsa_exception_fp_ieee_underflow 0
		.amdhsa_exception_fp_ieee_inexact 0
		.amdhsa_exception_int_div_zero 0
	.end_amdhsa_kernel
	.section	.text._ZN2at6native12_GLOBAL__N_143distribution_elementwise_grid_stride_kernelIjLi4EZZZNS0_9templates4cuda21random_from_to_kernelIPNS_17CUDAGeneratorImplEEEvRNS_18TensorIteratorBaseEmlT_ENKUlvE_clEvENKUlvE_clEvEUlP25hiprandStatePhilox4_32_10E0_ZNS1_27distribution_nullary_kernelIhj15HIP_vector_typeIjLj4EES7_SF_ZZZNS5_IS7_EEvS9_mlSA_ENKSB_clEvENKSC_clEvEUljE_EEvS9_T2_RKT3_T4_EUlijE_EEvlNS_15PhiloxCudaStateET1_SK_,"axG",@progbits,_ZN2at6native12_GLOBAL__N_143distribution_elementwise_grid_stride_kernelIjLi4EZZZNS0_9templates4cuda21random_from_to_kernelIPNS_17CUDAGeneratorImplEEEvRNS_18TensorIteratorBaseEmlT_ENKUlvE_clEvENKUlvE_clEvEUlP25hiprandStatePhilox4_32_10E0_ZNS1_27distribution_nullary_kernelIhj15HIP_vector_typeIjLj4EES7_SF_ZZZNS5_IS7_EEvS9_mlSA_ENKSB_clEvENKSC_clEvEUljE_EEvS9_T2_RKT3_T4_EUlijE_EEvlNS_15PhiloxCudaStateET1_SK_,comdat
.Lfunc_end2:
	.size	_ZN2at6native12_GLOBAL__N_143distribution_elementwise_grid_stride_kernelIjLi4EZZZNS0_9templates4cuda21random_from_to_kernelIPNS_17CUDAGeneratorImplEEEvRNS_18TensorIteratorBaseEmlT_ENKUlvE_clEvENKUlvE_clEvEUlP25hiprandStatePhilox4_32_10E0_ZNS1_27distribution_nullary_kernelIhj15HIP_vector_typeIjLj4EES7_SF_ZZZNS5_IS7_EEvS9_mlSA_ENKSB_clEvENKSC_clEvEUljE_EEvS9_T2_RKT3_T4_EUlijE_EEvlNS_15PhiloxCudaStateET1_SK_, .Lfunc_end2-_ZN2at6native12_GLOBAL__N_143distribution_elementwise_grid_stride_kernelIjLi4EZZZNS0_9templates4cuda21random_from_to_kernelIPNS_17CUDAGeneratorImplEEEvRNS_18TensorIteratorBaseEmlT_ENKUlvE_clEvENKUlvE_clEvEUlP25hiprandStatePhilox4_32_10E0_ZNS1_27distribution_nullary_kernelIhj15HIP_vector_typeIjLj4EES7_SF_ZZZNS5_IS7_EEvS9_mlSA_ENKSB_clEvENKSC_clEvEUljE_EEvS9_T2_RKT3_T4_EUlijE_EEvlNS_15PhiloxCudaStateET1_SK_
                                        ; -- End function
	.section	.AMDGPU.csdata,"",@progbits
; Kernel info:
; codeLenInByte = 2796
; NumSgprs: 31
; NumVgprs: 47
; NumAgprs: 0
; TotalNumVgprs: 47
; ScratchSize: 0
; MemoryBound: 0
; FloatMode: 240
; IeeeMode: 1
; LDSByteSize: 0 bytes/workgroup (compile time only)
; SGPRBlocks: 3
; VGPRBlocks: 5
; NumSGPRsForWavesPerEU: 31
; NumVGPRsForWavesPerEU: 47
; AccumOffset: 48
; Occupancy: 8
; WaveLimiterHint : 0
; COMPUTE_PGM_RSRC2:SCRATCH_EN: 0
; COMPUTE_PGM_RSRC2:USER_SGPR: 6
; COMPUTE_PGM_RSRC2:TRAP_HANDLER: 0
; COMPUTE_PGM_RSRC2:TGID_X_EN: 1
; COMPUTE_PGM_RSRC2:TGID_Y_EN: 0
; COMPUTE_PGM_RSRC2:TGID_Z_EN: 0
; COMPUTE_PGM_RSRC2:TIDIG_COMP_CNT: 0
; COMPUTE_PGM_RSRC3_GFX90A:ACCUM_OFFSET: 11
; COMPUTE_PGM_RSRC3_GFX90A:TG_SPLIT: 0
	.section	.text._ZN2at6native12_GLOBAL__N_143distribution_elementwise_grid_stride_kernelIjLi4EZZZNS0_9templates4cuda21random_from_to_kernelIPNS_17CUDAGeneratorImplEEEvRNS_18TensorIteratorBaseEmlT_ENKUlvE_clEvENKUlvE_clEvEUlP25hiprandStatePhilox4_32_10E0_ZNS1_27distribution_nullary_kernelIhj15HIP_vector_typeIjLj4EES7_SF_ZZZNS5_IS7_EEvS9_mlSA_ENKSB_clEvENKSC_clEvEUljE_EEvS9_T2_RKT3_T4_EUlijE0_EEvlNS_15PhiloxCudaStateET1_SK_,"axG",@progbits,_ZN2at6native12_GLOBAL__N_143distribution_elementwise_grid_stride_kernelIjLi4EZZZNS0_9templates4cuda21random_from_to_kernelIPNS_17CUDAGeneratorImplEEEvRNS_18TensorIteratorBaseEmlT_ENKUlvE_clEvENKUlvE_clEvEUlP25hiprandStatePhilox4_32_10E0_ZNS1_27distribution_nullary_kernelIhj15HIP_vector_typeIjLj4EES7_SF_ZZZNS5_IS7_EEvS9_mlSA_ENKSB_clEvENKSC_clEvEUljE_EEvS9_T2_RKT3_T4_EUlijE0_EEvlNS_15PhiloxCudaStateET1_SK_,comdat
	.globl	_ZN2at6native12_GLOBAL__N_143distribution_elementwise_grid_stride_kernelIjLi4EZZZNS0_9templates4cuda21random_from_to_kernelIPNS_17CUDAGeneratorImplEEEvRNS_18TensorIteratorBaseEmlT_ENKUlvE_clEvENKUlvE_clEvEUlP25hiprandStatePhilox4_32_10E0_ZNS1_27distribution_nullary_kernelIhj15HIP_vector_typeIjLj4EES7_SF_ZZZNS5_IS7_EEvS9_mlSA_ENKSB_clEvENKSC_clEvEUljE_EEvS9_T2_RKT3_T4_EUlijE0_EEvlNS_15PhiloxCudaStateET1_SK_ ; -- Begin function _ZN2at6native12_GLOBAL__N_143distribution_elementwise_grid_stride_kernelIjLi4EZZZNS0_9templates4cuda21random_from_to_kernelIPNS_17CUDAGeneratorImplEEEvRNS_18TensorIteratorBaseEmlT_ENKUlvE_clEvENKUlvE_clEvEUlP25hiprandStatePhilox4_32_10E0_ZNS1_27distribution_nullary_kernelIhj15HIP_vector_typeIjLj4EES7_SF_ZZZNS5_IS7_EEvS9_mlSA_ENKSB_clEvENKSC_clEvEUljE_EEvS9_T2_RKT3_T4_EUlijE0_EEvlNS_15PhiloxCudaStateET1_SK_
	.p2align	8
	.type	_ZN2at6native12_GLOBAL__N_143distribution_elementwise_grid_stride_kernelIjLi4EZZZNS0_9templates4cuda21random_from_to_kernelIPNS_17CUDAGeneratorImplEEEvRNS_18TensorIteratorBaseEmlT_ENKUlvE_clEvENKUlvE_clEvEUlP25hiprandStatePhilox4_32_10E0_ZNS1_27distribution_nullary_kernelIhj15HIP_vector_typeIjLj4EES7_SF_ZZZNS5_IS7_EEvS9_mlSA_ENKSB_clEvENKSC_clEvEUljE_EEvS9_T2_RKT3_T4_EUlijE0_EEvlNS_15PhiloxCudaStateET1_SK_,@function
_ZN2at6native12_GLOBAL__N_143distribution_elementwise_grid_stride_kernelIjLi4EZZZNS0_9templates4cuda21random_from_to_kernelIPNS_17CUDAGeneratorImplEEEvRNS_18TensorIteratorBaseEmlT_ENKUlvE_clEvENKUlvE_clEvEUlP25hiprandStatePhilox4_32_10E0_ZNS1_27distribution_nullary_kernelIhj15HIP_vector_typeIjLj4EES7_SF_ZZZNS5_IS7_EEvS9_mlSA_ENKSB_clEvENKSC_clEvEUljE_EEvS9_T2_RKT3_T4_EUlijE0_EEvlNS_15PhiloxCudaStateET1_SK_: ; @_ZN2at6native12_GLOBAL__N_143distribution_elementwise_grid_stride_kernelIjLi4EZZZNS0_9templates4cuda21random_from_to_kernelIPNS_17CUDAGeneratorImplEEEvRNS_18TensorIteratorBaseEmlT_ENKUlvE_clEvENKUlvE_clEvEUlP25hiprandStatePhilox4_32_10E0_ZNS1_27distribution_nullary_kernelIhj15HIP_vector_typeIjLj4EES7_SF_ZZZNS5_IS7_EEvS9_mlSA_ENKSB_clEvENKSC_clEvEUljE_EEvS9_T2_RKT3_T4_EUlijE0_EEvlNS_15PhiloxCudaStateET1_SK_
; %bb.0:
	s_load_dword s2, s[4:5], 0x20
	s_load_dwordx2 s[0:1], s[4:5], 0x10
	s_load_dwordx4 s[24:27], s[4:5], 0x0
	s_waitcnt lgkmcnt(0)
	s_bitcmp0_b32 s2, 0
	s_mov_b32 s2, 0
	v_pk_mov_b32 v[2:3], s[0:1], s[0:1] op_sel:[0,1]
	v_pk_mov_b32 v[14:15], s[26:27], s[26:27] op_sel:[0,1]
	s_cbranch_scc1 .LBB3_2
; %bb.1:
	v_pk_mov_b32 v[2:3], s[0:1], s[0:1] op_sel:[0,1]
	flat_load_dwordx2 v[2:3], v[2:3]
	v_pk_mov_b32 v[4:5], s[26:27], s[26:27] op_sel:[0,1]
	flat_load_dwordx2 v[14:15], v[4:5]
	s_load_dwordx2 s[0:1], s[4:5], 0x18
	s_waitcnt lgkmcnt(0)
	v_mov_b32_e32 v1, s1
	s_waitcnt vmcnt(0)
	v_add_co_u32_e32 v2, vcc, s0, v2
	v_addc_co_u32_e32 v3, vcc, v3, v1, vcc
.LBB3_2:
	s_load_dword s0, s[4:5], 0x15c
	s_load_dword s7, s[4:5], 0x150
	s_waitcnt lgkmcnt(0)
	s_and_b32 s8, s0, 0xffff
	s_add_u32 s9, s24, -1
	s_mul_i32 s33, s7, s8
	s_addc_u32 s3, s25, -1
	s_lshl_b32 s62, s33, 2
	s_cmp_lg_u64 s[2:3], 0
	s_mov_b64 s[0:1], -1
	s_cbranch_scc0 .LBB3_91
; %bb.3:
	v_cvt_f32_u32_e32 v1, s62
	v_cvt_f32_ubyte0_e32 v4, 0
	s_sub_u32 s2, 0, s62
	s_subb_u32 s10, 0, 0
	v_madmk_f32 v1, v4, 0x4f800000, v1
	v_rcp_f32_e32 v1, v1
	v_mul_f32_e32 v1, 0x5f7ffffc, v1
	v_mul_f32_e32 v4, 0x2f800000, v1
	v_trunc_f32_e32 v4, v4
	v_madmk_f32 v1, v4, 0xcf800000, v1
	v_cvt_u32_f32_e32 v4, v4
	v_cvt_u32_f32_e32 v1, v1
	v_readfirstlane_b32 s11, v4
	v_readfirstlane_b32 s12, v1
	s_mul_i32 s13, s2, s11
	s_mul_hi_u32 s15, s2, s12
	s_mul_i32 s14, s10, s12
	s_add_i32 s13, s15, s13
	s_add_i32 s13, s13, s14
	s_mul_i32 s16, s2, s12
	s_mul_hi_u32 s14, s12, s13
	s_mul_i32 s15, s12, s13
	s_mul_hi_u32 s12, s12, s16
	s_add_u32 s12, s12, s15
	s_addc_u32 s14, 0, s14
	s_mul_hi_u32 s17, s11, s16
	s_mul_i32 s16, s11, s16
	s_add_u32 s12, s12, s16
	s_mul_hi_u32 s15, s11, s13
	s_addc_u32 s12, s14, s17
	s_addc_u32 s14, s15, 0
	s_mul_i32 s13, s11, s13
	s_add_u32 s12, s12, s13
	s_addc_u32 s13, 0, s14
	v_add_co_u32_e32 v1, vcc, s12, v1
	s_cmp_lg_u64 vcc, 0
	s_addc_u32 s11, s11, s13
	v_readfirstlane_b32 s13, v1
	s_mul_i32 s12, s2, s11
	s_mul_hi_u32 s14, s2, s13
	s_add_i32 s12, s14, s12
	s_mul_i32 s10, s10, s13
	s_add_i32 s12, s12, s10
	s_mul_i32 s2, s2, s13
	s_mul_hi_u32 s14, s11, s2
	s_mul_i32 s15, s11, s2
	s_mul_i32 s17, s13, s12
	s_mul_hi_u32 s2, s13, s2
	s_mul_hi_u32 s16, s13, s12
	s_add_u32 s2, s2, s17
	s_addc_u32 s13, 0, s16
	s_add_u32 s2, s2, s15
	s_mul_hi_u32 s10, s11, s12
	s_addc_u32 s2, s13, s14
	s_addc_u32 s10, s10, 0
	s_mul_i32 s12, s11, s12
	s_add_u32 s2, s2, s12
	s_addc_u32 s10, 0, s10
	v_add_co_u32_e32 v1, vcc, s2, v1
	s_cmp_lg_u64 vcc, 0
	s_addc_u32 s12, s11, s10
	s_ashr_i32 s10, s3, 31
	s_add_u32 s2, s9, s10
	s_mov_b32 s11, s10
	s_addc_u32 s3, s3, s10
	s_xor_b64 s[2:3], s[2:3], s[10:11]
	v_readfirstlane_b32 s15, v1
	s_mul_i32 s14, s2, s12
	s_mul_hi_u32 s16, s2, s15
	s_mul_hi_u32 s13, s2, s12
	s_add_u32 s14, s16, s14
	s_addc_u32 s13, 0, s13
	s_mul_hi_u32 s17, s3, s15
	s_mul_i32 s15, s3, s15
	s_add_u32 s14, s14, s15
	s_mul_hi_u32 s16, s3, s12
	s_addc_u32 s13, s13, s17
	s_addc_u32 s14, s16, 0
	s_mul_i32 s12, s3, s12
	s_add_u32 s12, s13, s12
	s_addc_u32 s13, 0, s14
	s_add_u32 s14, s12, 1
	s_addc_u32 s15, s13, 0
	s_add_u32 s16, s12, 2
	s_mul_i32 s18, s62, s13
	s_mul_hi_u32 s19, s62, s12
	s_addc_u32 s17, s13, 0
	s_add_i32 s19, s19, s18
	s_mul_i32 s18, s62, s12
	v_mov_b32_e32 v1, s18
	v_sub_co_u32_e32 v1, vcc, s2, v1
	s_cmp_lg_u64 vcc, 0
	s_subb_u32 s2, s3, s19
	v_subrev_co_u32_e32 v4, vcc, s62, v1
	s_cmp_lg_u64 vcc, 0
	s_subb_u32 s3, s2, 0
	v_readfirstlane_b32 s18, v4
	s_cmp_ge_u32 s18, s62
	s_cselect_b32 s18, -1, 0
	s_cmp_eq_u32 s3, 0
	s_cselect_b32 s3, s18, -1
	s_cmp_lg_u32 s3, 0
	s_cselect_b32 s3, s17, s15
	v_readfirstlane_b32 s15, v1
	s_cselect_b32 s14, s16, s14
	s_cmp_ge_u32 s15, s62
	s_cselect_b32 s15, -1, 0
	s_cmp_eq_u32 s2, 0
	s_cselect_b32 s2, s15, -1
	s_cmp_lg_u32 s2, 0
	s_cselect_b32 s3, s3, s13
	s_cselect_b32 s2, s14, s12
	s_xor_b64 s[2:3], s[2:3], s[10:11]
	s_sub_u32 s2, s2, s10
	s_subb_u32 s3, s3, s10
	s_cbranch_execnz .LBB3_5
.LBB3_4:
	v_cvt_f32_u32_e32 v1, s62
	s_sub_i32 s0, 0, s62
	s_mov_b32 s3, 0
	v_rcp_iflag_f32_e32 v1, v1
	v_mul_f32_e32 v1, 0x4f7ffffe, v1
	v_cvt_u32_f32_e32 v1, v1
	v_readfirstlane_b32 s1, v1
	s_mul_i32 s0, s0, s1
	s_mul_hi_u32 s0, s1, s0
	s_add_i32 s1, s1, s0
	s_mul_hi_u32 s0, s9, s1
	s_mul_i32 s2, s0, s62
	s_sub_i32 s2, s9, s2
	s_add_i32 s1, s0, 1
	s_sub_i32 s9, s2, s62
	s_cmp_ge_u32 s2, s62
	s_cselect_b32 s0, s1, s0
	s_cselect_b32 s2, s9, s2
	s_add_i32 s1, s0, 1
	s_cmp_ge_u32 s2, s62
	s_cselect_b32 s2, s1, s0
.LBB3_5:
	v_mov_b32_e32 v1, 0
	v_mov_b32_e32 v4, s6
	v_mad_u64_u32 v[16:17], s[0:1], s8, v4, v[0:1]
	s_add_u32 s0, s2, 1
	s_addc_u32 s1, s3, 0
	s_mul_hi_u32 s2, s7, s8
	s_mul_i32 s1, s33, s1
	s_mul_hi_u32 s3, s33, s0
	s_add_i32 s1, s3, s1
	s_mul_i32 s2, s2, s0
	s_add_i32 s1, s1, s2
	s_mul_i32 s0, s33, s0
	s_lshl_b64 s[26:27], s[0:1], 2
	v_cmp_gt_i64_e32 vcc, s[26:27], v[16:17]
	s_and_saveexec_b64 s[0:1], vcc
	s_cbranch_execz .LBB3_90
; %bb.6:
	s_mov_b32 s0, 0x5384540f
	v_mov_b32_e32 v0, v15
	v_add_co_u32_e32 v24, vcc, s0, v14
	s_mov_b32 s0, 0x646e171e
	v_add_co_u32_e32 v25, vcc, s0, v0
	s_mov_b32 s0, 0x1715609d
	;; [unrolled: 2-line block ×6, first 2 shown]
	v_alignbit_b32 v31, v3, v2, 2
	s_mov_b32 s64, 0xd2511f53
	v_add_co_u32_e32 v30, vcc, s0, v14
	v_mad_u64_u32 v[4:5], s[0:1], v31, s64, 0
	v_and_b32_e32 v20, 3, v2
	v_xor_b32_e32 v2, v5, v15
	v_xor_b32_e32 v2, v2, v17
	s_mov_b32 s65, 0xcd9e8d57
	v_mad_u64_u32 v[6:7], s[0:1], v2, s65, 0
	v_xor_b32_e32 v2, v30, v7
	v_mad_u64_u32 v[8:9], s[0:1], v16, s65, 0
	v_xor_b32_e32 v2, v2, v8
	;; [unrolled: 2-line block ×3, first 2 shown]
	v_lshrrev_b32_e32 v32, 2, v3
	v_xor_b32_e32 v2, v2, v32
	v_xor_b32_e32 v5, v29, v11
	v_mad_u64_u32 v[2:3], s[0:1], v2, s64, 0
	v_xor_b32_e32 v2, v5, v2
	v_mad_u64_u32 v[8:9], s[0:1], v2, s65, 0
	s_mov_b32 s0, 0xbb67ae85
	v_add_co_u32_e32 v33, vcc, s0, v0
	v_xor_b32_e32 v2, v33, v3
	v_xor_b32_e32 v2, v2, v4
	v_xor_b32_e32 v5, v28, v9
	v_mad_u64_u32 v[2:3], s[0:1], v2, s65, 0
	v_xor_b32_e32 v2, v5, v2
	v_mad_u64_u32 v[4:5], s[0:1], v2, s64, 0
	s_mov_b32 s0, 0x3c6ef372
	v_add_co_u32_e32 v34, vcc, s0, v14
	v_xor_b32_e32 v2, v34, v3
	;; [unrolled: 8-line block ×6, first 2 shown]
	v_add_co_u32_e32 v23, vcc, 0xdb3d7428, v0
	v_xor_b32_e32 v2, v2, v6
	v_xor_b32_e32 v5, v23, v5
	v_mad_u64_u32 v[2:3], s[0:1], v2, s64, 0
	v_xor_b32_e32 v2, v5, v2
	v_mad_u64_u32 v[6:7], s[0:1], v2, s65, 0
	s_mov_b32 s0, 0x1fd5c5a3
	v_add_co_u32_e32 v39, vcc, s0, v0
	v_xor_b32_e32 v0, v39, v3
	v_xor_b32_e32 v0, v0, v10
	v_mad_u64_u32 v[2:3], s[0:1], v0, s65, 0
	s_mov_b32 s0, 0xf1bbcdc8
	s_load_dwordx8 s[8:15], s[4:5], 0x30
	v_add_u32_e32 v21, 0x8ff34781, v14
	v_xor_b32_e32 v0, v7, v2
	v_add_co_u32_e32 v40, vcc, s0, v14
	v_xor_b32_e32 v2, v21, v0
	v_xor_b32_e32 v0, v40, v3
	;; [unrolled: 1-line block ×3, first 2 shown]
	s_add_u32 s34, s4, 48
	v_mad_u64_u32 v[8:9], s[0:1], v0, s64, 0
	s_addc_u32 s35, s5, 0
	s_waitcnt lgkmcnt(0)
	s_add_i32 s0, s8, -1
	s_cmp_gt_u32 s0, 1
	s_cselect_b64 s[40:41], -1, 0
	s_cmp_lg_u32 s8, 0
	s_cselect_b64 s[42:43], -1, 0
	s_add_u32 s44, s4, 0xf4
	s_addc_u32 s45, s5, 0
	s_min_u32 s1, s0, 15
	s_cmp_gt_u32 s8, 1
	s_cselect_b64 s[46:47], -1, 0
	s_load_dwordx2 s[48:49], s[4:5], 0x148
	s_load_dwordx2 s[50:51], s[4:5], 0xf4
	s_load_dwordx4 s[28:31], s[4:5], 0x138
	s_add_i32 s1, s1, 1
	s_mov_b32 s8, s13
	s_lshl_b32 s13, s33, 1
	s_and_b32 s67, s1, 3
	s_cmp_lg_u32 s0, 2
	s_cselect_b64 s[52:53], -1, 0
	s_and_b32 s68, s1, 28
	s_mov_b32 s63, 0
	v_add_u32_e32 v22, 0x96a522ad, v15
	v_xor_b32_e32 v0, v9, v4
	s_cmp_lg_u32 s67, 0
	v_xor_b32_e32 v4, v22, v0
	v_mov_b32_e32 v3, v6
	v_mov_b32_e32 v5, v8
	s_mov_b32 s15, s63
	s_waitcnt lgkmcnt(0)
	s_mul_i32 s49, s33, 3
	s_mov_b32 s66, s63
	s_mov_b64 s[54:55], 0
	s_cselect_b64 s[56:57], -1, 0
	v_mov_b32_e32 v41, v16
	v_mov_b32_e32 v42, v17
	s_branch .LBB3_9
.LBB3_7:                                ;   in Loop: Header=BB3_9 Depth=1
	s_or_b64 exec, exec, s[0:1]
	v_add_u32_e32 v0, s48, v0
	global_store_byte v2, v0, s[28:29]
.LBB3_8:                                ;   in Loop: Header=BB3_9 Depth=1
	s_or_b64 exec, exec, s[36:37]
	v_add_co_u32_e32 v16, vcc, s62, v16
	v_addc_co_u32_e32 v17, vcc, 0, v17, vcc
	v_mov_b32_e32 v9, v18
	v_cmp_le_i64_e32 vcc, s[26:27], v[16:17]
	v_pk_mov_b32 v[2:3], v[6:7], v[6:7] op_sel:[0,1]
	s_or_b64 s[54:55], vcc, s[54:55]
	v_pk_mov_b32 v[4:5], v[8:9], v[8:9] op_sel:[0,1]
	s_barrier
	s_andn2_b64 exec, exec, s[54:55]
	s_cbranch_execz .LBB3_90
.LBB3_9:                                ; =>This Loop Header: Depth=1
                                        ;     Child Loop BB3_24 Depth 2
                                        ;     Child Loop BB3_30 Depth 2
	;; [unrolled: 1-line block ×8, first 2 shown]
	v_add_co_u32_e32 v31, vcc, 1, v31
	v_cndmask_b32_e64 v0, 0, 1, vcc
	v_addc_co_u32_e32 v32, vcc, 0, v32, vcc
	v_cmp_eq_u32_e32 vcc, 0, v32
	v_cndmask_b32_e32 v0, 0, v0, vcc
	v_add_u32_e32 v41, v0, v41
	v_cmp_eq_u32_e32 vcc, 0, v41
	v_cndmask_b32_e32 v0, 0, v0, vcc
	v_mad_u64_u32 v[6:7], s[0:1], v31, s64, 0
	v_mad_u64_u32 v[8:9], s[0:1], v41, s65, 0
	v_add_u32_e32 v42, v0, v42
	v_xor_b32_e32 v0, v9, v14
	v_xor_b32_e32 v7, v7, v15
	v_xor_b32_e32 v0, v32, v0
	v_xor_b32_e32 v7, v42, v7
	v_mad_u64_u32 v[10:11], s[0:1], v0, s64, 0
	v_mad_u64_u32 v[12:13], s[0:1], v7, s65, 0
	v_xor_b32_e32 v0, v30, v13
	v_xor_b32_e32 v7, v33, v11
	v_xor_b32_e32 v0, v0, v8
	v_xor_b32_e32 v8, v7, v6
	v_mad_u64_u32 v[6:7], s[0:1], v0, s64, 0
	v_mad_u64_u32 v[8:9], s[0:1], v8, s65, 0
	v_xor_b32_e32 v0, v34, v9
	v_xor_b32_e32 v7, v29, v7
	v_xor_b32_e32 v0, v0, v12
	v_xor_b32_e32 v7, v7, v10
	v_mad_u64_u32 v[10:11], s[0:1], v0, s64, 0
	v_mad_u64_u32 v[12:13], s[0:1], v7, s65, 0
	v_xor_b32_e32 v0, v28, v13
	v_xor_b32_e32 v7, v35, v11
	v_xor_b32_e32 v0, v0, v8
	v_xor_b32_e32 v8, v7, v6
	v_mad_u64_u32 v[6:7], s[0:1], v0, s64, 0
	v_mad_u64_u32 v[8:9], s[0:1], v8, s65, 0
	v_xor_b32_e32 v0, v36, v9
	v_xor_b32_e32 v7, v27, v7
	v_xor_b32_e32 v0, v0, v12
	v_xor_b32_e32 v7, v7, v10
	v_mad_u64_u32 v[10:11], s[0:1], v0, s64, 0
	v_mad_u64_u32 v[12:13], s[0:1], v7, s65, 0
	v_xor_b32_e32 v0, v26, v13
	v_xor_b32_e32 v7, v37, v11
	v_xor_b32_e32 v0, v0, v8
	v_xor_b32_e32 v8, v7, v6
	v_mad_u64_u32 v[6:7], s[0:1], v0, s64, 0
	v_mad_u64_u32 v[8:9], s[0:1], v8, s65, 0
	v_xor_b32_e32 v0, v38, v9
	v_xor_b32_e32 v7, v25, v7
	v_xor_b32_e32 v0, v0, v12
	v_xor_b32_e32 v7, v7, v10
	v_mad_u64_u32 v[10:11], s[0:1], v0, s64, 0
	v_mad_u64_u32 v[12:13], s[0:1], v7, s65, 0
	v_xor_b32_e32 v0, v24, v13
	v_xor_b32_e32 v7, v39, v11
	v_xor_b32_e32 v0, v0, v8
	v_xor_b32_e32 v6, v7, v6
	v_mad_u64_u32 v[8:9], s[0:1], v0, s64, 0
	v_mad_u64_u32 v[6:7], s[0:1], v6, s65, 0
	v_xor_b32_e32 v0, v40, v7
	v_xor_b32_e32 v7, v23, v9
	v_xor_b32_e32 v7, v7, v10
	v_xor_b32_e32 v0, v0, v12
	v_mad_u64_u32 v[12:13], s[0:1], v7, s65, 0
	v_mad_u64_u32 v[18:19], s[0:1], v0, s64, 0
	v_xor_b32_e32 v0, v13, v6
	v_xor_b32_e32 v6, v21, v0
	;; [unrolled: 1-line block ×4, first 2 shown]
	v_mov_b32_e32 v7, v12
	v_mov_b32_e32 v8, v13
	v_cmp_lt_i32_e32 vcc, 1, v20
	s_and_saveexec_b64 s[0:1], vcc
	s_xor_b64 s[0:1], exec, s[0:1]
	s_cbranch_execz .LBB3_15
; %bb.10:                               ;   in Loop: Header=BB3_9 Depth=1
	v_cmp_lt_i32_e32 vcc, 2, v20
	s_and_saveexec_b64 s[2:3], vcc
	s_xor_b64 s[2:3], exec, s[2:3]
; %bb.11:                               ;   in Loop: Header=BB3_9 Depth=1
	v_mov_b32_e32 v10, v5
	v_mov_b32_e32 v11, v6
	v_pk_mov_b32 v[2:3], v[10:11], v[10:11] op_sel:[0,1]
	v_pk_mov_b32 v[4:5], v[12:13], v[12:13] op_sel:[0,1]
                                        ; implicit-def: $vgpr12_vgpr13
; %bb.12:                               ;   in Loop: Header=BB3_9 Depth=1
	s_andn2_saveexec_b64 s[2:3], s[2:3]
; %bb.13:                               ;   in Loop: Header=BB3_9 Depth=1
	v_mov_b32_e32 v2, v4
	v_mov_b32_e32 v3, v5
	;; [unrolled: 1-line block ×4, first 2 shown]
; %bb.14:                               ;   in Loop: Header=BB3_9 Depth=1
	s_or_b64 exec, exec, s[2:3]
.LBB3_15:                               ;   in Loop: Header=BB3_9 Depth=1
	s_andn2_saveexec_b64 s[0:1], s[0:1]
	s_cbranch_execz .LBB3_19
; %bb.16:                               ;   in Loop: Header=BB3_9 Depth=1
	v_cmp_eq_u32_e32 vcc, 1, v20
	s_and_saveexec_b64 s[2:3], vcc
; %bb.17:                               ;   in Loop: Header=BB3_9 Depth=1
	v_mov_b32_e32 v2, v3
	v_mov_b32_e32 v3, v4
	;; [unrolled: 1-line block ×4, first 2 shown]
; %bb.18:                               ;   in Loop: Header=BB3_9 Depth=1
	s_or_b64 exec, exec, s[2:3]
.LBB3_19:                               ;   in Loop: Header=BB3_9 Depth=1
	s_or_b64 exec, exec, s[0:1]
	v_cndmask_b32_e64 v0, 0, 1, s[40:41]
	v_cmp_gt_i64_e32 vcc, s[24:25], v[16:17]
	v_cmp_ne_u32_e64 s[0:1], 1, v0
	s_and_saveexec_b64 s[2:3], vcc
	s_cbranch_execz .LBB3_37
; %bb.20:                               ;   in Loop: Header=BB3_9 Depth=1
	s_and_b64 vcc, exec, s[0:1]
	s_cbranch_vccnz .LBB3_26
; %bb.21:                               ;   in Loop: Header=BB3_9 Depth=1
	s_andn2_b64 vcc, exec, s[42:43]
	s_cbranch_vccnz .LBB3_27
; %bb.22:                               ;   in Loop: Header=BB3_9 Depth=1
	s_mov_b32 s6, 0
	s_andn2_b64 vcc, exec, s[52:53]
	v_mov_b32_e32 v10, 0
	s_cbranch_vccnz .LBB3_28
; %bb.23:                               ;   in Loop: Header=BB3_9 Depth=1
	s_mov_b32 s69, 0
	v_mov_b32_e32 v10, 0
	s_mov_b64 s[58:59], s[34:35]
	s_mov_b64 s[60:61], s[44:45]
	v_mov_b32_e32 v0, v16
.LBB3_24:                               ;   Parent Loop BB3_9 Depth=1
                                        ; =>  This Inner Loop Header: Depth=2
	s_load_dwordx8 s[16:23], s[58:59], 0x4
	s_load_dwordx4 s[4:7], s[58:59], 0x24
	s_load_dwordx4 s[36:39], s[60:61], 0x0
	s_add_u32 s58, s58, 48
	s_addc_u32 s59, s59, 0
	s_waitcnt lgkmcnt(0)
	v_mul_hi_u32 v9, s17, v0
	v_add_u32_e32 v9, v0, v9
	v_lshrrev_b32_e32 v9, s18, v9
	v_mul_lo_u32 v11, v9, s16
	v_mul_hi_u32 v12, s20, v9
	v_sub_u32_e32 v0, v0, v11
	v_add_u32_e32 v11, v9, v12
	v_lshrrev_b32_e32 v11, s21, v11
	v_mul_lo_u32 v12, v11, s19
	v_mul_hi_u32 v13, s23, v11
	v_sub_u32_e32 v9, v9, v12
	v_add_u32_e32 v12, v11, v13
	v_mul_lo_u32 v0, v0, s36
	v_mul_lo_u32 v9, v9, s37
	v_lshrrev_b32_e32 v12, s4, v12
	v_add3_u32 v9, v0, v10, v9
	v_mul_lo_u32 v0, v12, s22
	v_mul_hi_u32 v10, s6, v12
	v_sub_u32_e32 v0, v11, v0
	v_add_u32_e32 v10, v12, v10
	v_mul_lo_u32 v11, v0, s38
	v_lshrrev_b32_e32 v0, s7, v10
	s_add_i32 s69, s69, 4
	v_mul_lo_u32 v10, v0, s5
	s_add_u32 s60, s60, 16
	v_sub_u32_e32 v10, v12, v10
	s_addc_u32 s61, s61, 0
	v_mul_lo_u32 v10, v10, s39
	s_cmp_lg_u32 s68, s69
	v_add3_u32 v10, v11, v9, v10
	s_cbranch_scc1 .LBB3_24
; %bb.25:                               ;   in Loop: Header=BB3_9 Depth=1
	s_mov_b32 s6, s68
	s_andn2_b64 vcc, exec, s[56:57]
	s_cbranch_vccz .LBB3_29
	s_branch .LBB3_31
.LBB3_26:                               ;   in Loop: Header=BB3_9 Depth=1
                                        ; implicit-def: $vgpr10
	s_branch .LBB3_32
.LBB3_27:                               ;   in Loop: Header=BB3_9 Depth=1
	v_mov_b32_e32 v10, 0
	s_branch .LBB3_31
.LBB3_28:                               ;   in Loop: Header=BB3_9 Depth=1
	v_mov_b32_e32 v0, v16
	s_andn2_b64 vcc, exec, s[56:57]
	s_cbranch_vccnz .LBB3_31
.LBB3_29:                               ;   in Loop: Header=BB3_9 Depth=1
	s_lshl_b32 s4, s6, 2
	s_add_u32 s4, s44, s4
	s_addc_u32 s5, s45, 0
	s_mul_i32 s6, s6, 12
	s_add_u32 s6, s34, s6
	s_addc_u32 s7, s35, 0
	s_mov_b32 s16, s67
.LBB3_30:                               ;   Parent Loop BB3_9 Depth=1
                                        ; =>  This Inner Loop Header: Depth=2
	s_load_dwordx2 s[18:19], s[6:7], 0x4
	s_load_dword s17, s[6:7], 0xc
	s_load_dword s20, s[4:5], 0x0
	s_add_u32 s6, s6, 12
	s_addc_u32 s7, s7, 0
	s_waitcnt lgkmcnt(0)
	v_mul_hi_u32 v9, s19, v0
	v_add_u32_e32 v9, v0, v9
	v_lshrrev_b32_e32 v9, s17, v9
	s_add_u32 s4, s4, 4
	v_mul_lo_u32 v11, v9, s18
	s_addc_u32 s5, s5, 0
	s_add_i32 s16, s16, -1
	v_sub_u32_e32 v11, v0, v11
	s_cmp_lg_u32 s16, 0
	v_mov_b32_e32 v0, v9
	v_mad_u64_u32 v[10:11], s[18:19], v11, s20, v[10:11]
	s_cbranch_scc1 .LBB3_30
.LBB3_31:                               ;   in Loop: Header=BB3_9 Depth=1
	s_cbranch_execnz .LBB3_34
.LBB3_32:                               ;   in Loop: Header=BB3_9 Depth=1
	v_mul_hi_u32 v0, v16, s10
	v_add_u32_e32 v0, v0, v16
	v_lshrrev_b32_e32 v0, s11, v0
	v_mul_lo_u32 v9, v0, s9
	v_sub_u32_e32 v9, v16, v9
	s_andn2_b64 vcc, exec, s[46:47]
	v_mul_lo_u32 v10, v9, s50
	s_cbranch_vccnz .LBB3_34
; %bb.33:                               ;   in Loop: Header=BB3_9 Depth=1
	v_mul_hi_u32 v9, s8, v0
	v_add_u32_e32 v9, v0, v9
	v_lshrrev_b32_e32 v9, s14, v9
	v_mul_lo_u32 v9, v9, s12
	v_sub_u32_e32 v0, v0, v9
	v_mad_u64_u32 v[10:11], s[4:5], v0, s51, v[10:11]
.LBB3_34:                               ;   in Loop: Header=BB3_9 Depth=1
	v_mov_b32_e32 v0, v2
	v_cmp_le_u64_e32 vcc, s[30:31], v[0:1]
	s_and_saveexec_b64 s[4:5], vcc
	s_cbranch_execz .LBB3_36
; %bb.35:                               ;   in Loop: Header=BB3_9 Depth=1
	v_cvt_f32_u32_e32 v2, s30
	s_sub_i32 s6, 0, s30
	v_rcp_iflag_f32_e32 v2, v2
	v_mul_f32_e32 v2, 0x4f7ffffe, v2
	v_cvt_u32_f32_e32 v2, v2
	v_mul_lo_u32 v9, s6, v2
	v_mul_hi_u32 v9, v2, v9
	v_add_u32_e32 v2, v2, v9
	v_mul_hi_u32 v2, v0, v2
	v_mul_lo_u32 v2, v2, s30
	v_sub_u32_e32 v0, v0, v2
	v_subrev_u32_e32 v2, s30, v0
	v_cmp_le_u32_e32 vcc, s30, v0
	v_cndmask_b32_e32 v0, v0, v2, vcc
	v_subrev_u32_e32 v2, s30, v0
	v_cmp_le_u32_e32 vcc, s30, v0
	v_cndmask_b32_e32 v0, v0, v2, vcc
.LBB3_36:                               ;   in Loop: Header=BB3_9 Depth=1
	s_or_b64 exec, exec, s[4:5]
	v_add_u32_e32 v0, s48, v0
	global_store_byte v10, v0, s[28:29]
.LBB3_37:                               ;   in Loop: Header=BB3_9 Depth=1
	s_or_b64 exec, exec, s[2:3]
	v_mov_b32_e32 v0, s63
	v_add_co_u32_e32 v12, vcc, s33, v16
	v_addc_co_u32_e32 v13, vcc, v17, v0, vcc
	v_cmp_gt_i64_e32 vcc, s[24:25], v[12:13]
	s_and_saveexec_b64 s[2:3], vcc
	s_cbranch_execz .LBB3_55
; %bb.38:                               ;   in Loop: Header=BB3_9 Depth=1
	s_and_b64 vcc, exec, s[0:1]
	s_cbranch_vccnz .LBB3_44
; %bb.39:                               ;   in Loop: Header=BB3_9 Depth=1
	s_andn2_b64 vcc, exec, s[42:43]
	s_cbranch_vccnz .LBB3_45
; %bb.40:                               ;   in Loop: Header=BB3_9 Depth=1
	s_mov_b32 s6, 0
	s_andn2_b64 vcc, exec, s[52:53]
	v_mov_b32_e32 v10, 0
	s_cbranch_vccnz .LBB3_46
; %bb.41:                               ;   in Loop: Header=BB3_9 Depth=1
	s_mov_b32 s69, 0
	v_mov_b32_e32 v10, 0
	s_mov_b64 s[58:59], s[34:35]
	s_mov_b64 s[60:61], s[44:45]
	v_mov_b32_e32 v0, v12
.LBB3_42:                               ;   Parent Loop BB3_9 Depth=1
                                        ; =>  This Inner Loop Header: Depth=2
	s_load_dwordx8 s[16:23], s[58:59], 0x4
	s_load_dwordx4 s[4:7], s[58:59], 0x24
	s_load_dwordx4 s[36:39], s[60:61], 0x0
	s_add_u32 s58, s58, 48
	s_addc_u32 s59, s59, 0
	s_waitcnt lgkmcnt(0)
	v_mul_hi_u32 v2, s17, v0
	v_add_u32_e32 v2, v0, v2
	v_lshrrev_b32_e32 v2, s18, v2
	v_mul_lo_u32 v9, v2, s16
	v_mul_hi_u32 v11, s20, v2
	v_sub_u32_e32 v0, v0, v9
	v_add_u32_e32 v9, v2, v11
	v_lshrrev_b32_e32 v9, s21, v9
	v_mul_lo_u32 v11, v9, s19
	v_mul_hi_u32 v13, s23, v9
	v_sub_u32_e32 v2, v2, v11
	v_add_u32_e32 v11, v9, v13
	v_mul_lo_u32 v0, v0, s36
	v_mul_lo_u32 v2, v2, s37
	v_lshrrev_b32_e32 v11, s4, v11
	v_add3_u32 v2, v0, v10, v2
	v_mul_lo_u32 v0, v11, s22
	v_mul_hi_u32 v10, s6, v11
	v_sub_u32_e32 v0, v9, v0
	v_add_u32_e32 v9, v11, v10
	v_mul_lo_u32 v10, v0, s38
	v_lshrrev_b32_e32 v0, s7, v9
	s_add_i32 s69, s69, 4
	v_mul_lo_u32 v9, v0, s5
	s_add_u32 s60, s60, 16
	v_sub_u32_e32 v9, v11, v9
	s_addc_u32 s61, s61, 0
	v_mul_lo_u32 v9, v9, s39
	s_cmp_eq_u32 s68, s69
	v_add3_u32 v10, v10, v2, v9
	s_cbranch_scc0 .LBB3_42
; %bb.43:                               ;   in Loop: Header=BB3_9 Depth=1
	s_mov_b32 s6, s68
	s_andn2_b64 vcc, exec, s[56:57]
	s_cbranch_vccz .LBB3_47
	s_branch .LBB3_49
.LBB3_44:                               ;   in Loop: Header=BB3_9 Depth=1
                                        ; implicit-def: $vgpr10
	s_branch .LBB3_50
.LBB3_45:                               ;   in Loop: Header=BB3_9 Depth=1
	v_mov_b32_e32 v10, 0
	s_branch .LBB3_49
.LBB3_46:                               ;   in Loop: Header=BB3_9 Depth=1
	v_mov_b32_e32 v0, v12
	s_andn2_b64 vcc, exec, s[56:57]
	s_cbranch_vccnz .LBB3_49
.LBB3_47:                               ;   in Loop: Header=BB3_9 Depth=1
	s_lshl_b32 s4, s6, 2
	s_add_u32 s4, s44, s4
	s_addc_u32 s5, s45, 0
	s_mul_i32 s6, s6, 12
	s_add_u32 s6, s34, s6
	s_addc_u32 s7, s35, 0
	s_mov_b32 s16, s67
.LBB3_48:                               ;   Parent Loop BB3_9 Depth=1
                                        ; =>  This Inner Loop Header: Depth=2
	s_load_dwordx2 s[18:19], s[6:7], 0x4
	s_load_dword s17, s[6:7], 0xc
	s_load_dword s20, s[4:5], 0x0
	s_add_u32 s6, s6, 12
	s_addc_u32 s7, s7, 0
	s_waitcnt lgkmcnt(0)
	v_mul_hi_u32 v2, s19, v0
	v_add_u32_e32 v2, v0, v2
	v_lshrrev_b32_e32 v2, s17, v2
	s_add_u32 s4, s4, 4
	v_mul_lo_u32 v9, v2, s18
	s_addc_u32 s5, s5, 0
	s_add_i32 s16, s16, -1
	v_sub_u32_e32 v9, v0, v9
	s_cmp_lg_u32 s16, 0
	v_mov_b32_e32 v0, v2
	v_mad_u64_u32 v[10:11], s[18:19], v9, s20, v[10:11]
	s_cbranch_scc1 .LBB3_48
.LBB3_49:                               ;   in Loop: Header=BB3_9 Depth=1
	s_cbranch_execnz .LBB3_52
.LBB3_50:                               ;   in Loop: Header=BB3_9 Depth=1
	v_mul_hi_u32 v0, v12, s10
	v_add_u32_e32 v0, v0, v12
	v_lshrrev_b32_e32 v0, s11, v0
	v_mul_lo_u32 v2, v0, s9
	v_sub_u32_e32 v2, v12, v2
	s_andn2_b64 vcc, exec, s[46:47]
	v_mul_lo_u32 v10, v2, s50
	s_cbranch_vccnz .LBB3_52
; %bb.51:                               ;   in Loop: Header=BB3_9 Depth=1
	v_mul_hi_u32 v2, s8, v0
	v_add_u32_e32 v2, v0, v2
	v_lshrrev_b32_e32 v2, s14, v2
	v_mul_lo_u32 v2, v2, s12
	v_sub_u32_e32 v0, v0, v2
	v_mad_u64_u32 v[10:11], s[4:5], v0, s51, v[10:11]
.LBB3_52:                               ;   in Loop: Header=BB3_9 Depth=1
	v_mov_b32_e32 v0, v3
	v_cmp_le_u64_e32 vcc, s[30:31], v[0:1]
	s_and_saveexec_b64 s[4:5], vcc
	s_cbranch_execz .LBB3_54
; %bb.53:                               ;   in Loop: Header=BB3_9 Depth=1
	v_cvt_f32_u32_e32 v2, s30
	s_sub_i32 s6, 0, s30
	v_rcp_iflag_f32_e32 v2, v2
	v_mul_f32_e32 v2, 0x4f7ffffe, v2
	v_cvt_u32_f32_e32 v2, v2
	v_mul_lo_u32 v3, s6, v2
	v_mul_hi_u32 v3, v2, v3
	v_add_u32_e32 v2, v2, v3
	v_mul_hi_u32 v2, v0, v2
	v_mul_lo_u32 v2, v2, s30
	v_sub_u32_e32 v0, v0, v2
	v_subrev_u32_e32 v2, s30, v0
	v_cmp_le_u32_e32 vcc, s30, v0
	v_cndmask_b32_e32 v0, v0, v2, vcc
	v_subrev_u32_e32 v2, s30, v0
	v_cmp_le_u32_e32 vcc, s30, v0
	v_cndmask_b32_e32 v0, v0, v2, vcc
.LBB3_54:                               ;   in Loop: Header=BB3_9 Depth=1
	s_or_b64 exec, exec, s[4:5]
	v_add_u32_e32 v0, s48, v0
	global_store_byte v10, v0, s[28:29]
.LBB3_55:                               ;   in Loop: Header=BB3_9 Depth=1
	s_or_b64 exec, exec, s[2:3]
	v_mov_b32_e32 v0, s15
	v_add_co_u32_e32 v10, vcc, s13, v16
	v_addc_co_u32_e32 v11, vcc, v17, v0, vcc
	v_cmp_gt_i64_e32 vcc, s[24:25], v[10:11]
	s_and_saveexec_b64 s[2:3], vcc
	s_cbranch_execz .LBB3_73
; %bb.56:                               ;   in Loop: Header=BB3_9 Depth=1
	s_and_b64 vcc, exec, s[0:1]
	s_cbranch_vccnz .LBB3_62
; %bb.57:                               ;   in Loop: Header=BB3_9 Depth=1
	s_andn2_b64 vcc, exec, s[42:43]
	s_cbranch_vccnz .LBB3_63
; %bb.58:                               ;   in Loop: Header=BB3_9 Depth=1
	s_mov_b32 s6, 0
	s_andn2_b64 vcc, exec, s[52:53]
	v_mov_b32_e32 v2, 0
	s_cbranch_vccnz .LBB3_64
; %bb.59:                               ;   in Loop: Header=BB3_9 Depth=1
	s_mov_b32 s69, 0
	v_mov_b32_e32 v2, 0
	s_mov_b64 s[58:59], s[34:35]
	s_mov_b64 s[60:61], s[44:45]
	v_mov_b32_e32 v0, v10
.LBB3_60:                               ;   Parent Loop BB3_9 Depth=1
                                        ; =>  This Inner Loop Header: Depth=2
	s_load_dwordx8 s[16:23], s[58:59], 0x4
	s_load_dwordx4 s[4:7], s[58:59], 0x24
	s_load_dwordx4 s[36:39], s[60:61], 0x0
	s_add_u32 s58, s58, 48
	s_addc_u32 s59, s59, 0
	s_waitcnt lgkmcnt(0)
	v_mul_hi_u32 v3, s17, v0
	v_add_u32_e32 v3, v0, v3
	v_lshrrev_b32_e32 v3, s18, v3
	v_mul_lo_u32 v9, v3, s16
	v_mul_hi_u32 v11, s20, v3
	v_sub_u32_e32 v0, v0, v9
	v_add_u32_e32 v9, v3, v11
	v_lshrrev_b32_e32 v9, s21, v9
	v_mul_lo_u32 v11, v9, s19
	v_mul_hi_u32 v12, s23, v9
	v_sub_u32_e32 v3, v3, v11
	v_add_u32_e32 v11, v9, v12
	v_mul_lo_u32 v0, v0, s36
	v_mul_lo_u32 v3, v3, s37
	v_lshrrev_b32_e32 v11, s4, v11
	v_add3_u32 v2, v0, v2, v3
	v_mul_lo_u32 v0, v11, s22
	v_mul_hi_u32 v3, s6, v11
	v_sub_u32_e32 v0, v9, v0
	v_add_u32_e32 v3, v11, v3
	v_mul_lo_u32 v9, v0, s38
	v_lshrrev_b32_e32 v0, s7, v3
	s_add_i32 s69, s69, 4
	v_mul_lo_u32 v3, v0, s5
	s_add_u32 s60, s60, 16
	v_sub_u32_e32 v3, v11, v3
	s_addc_u32 s61, s61, 0
	v_mul_lo_u32 v3, v3, s39
	s_cmp_eq_u32 s68, s69
	v_add3_u32 v2, v9, v2, v3
	s_cbranch_scc0 .LBB3_60
; %bb.61:                               ;   in Loop: Header=BB3_9 Depth=1
	s_mov_b32 s6, s68
	s_andn2_b64 vcc, exec, s[56:57]
	s_cbranch_vccz .LBB3_65
	s_branch .LBB3_67
.LBB3_62:                               ;   in Loop: Header=BB3_9 Depth=1
                                        ; implicit-def: $vgpr2
	s_branch .LBB3_68
.LBB3_63:                               ;   in Loop: Header=BB3_9 Depth=1
	v_mov_b32_e32 v2, 0
	s_branch .LBB3_67
.LBB3_64:                               ;   in Loop: Header=BB3_9 Depth=1
	v_mov_b32_e32 v0, v10
	s_andn2_b64 vcc, exec, s[56:57]
	s_cbranch_vccnz .LBB3_67
.LBB3_65:                               ;   in Loop: Header=BB3_9 Depth=1
	s_lshl_b32 s4, s6, 2
	s_add_u32 s4, s44, s4
	s_addc_u32 s5, s45, 0
	s_mul_i32 s6, s6, 12
	s_add_u32 s6, s34, s6
	s_addc_u32 s7, s35, 0
	s_mov_b32 s16, s67
.LBB3_66:                               ;   Parent Loop BB3_9 Depth=1
                                        ; =>  This Inner Loop Header: Depth=2
	s_load_dwordx2 s[18:19], s[6:7], 0x4
	s_load_dword s17, s[6:7], 0xc
	s_load_dword s20, s[4:5], 0x0
	s_add_u32 s6, s6, 12
	s_addc_u32 s7, s7, 0
	s_waitcnt lgkmcnt(0)
	v_mul_hi_u32 v3, s19, v0
	v_add_u32_e32 v3, v0, v3
	v_lshrrev_b32_e32 v3, s17, v3
	s_add_u32 s4, s4, 4
	v_mul_lo_u32 v9, v3, s18
	s_addc_u32 s5, s5, 0
	s_add_i32 s16, s16, -1
	v_sub_u32_e32 v9, v0, v9
	s_cmp_lg_u32 s16, 0
	v_mov_b32_e32 v0, v3
	v_mad_u64_u32 v[2:3], s[18:19], v9, s20, v[2:3]
	s_cbranch_scc1 .LBB3_66
.LBB3_67:                               ;   in Loop: Header=BB3_9 Depth=1
	s_cbranch_execnz .LBB3_70
.LBB3_68:                               ;   in Loop: Header=BB3_9 Depth=1
	v_mul_hi_u32 v0, v10, s10
	v_add_u32_e32 v0, v0, v10
	v_lshrrev_b32_e32 v0, s11, v0
	v_mul_lo_u32 v2, v0, s9
	v_sub_u32_e32 v2, v10, v2
	s_andn2_b64 vcc, exec, s[46:47]
	v_mul_lo_u32 v2, v2, s50
	s_cbranch_vccnz .LBB3_70
; %bb.69:                               ;   in Loop: Header=BB3_9 Depth=1
	v_mul_hi_u32 v3, s8, v0
	v_add_u32_e32 v3, v0, v3
	v_lshrrev_b32_e32 v3, s14, v3
	v_mul_lo_u32 v3, v3, s12
	v_sub_u32_e32 v0, v0, v3
	v_mad_u64_u32 v[2:3], s[4:5], v0, s51, v[2:3]
.LBB3_70:                               ;   in Loop: Header=BB3_9 Depth=1
	v_mov_b32_e32 v0, v4
	v_cmp_le_u64_e32 vcc, s[30:31], v[0:1]
	s_and_saveexec_b64 s[4:5], vcc
	s_cbranch_execz .LBB3_72
; %bb.71:                               ;   in Loop: Header=BB3_9 Depth=1
	v_cvt_f32_u32_e32 v3, s30
	s_sub_i32 s6, 0, s30
	v_rcp_iflag_f32_e32 v3, v3
	v_mul_f32_e32 v3, 0x4f7ffffe, v3
	v_cvt_u32_f32_e32 v3, v3
	v_mul_lo_u32 v4, s6, v3
	v_mul_hi_u32 v4, v3, v4
	v_add_u32_e32 v3, v3, v4
	v_mul_hi_u32 v3, v0, v3
	v_mul_lo_u32 v3, v3, s30
	v_sub_u32_e32 v0, v0, v3
	v_subrev_u32_e32 v3, s30, v0
	v_cmp_le_u32_e32 vcc, s30, v0
	v_cndmask_b32_e32 v0, v0, v3, vcc
	v_subrev_u32_e32 v3, s30, v0
	v_cmp_le_u32_e32 vcc, s30, v0
	v_cndmask_b32_e32 v0, v0, v3, vcc
.LBB3_72:                               ;   in Loop: Header=BB3_9 Depth=1
	s_or_b64 exec, exec, s[4:5]
	v_add_u32_e32 v0, s48, v0
	global_store_byte v2, v0, s[28:29]
.LBB3_73:                               ;   in Loop: Header=BB3_9 Depth=1
	s_or_b64 exec, exec, s[2:3]
	v_mov_b32_e32 v0, s66
	v_add_co_u32_e32 v10, vcc, s49, v16
	v_addc_co_u32_e32 v11, vcc, v17, v0, vcc
	v_cmp_gt_i64_e32 vcc, s[24:25], v[10:11]
	s_and_saveexec_b64 s[36:37], vcc
	s_cbranch_execz .LBB3_8
; %bb.74:                               ;   in Loop: Header=BB3_9 Depth=1
	s_and_b64 vcc, exec, s[0:1]
	s_cbranch_vccnz .LBB3_80
; %bb.75:                               ;   in Loop: Header=BB3_9 Depth=1
	s_andn2_b64 vcc, exec, s[42:43]
	s_cbranch_vccnz .LBB3_81
; %bb.76:                               ;   in Loop: Header=BB3_9 Depth=1
	s_mov_b32 s2, 0
	s_andn2_b64 vcc, exec, s[52:53]
	v_mov_b32_e32 v2, 0
	s_cbranch_vccnz .LBB3_82
; %bb.77:                               ;   in Loop: Header=BB3_9 Depth=1
	s_mov_b32 s60, 0
	v_mov_b32_e32 v2, 0
	s_mov_b64 s[38:39], s[34:35]
	s_mov_b64 s[58:59], s[44:45]
	v_mov_b32_e32 v0, v10
.LBB3_78:                               ;   Parent Loop BB3_9 Depth=1
                                        ; =>  This Inner Loop Header: Depth=2
	s_load_dwordx8 s[0:7], s[38:39], 0x4
	s_load_dwordx4 s[16:19], s[38:39], 0x24
	s_load_dwordx4 s[20:23], s[58:59], 0x0
	s_add_u32 s38, s38, 48
	s_addc_u32 s39, s39, 0
	s_waitcnt lgkmcnt(0)
	v_mul_hi_u32 v3, s1, v0
	v_add_u32_e32 v3, v0, v3
	v_lshrrev_b32_e32 v3, s2, v3
	v_mul_lo_u32 v4, v3, s0
	v_mul_hi_u32 v9, s4, v3
	v_sub_u32_e32 v0, v0, v4
	v_add_u32_e32 v4, v3, v9
	v_lshrrev_b32_e32 v4, s5, v4
	v_mul_lo_u32 v9, v4, s3
	v_mul_hi_u32 v11, s7, v4
	v_sub_u32_e32 v3, v3, v9
	v_add_u32_e32 v9, v4, v11
	v_mul_lo_u32 v0, v0, s20
	v_mul_lo_u32 v3, v3, s21
	v_lshrrev_b32_e32 v9, s16, v9
	v_add3_u32 v2, v0, v2, v3
	v_mul_lo_u32 v0, v9, s6
	v_mul_hi_u32 v3, s18, v9
	v_sub_u32_e32 v0, v4, v0
	v_add_u32_e32 v3, v9, v3
	v_mul_lo_u32 v4, v0, s22
	v_lshrrev_b32_e32 v0, s19, v3
	s_add_i32 s60, s60, 4
	v_mul_lo_u32 v3, v0, s17
	s_add_u32 s58, s58, 16
	v_sub_u32_e32 v3, v9, v3
	s_addc_u32 s59, s59, 0
	v_mul_lo_u32 v3, v3, s23
	s_cmp_eq_u32 s68, s60
	v_add3_u32 v2, v4, v2, v3
	s_cbranch_scc0 .LBB3_78
; %bb.79:                               ;   in Loop: Header=BB3_9 Depth=1
	s_mov_b32 s2, s68
	s_andn2_b64 vcc, exec, s[56:57]
	s_cbranch_vccz .LBB3_83
	s_branch .LBB3_85
.LBB3_80:                               ;   in Loop: Header=BB3_9 Depth=1
                                        ; implicit-def: $vgpr2
	s_branch .LBB3_86
.LBB3_81:                               ;   in Loop: Header=BB3_9 Depth=1
	v_mov_b32_e32 v2, 0
	s_branch .LBB3_85
.LBB3_82:                               ;   in Loop: Header=BB3_9 Depth=1
	v_mov_b32_e32 v0, v10
	s_andn2_b64 vcc, exec, s[56:57]
	s_cbranch_vccnz .LBB3_85
.LBB3_83:                               ;   in Loop: Header=BB3_9 Depth=1
	s_lshl_b32 s0, s2, 2
	s_add_u32 s0, s44, s0
	s_addc_u32 s1, s45, 0
	s_mul_i32 s2, s2, 12
	s_add_u32 s2, s34, s2
	s_addc_u32 s3, s35, 0
	s_mov_b32 s4, s67
.LBB3_84:                               ;   Parent Loop BB3_9 Depth=1
                                        ; =>  This Inner Loop Header: Depth=2
	s_load_dwordx2 s[6:7], s[2:3], 0x4
	s_load_dword s5, s[2:3], 0xc
	s_load_dword s16, s[0:1], 0x0
	s_add_u32 s2, s2, 12
	s_addc_u32 s3, s3, 0
	s_waitcnt lgkmcnt(0)
	v_mul_hi_u32 v3, s7, v0
	v_add_u32_e32 v3, v0, v3
	v_lshrrev_b32_e32 v3, s5, v3
	s_add_u32 s0, s0, 4
	v_mul_lo_u32 v4, v3, s6
	s_addc_u32 s1, s1, 0
	s_add_i32 s4, s4, -1
	v_sub_u32_e32 v4, v0, v4
	s_cmp_lg_u32 s4, 0
	v_mov_b32_e32 v0, v3
	v_mad_u64_u32 v[2:3], s[6:7], v4, s16, v[2:3]
	s_cbranch_scc1 .LBB3_84
.LBB3_85:                               ;   in Loop: Header=BB3_9 Depth=1
	s_cbranch_execnz .LBB3_88
.LBB3_86:                               ;   in Loop: Header=BB3_9 Depth=1
	v_mul_hi_u32 v0, v10, s10
	v_add_u32_e32 v0, v0, v10
	v_lshrrev_b32_e32 v0, s11, v0
	v_mul_lo_u32 v2, v0, s9
	v_sub_u32_e32 v2, v10, v2
	s_andn2_b64 vcc, exec, s[46:47]
	v_mul_lo_u32 v2, v2, s50
	s_cbranch_vccnz .LBB3_88
; %bb.87:                               ;   in Loop: Header=BB3_9 Depth=1
	v_mul_hi_u32 v3, s8, v0
	v_add_u32_e32 v3, v0, v3
	v_lshrrev_b32_e32 v3, s14, v3
	v_mul_lo_u32 v3, v3, s12
	v_sub_u32_e32 v0, v0, v3
	v_mad_u64_u32 v[2:3], s[0:1], v0, s51, v[2:3]
.LBB3_88:                               ;   in Loop: Header=BB3_9 Depth=1
	v_mov_b32_e32 v0, v5
	v_cmp_le_u64_e32 vcc, s[30:31], v[0:1]
	s_and_saveexec_b64 s[0:1], vcc
	s_cbranch_execz .LBB3_7
; %bb.89:                               ;   in Loop: Header=BB3_9 Depth=1
	v_cvt_f32_u32_e32 v3, s30
	s_sub_i32 s2, 0, s30
	v_rcp_iflag_f32_e32 v3, v3
	v_mul_f32_e32 v3, 0x4f7ffffe, v3
	v_cvt_u32_f32_e32 v3, v3
	v_mul_lo_u32 v4, s2, v3
	v_mul_hi_u32 v4, v3, v4
	v_add_u32_e32 v3, v3, v4
	v_mul_hi_u32 v3, v0, v3
	v_mul_lo_u32 v3, v3, s30
	v_sub_u32_e32 v0, v0, v3
	v_subrev_u32_e32 v3, s30, v0
	v_cmp_le_u32_e32 vcc, s30, v0
	v_cndmask_b32_e32 v0, v0, v3, vcc
	v_subrev_u32_e32 v3, s30, v0
	v_cmp_le_u32_e32 vcc, s30, v0
	v_cndmask_b32_e32 v0, v0, v3, vcc
	s_branch .LBB3_7
.LBB3_90:
	s_endpgm
.LBB3_91:
                                        ; implicit-def: $sgpr2_sgpr3
	s_andn2_b64 vcc, exec, s[0:1]
	s_cbranch_vccz .LBB3_4
	s_branch .LBB3_5
	.section	.rodata,"a",@progbits
	.p2align	6, 0x0
	.amdhsa_kernel _ZN2at6native12_GLOBAL__N_143distribution_elementwise_grid_stride_kernelIjLi4EZZZNS0_9templates4cuda21random_from_to_kernelIPNS_17CUDAGeneratorImplEEEvRNS_18TensorIteratorBaseEmlT_ENKUlvE_clEvENKUlvE_clEvEUlP25hiprandStatePhilox4_32_10E0_ZNS1_27distribution_nullary_kernelIhj15HIP_vector_typeIjLj4EES7_SF_ZZZNS5_IS7_EEvS9_mlSA_ENKSB_clEvENKSC_clEvEUljE_EEvS9_T2_RKT3_T4_EUlijE0_EEvlNS_15PhiloxCudaStateET1_SK_
		.amdhsa_group_segment_fixed_size 0
		.amdhsa_private_segment_fixed_size 0
		.amdhsa_kernarg_size 592
		.amdhsa_user_sgpr_count 6
		.amdhsa_user_sgpr_private_segment_buffer 1
		.amdhsa_user_sgpr_dispatch_ptr 0
		.amdhsa_user_sgpr_queue_ptr 0
		.amdhsa_user_sgpr_kernarg_segment_ptr 1
		.amdhsa_user_sgpr_dispatch_id 0
		.amdhsa_user_sgpr_flat_scratch_init 0
		.amdhsa_user_sgpr_kernarg_preload_length 0
		.amdhsa_user_sgpr_kernarg_preload_offset 0
		.amdhsa_user_sgpr_private_segment_size 0
		.amdhsa_uses_dynamic_stack 0
		.amdhsa_system_sgpr_private_segment_wavefront_offset 0
		.amdhsa_system_sgpr_workgroup_id_x 1
		.amdhsa_system_sgpr_workgroup_id_y 0
		.amdhsa_system_sgpr_workgroup_id_z 0
		.amdhsa_system_sgpr_workgroup_info 0
		.amdhsa_system_vgpr_workitem_id 0
		.amdhsa_next_free_vgpr 43
		.amdhsa_next_free_sgpr 70
		.amdhsa_accum_offset 44
		.amdhsa_reserve_vcc 1
		.amdhsa_reserve_flat_scratch 0
		.amdhsa_float_round_mode_32 0
		.amdhsa_float_round_mode_16_64 0
		.amdhsa_float_denorm_mode_32 3
		.amdhsa_float_denorm_mode_16_64 3
		.amdhsa_dx10_clamp 1
		.amdhsa_ieee_mode 1
		.amdhsa_fp16_overflow 0
		.amdhsa_tg_split 0
		.amdhsa_exception_fp_ieee_invalid_op 0
		.amdhsa_exception_fp_denorm_src 0
		.amdhsa_exception_fp_ieee_div_zero 0
		.amdhsa_exception_fp_ieee_overflow 0
		.amdhsa_exception_fp_ieee_underflow 0
		.amdhsa_exception_fp_ieee_inexact 0
		.amdhsa_exception_int_div_zero 0
	.end_amdhsa_kernel
	.section	.text._ZN2at6native12_GLOBAL__N_143distribution_elementwise_grid_stride_kernelIjLi4EZZZNS0_9templates4cuda21random_from_to_kernelIPNS_17CUDAGeneratorImplEEEvRNS_18TensorIteratorBaseEmlT_ENKUlvE_clEvENKUlvE_clEvEUlP25hiprandStatePhilox4_32_10E0_ZNS1_27distribution_nullary_kernelIhj15HIP_vector_typeIjLj4EES7_SF_ZZZNS5_IS7_EEvS9_mlSA_ENKSB_clEvENKSC_clEvEUljE_EEvS9_T2_RKT3_T4_EUlijE0_EEvlNS_15PhiloxCudaStateET1_SK_,"axG",@progbits,_ZN2at6native12_GLOBAL__N_143distribution_elementwise_grid_stride_kernelIjLi4EZZZNS0_9templates4cuda21random_from_to_kernelIPNS_17CUDAGeneratorImplEEEvRNS_18TensorIteratorBaseEmlT_ENKUlvE_clEvENKUlvE_clEvEUlP25hiprandStatePhilox4_32_10E0_ZNS1_27distribution_nullary_kernelIhj15HIP_vector_typeIjLj4EES7_SF_ZZZNS5_IS7_EEvS9_mlSA_ENKSB_clEvENKSC_clEvEUljE_EEvS9_T2_RKT3_T4_EUlijE0_EEvlNS_15PhiloxCudaStateET1_SK_,comdat
.Lfunc_end3:
	.size	_ZN2at6native12_GLOBAL__N_143distribution_elementwise_grid_stride_kernelIjLi4EZZZNS0_9templates4cuda21random_from_to_kernelIPNS_17CUDAGeneratorImplEEEvRNS_18TensorIteratorBaseEmlT_ENKUlvE_clEvENKUlvE_clEvEUlP25hiprandStatePhilox4_32_10E0_ZNS1_27distribution_nullary_kernelIhj15HIP_vector_typeIjLj4EES7_SF_ZZZNS5_IS7_EEvS9_mlSA_ENKSB_clEvENKSC_clEvEUljE_EEvS9_T2_RKT3_T4_EUlijE0_EEvlNS_15PhiloxCudaStateET1_SK_, .Lfunc_end3-_ZN2at6native12_GLOBAL__N_143distribution_elementwise_grid_stride_kernelIjLi4EZZZNS0_9templates4cuda21random_from_to_kernelIPNS_17CUDAGeneratorImplEEEvRNS_18TensorIteratorBaseEmlT_ENKUlvE_clEvENKUlvE_clEvEUlP25hiprandStatePhilox4_32_10E0_ZNS1_27distribution_nullary_kernelIhj15HIP_vector_typeIjLj4EES7_SF_ZZZNS5_IS7_EEvS9_mlSA_ENKSB_clEvENKSC_clEvEUljE_EEvS9_T2_RKT3_T4_EUlijE0_EEvlNS_15PhiloxCudaStateET1_SK_
                                        ; -- End function
	.section	.AMDGPU.csdata,"",@progbits
; Kernel info:
; codeLenInByte = 4756
; NumSgprs: 74
; NumVgprs: 43
; NumAgprs: 0
; TotalNumVgprs: 43
; ScratchSize: 0
; MemoryBound: 0
; FloatMode: 240
; IeeeMode: 1
; LDSByteSize: 0 bytes/workgroup (compile time only)
; SGPRBlocks: 9
; VGPRBlocks: 5
; NumSGPRsForWavesPerEU: 74
; NumVGPRsForWavesPerEU: 43
; AccumOffset: 44
; Occupancy: 8
; WaveLimiterHint : 1
; COMPUTE_PGM_RSRC2:SCRATCH_EN: 0
; COMPUTE_PGM_RSRC2:USER_SGPR: 6
; COMPUTE_PGM_RSRC2:TRAP_HANDLER: 0
; COMPUTE_PGM_RSRC2:TGID_X_EN: 1
; COMPUTE_PGM_RSRC2:TGID_Y_EN: 0
; COMPUTE_PGM_RSRC2:TGID_Z_EN: 0
; COMPUTE_PGM_RSRC2:TIDIG_COMP_CNT: 0
; COMPUTE_PGM_RSRC3_GFX90A:ACCUM_OFFSET: 10
; COMPUTE_PGM_RSRC3_GFX90A:TG_SPLIT: 0
	.section	.text._ZN2at6native12_GLOBAL__N_143distribution_elementwise_grid_stride_kernelImLi2EZZZNS0_9templates4cuda21random_from_to_kernelIPNS_17CUDAGeneratorImplEEEvRNS_18TensorIteratorBaseEmlT_ENKUlvE_clEvENKUlvE0_clEvEUlP25hiprandStatePhilox4_32_10E_ZNS1_27distribution_nullary_kernelIam15HIP_vector_typeIyLj2EES7_SF_ZZZNS5_IS7_EEvS9_mlSA_ENKSB_clEvENKSC_clEvEUlmE_EEvS9_T2_RKT3_T4_EUlimE_EEvlNS_15PhiloxCudaStateET1_SK_,"axG",@progbits,_ZN2at6native12_GLOBAL__N_143distribution_elementwise_grid_stride_kernelImLi2EZZZNS0_9templates4cuda21random_from_to_kernelIPNS_17CUDAGeneratorImplEEEvRNS_18TensorIteratorBaseEmlT_ENKUlvE_clEvENKUlvE0_clEvEUlP25hiprandStatePhilox4_32_10E_ZNS1_27distribution_nullary_kernelIam15HIP_vector_typeIyLj2EES7_SF_ZZZNS5_IS7_EEvS9_mlSA_ENKSB_clEvENKSC_clEvEUlmE_EEvS9_T2_RKT3_T4_EUlimE_EEvlNS_15PhiloxCudaStateET1_SK_,comdat
	.globl	_ZN2at6native12_GLOBAL__N_143distribution_elementwise_grid_stride_kernelImLi2EZZZNS0_9templates4cuda21random_from_to_kernelIPNS_17CUDAGeneratorImplEEEvRNS_18TensorIteratorBaseEmlT_ENKUlvE_clEvENKUlvE0_clEvEUlP25hiprandStatePhilox4_32_10E_ZNS1_27distribution_nullary_kernelIam15HIP_vector_typeIyLj2EES7_SF_ZZZNS5_IS7_EEvS9_mlSA_ENKSB_clEvENKSC_clEvEUlmE_EEvS9_T2_RKT3_T4_EUlimE_EEvlNS_15PhiloxCudaStateET1_SK_ ; -- Begin function _ZN2at6native12_GLOBAL__N_143distribution_elementwise_grid_stride_kernelImLi2EZZZNS0_9templates4cuda21random_from_to_kernelIPNS_17CUDAGeneratorImplEEEvRNS_18TensorIteratorBaseEmlT_ENKUlvE_clEvENKUlvE0_clEvEUlP25hiprandStatePhilox4_32_10E_ZNS1_27distribution_nullary_kernelIam15HIP_vector_typeIyLj2EES7_SF_ZZZNS5_IS7_EEvS9_mlSA_ENKSB_clEvENKSC_clEvEUlmE_EEvS9_T2_RKT3_T4_EUlimE_EEvlNS_15PhiloxCudaStateET1_SK_
	.p2align	8
	.type	_ZN2at6native12_GLOBAL__N_143distribution_elementwise_grid_stride_kernelImLi2EZZZNS0_9templates4cuda21random_from_to_kernelIPNS_17CUDAGeneratorImplEEEvRNS_18TensorIteratorBaseEmlT_ENKUlvE_clEvENKUlvE0_clEvEUlP25hiprandStatePhilox4_32_10E_ZNS1_27distribution_nullary_kernelIam15HIP_vector_typeIyLj2EES7_SF_ZZZNS5_IS7_EEvS9_mlSA_ENKSB_clEvENKSC_clEvEUlmE_EEvS9_T2_RKT3_T4_EUlimE_EEvlNS_15PhiloxCudaStateET1_SK_,@function
_ZN2at6native12_GLOBAL__N_143distribution_elementwise_grid_stride_kernelImLi2EZZZNS0_9templates4cuda21random_from_to_kernelIPNS_17CUDAGeneratorImplEEEvRNS_18TensorIteratorBaseEmlT_ENKUlvE_clEvENKUlvE0_clEvEUlP25hiprandStatePhilox4_32_10E_ZNS1_27distribution_nullary_kernelIam15HIP_vector_typeIyLj2EES7_SF_ZZZNS5_IS7_EEvS9_mlSA_ENKSB_clEvENKSC_clEvEUlmE_EEvS9_T2_RKT3_T4_EUlimE_EEvlNS_15PhiloxCudaStateET1_SK_: ; @_ZN2at6native12_GLOBAL__N_143distribution_elementwise_grid_stride_kernelImLi2EZZZNS0_9templates4cuda21random_from_to_kernelIPNS_17CUDAGeneratorImplEEEvRNS_18TensorIteratorBaseEmlT_ENKUlvE_clEvENKUlvE0_clEvEUlP25hiprandStatePhilox4_32_10E_ZNS1_27distribution_nullary_kernelIam15HIP_vector_typeIyLj2EES7_SF_ZZZNS5_IS7_EEvS9_mlSA_ENKSB_clEvENKSC_clEvEUlmE_EEvS9_T2_RKT3_T4_EUlimE_EEvlNS_15PhiloxCudaStateET1_SK_
; %bb.0:
	s_load_dword s2, s[4:5], 0x20
	s_load_dwordx2 s[0:1], s[4:5], 0x10
	s_load_dwordx4 s[8:11], s[4:5], 0x0
	s_waitcnt lgkmcnt(0)
	s_bitcmp0_b32 s2, 0
	s_mov_b32 s2, 0
	v_pk_mov_b32 v[2:3], s[0:1], s[0:1] op_sel:[0,1]
	v_pk_mov_b32 v[14:15], s[10:11], s[10:11] op_sel:[0,1]
	s_cbranch_scc1 .LBB4_2
; %bb.1:
	v_pk_mov_b32 v[2:3], s[0:1], s[0:1] op_sel:[0,1]
	flat_load_dwordx2 v[2:3], v[2:3]
	v_pk_mov_b32 v[4:5], s[10:11], s[10:11] op_sel:[0,1]
	flat_load_dwordx2 v[14:15], v[4:5]
	s_load_dwordx2 s[0:1], s[4:5], 0x18
	s_waitcnt lgkmcnt(0)
	v_mov_b32_e32 v1, s1
	s_waitcnt vmcnt(0)
	v_add_co_u32_e32 v2, vcc, s0, v2
	v_addc_co_u32_e32 v3, vcc, v3, v1, vcc
.LBB4_2:
	s_load_dword s0, s[4:5], 0x5c
	s_load_dword s16, s[4:5], 0x50
	s_waitcnt lgkmcnt(0)
	s_and_b32 s7, s0, 0xffff
	s_add_u32 s10, s8, -1
	s_mul_i32 s18, s16, s7
	s_addc_u32 s3, s9, -1
	s_lshl_b32 s19, s18, 1
	s_cmp_lg_u64 s[2:3], 0
	s_mov_b64 s[0:1], -1
	s_cbranch_scc0 .LBB4_31
; %bb.3:
	v_cvt_f32_u32_e32 v1, s19
	v_cvt_f32_ubyte0_e32 v4, 0
	s_sub_u32 s2, 0, s19
	s_subb_u32 s11, 0, 0
	v_madmk_f32 v1, v4, 0x4f800000, v1
	v_rcp_f32_e32 v1, v1
	v_mul_f32_e32 v1, 0x5f7ffffc, v1
	v_mul_f32_e32 v4, 0x2f800000, v1
	v_trunc_f32_e32 v4, v4
	v_madmk_f32 v1, v4, 0xcf800000, v1
	v_cvt_u32_f32_e32 v4, v4
	v_cvt_u32_f32_e32 v1, v1
	v_readfirstlane_b32 s12, v4
	v_readfirstlane_b32 s13, v1
	s_mul_i32 s14, s2, s12
	s_mul_hi_u32 s17, s2, s13
	s_mul_i32 s15, s11, s13
	s_add_i32 s14, s17, s14
	s_add_i32 s14, s14, s15
	s_mul_i32 s20, s2, s13
	s_mul_hi_u32 s15, s13, s14
	s_mul_i32 s17, s13, s14
	s_mul_hi_u32 s13, s13, s20
	s_add_u32 s13, s13, s17
	s_addc_u32 s15, 0, s15
	s_mul_hi_u32 s21, s12, s20
	s_mul_i32 s20, s12, s20
	s_add_u32 s13, s13, s20
	s_mul_hi_u32 s17, s12, s14
	s_addc_u32 s13, s15, s21
	s_addc_u32 s15, s17, 0
	s_mul_i32 s14, s12, s14
	s_add_u32 s13, s13, s14
	s_addc_u32 s14, 0, s15
	v_add_co_u32_e32 v1, vcc, s13, v1
	s_cmp_lg_u64 vcc, 0
	s_addc_u32 s12, s12, s14
	v_readfirstlane_b32 s14, v1
	s_mul_i32 s13, s2, s12
	s_mul_hi_u32 s15, s2, s14
	s_add_i32 s13, s15, s13
	s_mul_i32 s11, s11, s14
	s_add_i32 s13, s13, s11
	s_mul_i32 s2, s2, s14
	s_mul_hi_u32 s15, s12, s2
	s_mul_i32 s17, s12, s2
	s_mul_i32 s21, s14, s13
	s_mul_hi_u32 s2, s14, s2
	s_mul_hi_u32 s20, s14, s13
	s_add_u32 s2, s2, s21
	s_addc_u32 s14, 0, s20
	s_add_u32 s2, s2, s17
	s_mul_hi_u32 s11, s12, s13
	s_addc_u32 s2, s14, s15
	s_addc_u32 s11, s11, 0
	s_mul_i32 s13, s12, s13
	s_add_u32 s2, s2, s13
	s_addc_u32 s11, 0, s11
	v_add_co_u32_e32 v1, vcc, s2, v1
	s_cmp_lg_u64 vcc, 0
	s_addc_u32 s11, s12, s11
	s_ashr_i32 s12, s3, 31
	s_add_u32 s2, s10, s12
	s_mov_b32 s13, s12
	s_addc_u32 s3, s3, s12
	s_xor_b64 s[2:3], s[2:3], s[12:13]
	v_readfirstlane_b32 s17, v1
	s_mul_i32 s15, s2, s11
	s_mul_hi_u32 s20, s2, s17
	s_mul_hi_u32 s14, s2, s11
	s_add_u32 s15, s20, s15
	s_addc_u32 s14, 0, s14
	s_mul_hi_u32 s21, s3, s17
	s_mul_i32 s17, s3, s17
	s_add_u32 s15, s15, s17
	s_mul_hi_u32 s20, s3, s11
	s_addc_u32 s14, s14, s21
	s_addc_u32 s15, s20, 0
	s_mul_i32 s11, s3, s11
	s_add_u32 s11, s14, s11
	s_addc_u32 s14, 0, s15
	s_add_u32 s15, s11, 1
	s_addc_u32 s17, s14, 0
	s_add_u32 s20, s11, 2
	s_mul_i32 s22, s19, s14
	s_mul_hi_u32 s23, s19, s11
	s_addc_u32 s21, s14, 0
	s_add_i32 s23, s23, s22
	s_mul_i32 s22, s19, s11
	v_mov_b32_e32 v1, s22
	v_sub_co_u32_e32 v1, vcc, s2, v1
	s_cmp_lg_u64 vcc, 0
	s_subb_u32 s2, s3, s23
	v_subrev_co_u32_e32 v4, vcc, s19, v1
	s_cmp_lg_u64 vcc, 0
	s_subb_u32 s3, s2, 0
	v_readfirstlane_b32 s22, v4
	s_cmp_ge_u32 s22, s19
	s_cselect_b32 s22, -1, 0
	s_cmp_eq_u32 s3, 0
	s_cselect_b32 s3, s22, -1
	s_cmp_lg_u32 s3, 0
	s_cselect_b32 s3, s21, s17
	v_readfirstlane_b32 s17, v1
	s_cselect_b32 s15, s20, s15
	s_cmp_ge_u32 s17, s19
	s_cselect_b32 s17, -1, 0
	s_cmp_eq_u32 s2, 0
	s_cselect_b32 s2, s17, -1
	s_cmp_lg_u32 s2, 0
	s_cselect_b32 s3, s3, s14
	s_cselect_b32 s2, s15, s11
	s_xor_b64 s[2:3], s[2:3], s[12:13]
	s_sub_u32 s2, s2, s12
	s_subb_u32 s3, s3, s12
	s_cbranch_execnz .LBB4_5
.LBB4_4:
	v_cvt_f32_u32_e32 v1, s19
	s_sub_i32 s0, 0, s19
	s_mov_b32 s3, 0
	v_rcp_iflag_f32_e32 v1, v1
	v_mul_f32_e32 v1, 0x4f7ffffe, v1
	v_cvt_u32_f32_e32 v1, v1
	v_readfirstlane_b32 s1, v1
	s_mul_i32 s0, s0, s1
	s_mul_hi_u32 s0, s1, s0
	s_add_i32 s1, s1, s0
	s_mul_hi_u32 s0, s10, s1
	s_mul_i32 s2, s0, s19
	s_sub_i32 s2, s10, s2
	s_add_i32 s1, s0, 1
	s_sub_i32 s10, s2, s19
	s_cmp_ge_u32 s2, s19
	s_cselect_b32 s0, s1, s0
	s_cselect_b32 s2, s10, s2
	s_add_i32 s1, s0, 1
	s_cmp_ge_u32 s2, s19
	s_cselect_b32 s2, s1, s0
.LBB4_5:
	v_mov_b32_e32 v16, 0
	v_mov_b32_e32 v1, v16
	;; [unrolled: 1-line block ×3, first 2 shown]
	v_mad_u64_u32 v[18:19], s[0:1], s7, v4, v[0:1]
	s_add_u32 s0, s2, 1
	s_addc_u32 s1, s3, 0
	s_mul_hi_u32 s2, s16, s7
	s_mul_i32 s1, s18, s1
	s_mul_hi_u32 s3, s18, s0
	s_add_i32 s1, s3, s1
	s_mul_i32 s2, s2, s0
	s_add_i32 s1, s1, s2
	s_mul_i32 s0, s18, s0
	s_lshl_b64 s[2:3], s[0:1], 1
	v_cmp_gt_i64_e32 vcc, s[2:3], v[18:19]
	s_and_saveexec_b64 s[0:1], vcc
	s_cbranch_execz .LBB4_30
; %bb.6:
	v_mov_b32_e32 v4, v15
	s_mov_b32 s0, 0xdb3d7428
	v_add_co_u32_e32 v23, vcc, s0, v4
	s_mov_b32 s0, 0x5384540f
	v_add_co_u32_e32 v24, vcc, s0, v14
	;; [unrolled: 2-line block ×7, first 2 shown]
	s_mov_b32 s0, 0x9e3779b9
	v_alignbit_b32 v31, v3, v2, 2
	s_mov_b32 s20, 0xd2511f53
	v_add_co_u32_e32 v30, vcc, s0, v14
	v_mad_u64_u32 v[6:7], s[0:1], v31, s20, 0
	v_xor_b32_e32 v1, v7, v15
	v_xor_b32_e32 v1, v1, v19
	s_mov_b32 s21, 0xcd9e8d57
	v_mad_u64_u32 v[8:9], s[0:1], v1, s21, 0
	v_xor_b32_e32 v1, v30, v9
	v_mad_u64_u32 v[10:11], s[0:1], v18, s21, 0
	v_and_b32_e32 v20, 3, v2
	v_xor_b32_e32 v1, v1, v10
	v_xor_b32_e32 v2, v14, v11
	v_lshrrev_b32_e32 v32, 2, v3
	v_mad_u64_u32 v[12:13], s[0:1], v1, s20, 0
	v_xor_b32_e32 v2, v2, v32
	v_xor_b32_e32 v1, v29, v13
	v_mad_u64_u32 v[2:3], s[0:1], v2, s20, 0
	v_xor_b32_e32 v1, v1, v2
	v_mad_u64_u32 v[10:11], s[0:1], v1, s21, 0
	s_mov_b32 s0, 0xbb67ae85
	v_add_co_u32_e32 v33, vcc, s0, v4
	v_xor_b32_e32 v2, v33, v3
	v_xor_b32_e32 v2, v2, v6
	v_xor_b32_e32 v1, v28, v11
	v_mad_u64_u32 v[2:3], s[0:1], v2, s21, 0
	v_xor_b32_e32 v1, v1, v2
	v_mad_u64_u32 v[6:7], s[0:1], v1, s20, 0
	s_mov_b32 s0, 0x3c6ef372
	v_add_co_u32_e32 v34, vcc, s0, v14
	v_xor_b32_e32 v2, v34, v3
	;; [unrolled: 8-line block ×7, first 2 shown]
	v_xor_b32_e32 v1, v1, v12
	v_mad_u64_u32 v[2:3], s[0:1], v1, s21, 0
	s_mov_b32 s0, 0xf1bbcdc8
	v_add_u32_e32 v21, 0x8ff34781, v14
	v_xor_b32_e32 v1, v9, v2
	v_add_co_u32_e32 v40, vcc, s0, v14
	s_load_dwordx2 s[10:11], s[4:5], 0x30
	s_load_dword s17, s[4:5], 0x38
	s_load_dwordx4 s[12:15], s[4:5], 0x40
	v_xor_b32_e32 v2, v21, v1
	v_xor_b32_e32 v1, v40, v3
	v_xor_b32_e32 v1, v1, v10
	v_mad_u64_u32 v[10:11], s[0:1], v1, s20, 0
	v_add_u32_e32 v22, 0x96a522ad, v15
	v_xor_b32_e32 v1, v11, v6
	s_mul_i32 s0, s6, s7
	v_xor_b32_e32 v4, v22, v1
	v_add_u32_e32 v1, s0, v0
	s_waitcnt lgkmcnt(0)
	s_mul_i32 s0, s16, s17
	s_mul_i32 s0, s0, s7
	s_lshl_b32 s22, s0, 1
	s_add_i32 s0, s6, s16
	s_mul_i32 s0, s0, s7
	s_mov_b32 s15, 0
	v_add_u32_e32 v0, s0, v0
	v_mov_b32_e32 v3, v8
	v_mov_b32_e32 v5, v10
	v_mul_lo_u32 v41, s17, v1
	v_mul_lo_u32 v42, s17, v0
	s_mov_b64 s[4:5], 0
	s_mov_b32 s23, s15
	v_mov_b32_e32 v43, v18
	v_mov_b32_e32 v44, v19
	s_branch .LBB4_9
.LBB4_7:                                ;   in Loop: Header=BB4_9 Depth=1
	s_or_b64 exec, exec, s[0:1]
	v_add_u32_e32 v1, s23, v42
	v_ashrrev_i32_e32 v3, 31, v1
	v_mov_b32_e32 v4, s11
	v_add_co_u32_e32 v2, vcc, s10, v1
	v_addc_co_u32_e32 v3, vcc, v4, v3, vcc
	v_add_u32_e32 v1, s14, v10
	global_store_byte v[2:3], v1, off
.LBB4_8:                                ;   in Loop: Header=BB4_9 Depth=1
	s_or_b64 exec, exec, s[6:7]
	v_add_co_u32_e32 v18, vcc, s19, v18
	v_addc_co_u32_e32 v19, vcc, 0, v19, vcc
	v_mov_b32_e32 v9, v0
	s_add_i32 s23, s23, s22
	v_cmp_le_i64_e32 vcc, s[2:3], v[18:19]
	v_pk_mov_b32 v[2:3], v[6:7], v[6:7] op_sel:[0,1]
	s_or_b64 s[4:5], vcc, s[4:5]
	v_pk_mov_b32 v[4:5], v[8:9], v[8:9] op_sel:[0,1]
	s_barrier
	s_andn2_b64 exec, exec, s[4:5]
	s_cbranch_execz .LBB4_30
.LBB4_9:                                ; =>This Inner Loop Header: Depth=1
	v_add_co_u32_e32 v31, vcc, 1, v31
	v_cndmask_b32_e64 v0, 0, 1, vcc
	v_addc_co_u32_e32 v32, vcc, 0, v32, vcc
	v_cmp_eq_u32_e32 vcc, 0, v32
	v_cndmask_b32_e32 v0, 0, v0, vcc
	v_add_u32_e32 v43, v0, v43
	v_cmp_eq_u32_e32 vcc, 0, v43
	v_cndmask_b32_e32 v0, 0, v0, vcc
	v_add_u32_e32 v44, v0, v44
	v_mad_u64_u32 v[0:1], s[0:1], v31, s20, 0
	v_mad_u64_u32 v[6:7], s[0:1], v43, s21, 0
	v_xor_b32_e32 v1, v1, v15
	v_xor_b32_e32 v7, v7, v14
	v_xor_b32_e32 v1, v44, v1
	v_xor_b32_e32 v7, v32, v7
	v_mad_u64_u32 v[10:11], s[0:1], v1, s21, 0
	v_mad_u64_u32 v[8:9], s[0:1], v7, s20, 0
	v_xor_b32_e32 v1, v30, v11
	v_xor_b32_e32 v1, v1, v6
	v_xor_b32_e32 v6, v33, v9
	v_xor_b32_e32 v6, v6, v0
	;; [unrolled: 6-line block ×10, first 2 shown]
	v_mov_b32_e32 v7, v12
	v_mov_b32_e32 v8, v13
	v_cmp_lt_i32_e32 vcc, 1, v20
	s_and_saveexec_b64 s[0:1], vcc
	s_xor_b64 s[0:1], exec, s[0:1]
	s_cbranch_execnz .LBB4_12
; %bb.10:                               ;   in Loop: Header=BB4_9 Depth=1
	s_andn2_saveexec_b64 s[0:1], s[0:1]
	s_cbranch_execnz .LBB4_17
.LBB4_11:                               ;   in Loop: Header=BB4_9 Depth=1
	s_or_b64 exec, exec, s[0:1]
	v_cmp_gt_i64_e32 vcc, s[8:9], v[18:19]
	s_and_saveexec_b64 s[6:7], vcc
	s_cbranch_execnz .LBB4_20
	s_branch .LBB4_25
.LBB4_12:                               ;   in Loop: Header=BB4_9 Depth=1
	v_cmp_lt_i32_e32 vcc, 2, v20
	s_and_saveexec_b64 s[6:7], vcc
	s_xor_b64 s[6:7], exec, s[6:7]
; %bb.13:                               ;   in Loop: Header=BB4_9 Depth=1
	v_mov_b32_e32 v10, v5
	v_mov_b32_e32 v11, v6
	v_pk_mov_b32 v[2:3], v[10:11], v[10:11] op_sel:[0,1]
	v_pk_mov_b32 v[4:5], v[12:13], v[12:13] op_sel:[0,1]
                                        ; implicit-def: $vgpr12_vgpr13
; %bb.14:                               ;   in Loop: Header=BB4_9 Depth=1
	s_andn2_saveexec_b64 s[6:7], s[6:7]
; %bb.15:                               ;   in Loop: Header=BB4_9 Depth=1
	v_mov_b32_e32 v2, v4
	v_mov_b32_e32 v3, v5
	;; [unrolled: 1-line block ×4, first 2 shown]
; %bb.16:                               ;   in Loop: Header=BB4_9 Depth=1
	s_or_b64 exec, exec, s[6:7]
	s_andn2_saveexec_b64 s[0:1], s[0:1]
	s_cbranch_execz .LBB4_11
.LBB4_17:                               ;   in Loop: Header=BB4_9 Depth=1
	v_cmp_eq_u32_e32 vcc, 1, v20
	s_and_saveexec_b64 s[6:7], vcc
; %bb.18:                               ;   in Loop: Header=BB4_9 Depth=1
	v_mov_b32_e32 v2, v3
	v_mov_b32_e32 v3, v4
	;; [unrolled: 1-line block ×4, first 2 shown]
; %bb.19:                               ;   in Loop: Header=BB4_9 Depth=1
	s_or_b64 exec, exec, s[6:7]
	s_or_b64 exec, exec, s[0:1]
	v_cmp_gt_i64_e32 vcc, s[8:9], v[18:19]
	s_and_saveexec_b64 s[6:7], vcc
	s_cbranch_execz .LBB4_25
.LBB4_20:                               ;   in Loop: Header=BB4_9 Depth=1
	v_or_b32_e32 v17, s13, v2
	v_cmp_ne_u64_e32 vcc, 0, v[16:17]
                                        ; implicit-def: $vgpr10_vgpr11
	s_and_saveexec_b64 s[0:1], vcc
	s_xor_b64 s[16:17], exec, s[0:1]
	s_cbranch_execz .LBB4_22
; %bb.21:                               ;   in Loop: Header=BB4_9 Depth=1
	v_cvt_f32_u32_e32 v1, s12
	v_cvt_f32_u32_e32 v9, s13
	s_sub_u32 s0, 0, s12
	s_subb_u32 s1, 0, s13
	v_mac_f32_e32 v1, 0x4f800000, v9
	v_rcp_f32_e32 v1, v1
	v_mul_f32_e32 v1, 0x5f7ffffc, v1
	v_mul_f32_e32 v9, 0x2f800000, v1
	v_trunc_f32_e32 v9, v9
	v_mac_f32_e32 v1, 0xcf800000, v9
	v_cvt_u32_f32_e32 v9, v9
	v_cvt_u32_f32_e32 v1, v1
	v_mul_lo_u32 v10, s0, v9
	v_mul_hi_u32 v12, s0, v1
	v_mul_lo_u32 v11, s1, v1
	v_add_u32_e32 v10, v12, v10
	v_mul_lo_u32 v13, s0, v1
	v_add_u32_e32 v10, v10, v11
	v_mul_hi_u32 v12, v1, v13
	v_mul_lo_u32 v17, v1, v10
	v_mul_hi_u32 v11, v1, v10
	v_add_co_u32_e32 v12, vcc, v12, v17
	v_addc_co_u32_e32 v11, vcc, 0, v11, vcc
	v_mul_hi_u32 v45, v9, v13
	v_mul_lo_u32 v13, v9, v13
	v_add_co_u32_e32 v12, vcc, v12, v13
	v_mul_hi_u32 v17, v9, v10
	v_addc_co_u32_e32 v11, vcc, v11, v45, vcc
	v_addc_co_u32_e32 v12, vcc, 0, v17, vcc
	v_mul_lo_u32 v10, v9, v10
	v_add_co_u32_e32 v10, vcc, v11, v10
	v_addc_co_u32_e32 v11, vcc, 0, v12, vcc
	v_add_co_u32_e32 v1, vcc, v1, v10
	v_addc_co_u32_e32 v9, vcc, v9, v11, vcc
	v_mul_lo_u32 v10, s0, v9
	v_mul_hi_u32 v11, s0, v1
	v_add_u32_e32 v10, v11, v10
	v_mul_lo_u32 v11, s1, v1
	v_add_u32_e32 v10, v10, v11
	v_mul_lo_u32 v12, s0, v1
	v_mul_hi_u32 v13, v9, v12
	v_mul_lo_u32 v17, v9, v12
	v_mul_lo_u32 v46, v1, v10
	v_mul_hi_u32 v12, v1, v12
	v_mul_hi_u32 v45, v1, v10
	v_add_co_u32_e32 v12, vcc, v12, v46
	v_addc_co_u32_e32 v45, vcc, 0, v45, vcc
	v_add_co_u32_e32 v12, vcc, v12, v17
	v_mul_hi_u32 v11, v9, v10
	v_addc_co_u32_e32 v12, vcc, v45, v13, vcc
	v_addc_co_u32_e32 v11, vcc, 0, v11, vcc
	v_mul_lo_u32 v10, v9, v10
	v_add_co_u32_e32 v10, vcc, v12, v10
	v_addc_co_u32_e32 v11, vcc, 0, v11, vcc
	v_add_co_u32_e32 v1, vcc, v1, v10
	v_addc_co_u32_e32 v9, vcc, v9, v11, vcc
	v_mad_u64_u32 v[10:11], s[0:1], v3, v9, 0
	v_mul_hi_u32 v12, v3, v1
	v_add_co_u32_e32 v17, vcc, v12, v10
	v_addc_co_u32_e32 v45, vcc, 0, v11, vcc
	v_mad_u64_u32 v[12:13], s[0:1], v2, v1, 0
	v_add_co_u32_e32 v1, vcc, v17, v12
	v_mad_u64_u32 v[10:11], s[0:1], v2, v9, 0
	v_addc_co_u32_e32 v1, vcc, v45, v13, vcc
	v_addc_co_u32_e32 v9, vcc, 0, v11, vcc
	v_add_co_u32_e32 v1, vcc, v1, v10
	v_addc_co_u32_e32 v9, vcc, 0, v9, vcc
	v_mul_lo_u32 v12, s13, v1
	v_mul_lo_u32 v9, s12, v9
	v_mad_u64_u32 v[10:11], s[0:1], s12, v1, 0
	v_add3_u32 v1, v11, v9, v12
	v_sub_u32_e32 v9, v2, v1
	v_mov_b32_e32 v11, s13
	v_sub_co_u32_e32 v10, vcc, v3, v10
	v_subb_co_u32_e64 v9, s[0:1], v9, v11, vcc
	v_subrev_co_u32_e64 v11, s[0:1], s12, v10
	v_subbrev_co_u32_e64 v9, s[0:1], 0, v9, s[0:1]
	v_cmp_le_u32_e64 s[0:1], s13, v9
	v_subb_co_u32_e32 v1, vcc, v2, v1, vcc
	v_cndmask_b32_e64 v12, 0, -1, s[0:1]
	v_cmp_le_u32_e64 s[0:1], s12, v11
	v_cmp_le_u32_e32 vcc, s13, v1
	v_cndmask_b32_e64 v13, 0, -1, s[0:1]
	v_cmp_eq_u32_e64 s[0:1], s13, v9
	v_cndmask_b32_e64 v2, 0, -1, vcc
	v_cmp_le_u32_e32 vcc, s12, v10
	v_cndmask_b32_e64 v9, v12, v13, s[0:1]
	v_cndmask_b32_e64 v13, 0, -1, vcc
	v_cmp_eq_u32_e32 vcc, s13, v1
	v_subrev_co_u32_e64 v12, s[0:1], s12, v11
	v_cndmask_b32_e32 v1, v2, v13, vcc
	v_cmp_ne_u32_e32 vcc, 0, v9
	v_cndmask_b32_e32 v2, v11, v12, vcc
	v_cmp_ne_u32_e32 vcc, 0, v1
	v_cndmask_b32_e32 v10, v10, v2, vcc
.LBB4_22:                               ;   in Loop: Header=BB4_9 Depth=1
	s_andn2_saveexec_b64 s[0:1], s[16:17]
	s_cbranch_execz .LBB4_24
; %bb.23:                               ;   in Loop: Header=BB4_9 Depth=1
	v_cvt_f32_u32_e32 v1, s12
	s_sub_i32 s16, 0, s12
	v_rcp_iflag_f32_e32 v1, v1
	v_mul_f32_e32 v1, 0x4f7ffffe, v1
	v_cvt_u32_f32_e32 v1, v1
	v_mul_lo_u32 v2, s16, v1
	v_mul_hi_u32 v2, v1, v2
	v_add_u32_e32 v1, v1, v2
	v_mul_hi_u32 v1, v3, v1
	v_mul_lo_u32 v1, v1, s12
	v_sub_u32_e32 v1, v3, v1
	v_subrev_u32_e32 v2, s12, v1
	v_cmp_le_u32_e32 vcc, s12, v1
	v_cndmask_b32_e32 v1, v1, v2, vcc
	v_subrev_u32_e32 v2, s12, v1
	v_cmp_le_u32_e32 vcc, s12, v1
	v_cndmask_b32_e32 v10, v1, v2, vcc
.LBB4_24:                               ;   in Loop: Header=BB4_9 Depth=1
	s_or_b64 exec, exec, s[0:1]
	v_add_u32_e32 v1, s23, v41
	v_ashrrev_i32_e32 v3, 31, v1
	v_mov_b32_e32 v9, s11
	v_add_co_u32_e32 v2, vcc, s10, v1
	v_addc_co_u32_e32 v3, vcc, v9, v3, vcc
	v_add_u32_e32 v1, s14, v10
	global_store_byte v[2:3], v1, off
.LBB4_25:                               ;   in Loop: Header=BB4_9 Depth=1
	s_or_b64 exec, exec, s[6:7]
	v_mov_b32_e32 v1, s15
	v_add_co_u32_e32 v2, vcc, s18, v18
	v_addc_co_u32_e32 v3, vcc, v1, v19, vcc
	v_cmp_gt_i64_e32 vcc, s[8:9], v[2:3]
	s_and_saveexec_b64 s[6:7], vcc
	s_cbranch_execz .LBB4_8
; %bb.26:                               ;   in Loop: Header=BB4_9 Depth=1
	v_or_b32_e32 v17, s13, v4
	v_cmp_ne_u64_e32 vcc, 0, v[16:17]
                                        ; implicit-def: $vgpr10_vgpr11
	s_and_saveexec_b64 s[0:1], vcc
	s_xor_b64 s[16:17], exec, s[0:1]
	s_cbranch_execz .LBB4_28
; %bb.27:                               ;   in Loop: Header=BB4_9 Depth=1
	v_cvt_f32_u32_e32 v1, s12
	v_cvt_f32_u32_e32 v2, s13
	s_sub_u32 s0, 0, s12
	s_subb_u32 s1, 0, s13
	v_mac_f32_e32 v1, 0x4f800000, v2
	v_rcp_f32_e32 v1, v1
	v_mul_f32_e32 v1, 0x5f7ffffc, v1
	v_mul_f32_e32 v2, 0x2f800000, v1
	v_trunc_f32_e32 v2, v2
	v_mac_f32_e32 v1, 0xcf800000, v2
	v_cvt_u32_f32_e32 v2, v2
	v_cvt_u32_f32_e32 v1, v1
	v_mul_lo_u32 v3, s0, v2
	v_mul_hi_u32 v10, s0, v1
	v_mul_lo_u32 v9, s1, v1
	v_add_u32_e32 v3, v10, v3
	v_mul_lo_u32 v11, s0, v1
	v_add_u32_e32 v3, v3, v9
	v_mul_hi_u32 v10, v1, v11
	v_mul_lo_u32 v12, v1, v3
	v_mul_hi_u32 v9, v1, v3
	v_add_co_u32_e32 v10, vcc, v10, v12
	v_addc_co_u32_e32 v9, vcc, 0, v9, vcc
	v_mul_hi_u32 v13, v2, v11
	v_mul_lo_u32 v11, v2, v11
	v_add_co_u32_e32 v10, vcc, v10, v11
	v_mul_hi_u32 v12, v2, v3
	v_addc_co_u32_e32 v9, vcc, v9, v13, vcc
	v_addc_co_u32_e32 v10, vcc, 0, v12, vcc
	v_mul_lo_u32 v3, v2, v3
	v_add_co_u32_e32 v3, vcc, v9, v3
	v_addc_co_u32_e32 v9, vcc, 0, v10, vcc
	v_add_co_u32_e32 v1, vcc, v1, v3
	v_addc_co_u32_e32 v2, vcc, v2, v9, vcc
	v_mul_lo_u32 v3, s0, v2
	v_mul_hi_u32 v9, s0, v1
	v_add_u32_e32 v3, v9, v3
	v_mul_lo_u32 v9, s1, v1
	v_add_u32_e32 v3, v3, v9
	v_mul_lo_u32 v10, s0, v1
	v_mul_hi_u32 v11, v2, v10
	v_mul_lo_u32 v12, v2, v10
	v_mul_lo_u32 v17, v1, v3
	v_mul_hi_u32 v10, v1, v10
	v_mul_hi_u32 v13, v1, v3
	v_add_co_u32_e32 v10, vcc, v10, v17
	v_addc_co_u32_e32 v13, vcc, 0, v13, vcc
	v_add_co_u32_e32 v10, vcc, v10, v12
	v_mul_hi_u32 v9, v2, v3
	v_addc_co_u32_e32 v10, vcc, v13, v11, vcc
	v_addc_co_u32_e32 v9, vcc, 0, v9, vcc
	v_mul_lo_u32 v3, v2, v3
	v_add_co_u32_e32 v3, vcc, v10, v3
	v_addc_co_u32_e32 v9, vcc, 0, v9, vcc
	v_add_co_u32_e32 v1, vcc, v1, v3
	v_addc_co_u32_e32 v9, vcc, v2, v9, vcc
	v_mad_u64_u32 v[2:3], s[0:1], v5, v9, 0
	v_mul_hi_u32 v10, v5, v1
	v_add_co_u32_e32 v12, vcc, v10, v2
	v_addc_co_u32_e32 v13, vcc, 0, v3, vcc
	v_mad_u64_u32 v[10:11], s[0:1], v4, v1, 0
	v_add_co_u32_e32 v1, vcc, v12, v10
	v_mad_u64_u32 v[2:3], s[0:1], v4, v9, 0
	v_addc_co_u32_e32 v1, vcc, v13, v11, vcc
	v_addc_co_u32_e32 v3, vcc, 0, v3, vcc
	v_add_co_u32_e32 v1, vcc, v1, v2
	v_addc_co_u32_e32 v2, vcc, 0, v3, vcc
	v_mul_lo_u32 v9, s13, v1
	v_mul_lo_u32 v10, s12, v2
	v_mad_u64_u32 v[2:3], s[0:1], s12, v1, 0
	v_add3_u32 v1, v3, v10, v9
	v_sub_u32_e32 v3, v4, v1
	v_mov_b32_e32 v9, s13
	v_sub_co_u32_e32 v2, vcc, v5, v2
	v_subb_co_u32_e64 v3, s[0:1], v3, v9, vcc
	v_subrev_co_u32_e64 v5, s[0:1], s12, v2
	v_subbrev_co_u32_e64 v3, s[0:1], 0, v3, s[0:1]
	v_cmp_le_u32_e64 s[0:1], s13, v3
	v_subb_co_u32_e32 v1, vcc, v4, v1, vcc
	v_cndmask_b32_e64 v9, 0, -1, s[0:1]
	v_cmp_le_u32_e64 s[0:1], s12, v5
	v_cmp_le_u32_e32 vcc, s13, v1
	v_cndmask_b32_e64 v10, 0, -1, s[0:1]
	v_cmp_eq_u32_e64 s[0:1], s13, v3
	v_cndmask_b32_e64 v4, 0, -1, vcc
	v_cmp_le_u32_e32 vcc, s12, v2
	v_cndmask_b32_e64 v3, v9, v10, s[0:1]
	v_cndmask_b32_e64 v10, 0, -1, vcc
	v_cmp_eq_u32_e32 vcc, s13, v1
	v_subrev_co_u32_e64 v9, s[0:1], s12, v5
	v_cndmask_b32_e32 v1, v4, v10, vcc
	v_cmp_ne_u32_e32 vcc, 0, v3
	v_cndmask_b32_e32 v3, v5, v9, vcc
	v_cmp_ne_u32_e32 vcc, 0, v1
	v_cndmask_b32_e32 v10, v2, v3, vcc
                                        ; implicit-def: $vgpr2_vgpr3_vgpr4_vgpr5
.LBB4_28:                               ;   in Loop: Header=BB4_9 Depth=1
	s_andn2_saveexec_b64 s[0:1], s[16:17]
	s_cbranch_execz .LBB4_7
; %bb.29:                               ;   in Loop: Header=BB4_9 Depth=1
	v_cvt_f32_u32_e32 v1, s12
	s_sub_i32 s16, 0, s12
	v_rcp_iflag_f32_e32 v1, v1
	v_mul_f32_e32 v1, 0x4f7ffffe, v1
	v_cvt_u32_f32_e32 v1, v1
	v_mul_lo_u32 v2, s16, v1
	v_mul_hi_u32 v2, v1, v2
	v_add_u32_e32 v1, v1, v2
	v_mul_hi_u32 v1, v5, v1
	v_mul_lo_u32 v1, v1, s12
	v_sub_u32_e32 v1, v5, v1
	v_subrev_u32_e32 v2, s12, v1
	v_cmp_le_u32_e32 vcc, s12, v1
	v_cndmask_b32_e32 v1, v1, v2, vcc
	v_subrev_u32_e32 v2, s12, v1
	v_cmp_le_u32_e32 vcc, s12, v1
	v_cndmask_b32_e32 v10, v1, v2, vcc
	s_branch .LBB4_7
.LBB4_30:
	s_endpgm
.LBB4_31:
                                        ; implicit-def: $sgpr2_sgpr3
	s_andn2_b64 vcc, exec, s[0:1]
	s_cbranch_vccz .LBB4_4
	s_branch .LBB4_5
	.section	.rodata,"a",@progbits
	.p2align	6, 0x0
	.amdhsa_kernel _ZN2at6native12_GLOBAL__N_143distribution_elementwise_grid_stride_kernelImLi2EZZZNS0_9templates4cuda21random_from_to_kernelIPNS_17CUDAGeneratorImplEEEvRNS_18TensorIteratorBaseEmlT_ENKUlvE_clEvENKUlvE0_clEvEUlP25hiprandStatePhilox4_32_10E_ZNS1_27distribution_nullary_kernelIam15HIP_vector_typeIyLj2EES7_SF_ZZZNS5_IS7_EEvS9_mlSA_ENKSB_clEvENKSC_clEvEUlmE_EEvS9_T2_RKT3_T4_EUlimE_EEvlNS_15PhiloxCudaStateET1_SK_
		.amdhsa_group_segment_fixed_size 0
		.amdhsa_private_segment_fixed_size 0
		.amdhsa_kernarg_size 336
		.amdhsa_user_sgpr_count 6
		.amdhsa_user_sgpr_private_segment_buffer 1
		.amdhsa_user_sgpr_dispatch_ptr 0
		.amdhsa_user_sgpr_queue_ptr 0
		.amdhsa_user_sgpr_kernarg_segment_ptr 1
		.amdhsa_user_sgpr_dispatch_id 0
		.amdhsa_user_sgpr_flat_scratch_init 0
		.amdhsa_user_sgpr_kernarg_preload_length 0
		.amdhsa_user_sgpr_kernarg_preload_offset 0
		.amdhsa_user_sgpr_private_segment_size 0
		.amdhsa_uses_dynamic_stack 0
		.amdhsa_system_sgpr_private_segment_wavefront_offset 0
		.amdhsa_system_sgpr_workgroup_id_x 1
		.amdhsa_system_sgpr_workgroup_id_y 0
		.amdhsa_system_sgpr_workgroup_id_z 0
		.amdhsa_system_sgpr_workgroup_info 0
		.amdhsa_system_vgpr_workitem_id 0
		.amdhsa_next_free_vgpr 48
		.amdhsa_next_free_sgpr 24
		.amdhsa_accum_offset 48
		.amdhsa_reserve_vcc 1
		.amdhsa_reserve_flat_scratch 0
		.amdhsa_float_round_mode_32 0
		.amdhsa_float_round_mode_16_64 0
		.amdhsa_float_denorm_mode_32 3
		.amdhsa_float_denorm_mode_16_64 3
		.amdhsa_dx10_clamp 1
		.amdhsa_ieee_mode 1
		.amdhsa_fp16_overflow 0
		.amdhsa_tg_split 0
		.amdhsa_exception_fp_ieee_invalid_op 0
		.amdhsa_exception_fp_denorm_src 0
		.amdhsa_exception_fp_ieee_div_zero 0
		.amdhsa_exception_fp_ieee_overflow 0
		.amdhsa_exception_fp_ieee_underflow 0
		.amdhsa_exception_fp_ieee_inexact 0
		.amdhsa_exception_int_div_zero 0
	.end_amdhsa_kernel
	.section	.text._ZN2at6native12_GLOBAL__N_143distribution_elementwise_grid_stride_kernelImLi2EZZZNS0_9templates4cuda21random_from_to_kernelIPNS_17CUDAGeneratorImplEEEvRNS_18TensorIteratorBaseEmlT_ENKUlvE_clEvENKUlvE0_clEvEUlP25hiprandStatePhilox4_32_10E_ZNS1_27distribution_nullary_kernelIam15HIP_vector_typeIyLj2EES7_SF_ZZZNS5_IS7_EEvS9_mlSA_ENKSB_clEvENKSC_clEvEUlmE_EEvS9_T2_RKT3_T4_EUlimE_EEvlNS_15PhiloxCudaStateET1_SK_,"axG",@progbits,_ZN2at6native12_GLOBAL__N_143distribution_elementwise_grid_stride_kernelImLi2EZZZNS0_9templates4cuda21random_from_to_kernelIPNS_17CUDAGeneratorImplEEEvRNS_18TensorIteratorBaseEmlT_ENKUlvE_clEvENKUlvE0_clEvEUlP25hiprandStatePhilox4_32_10E_ZNS1_27distribution_nullary_kernelIam15HIP_vector_typeIyLj2EES7_SF_ZZZNS5_IS7_EEvS9_mlSA_ENKSB_clEvENKSC_clEvEUlmE_EEvS9_T2_RKT3_T4_EUlimE_EEvlNS_15PhiloxCudaStateET1_SK_,comdat
.Lfunc_end4:
	.size	_ZN2at6native12_GLOBAL__N_143distribution_elementwise_grid_stride_kernelImLi2EZZZNS0_9templates4cuda21random_from_to_kernelIPNS_17CUDAGeneratorImplEEEvRNS_18TensorIteratorBaseEmlT_ENKUlvE_clEvENKUlvE0_clEvEUlP25hiprandStatePhilox4_32_10E_ZNS1_27distribution_nullary_kernelIam15HIP_vector_typeIyLj2EES7_SF_ZZZNS5_IS7_EEvS9_mlSA_ENKSB_clEvENKSC_clEvEUlmE_EEvS9_T2_RKT3_T4_EUlimE_EEvlNS_15PhiloxCudaStateET1_SK_, .Lfunc_end4-_ZN2at6native12_GLOBAL__N_143distribution_elementwise_grid_stride_kernelImLi2EZZZNS0_9templates4cuda21random_from_to_kernelIPNS_17CUDAGeneratorImplEEEvRNS_18TensorIteratorBaseEmlT_ENKUlvE_clEvENKUlvE0_clEvEUlP25hiprandStatePhilox4_32_10E_ZNS1_27distribution_nullary_kernelIam15HIP_vector_typeIyLj2EES7_SF_ZZZNS5_IS7_EEvS9_mlSA_ENKSB_clEvENKSC_clEvEUlmE_EEvS9_T2_RKT3_T4_EUlimE_EEvlNS_15PhiloxCudaStateET1_SK_
                                        ; -- End function
	.section	.AMDGPU.csdata,"",@progbits
; Kernel info:
; codeLenInByte = 3552
; NumSgprs: 28
; NumVgprs: 48
; NumAgprs: 0
; TotalNumVgprs: 48
; ScratchSize: 0
; MemoryBound: 0
; FloatMode: 240
; IeeeMode: 1
; LDSByteSize: 0 bytes/workgroup (compile time only)
; SGPRBlocks: 3
; VGPRBlocks: 5
; NumSGPRsForWavesPerEU: 28
; NumVGPRsForWavesPerEU: 48
; AccumOffset: 48
; Occupancy: 8
; WaveLimiterHint : 0
; COMPUTE_PGM_RSRC2:SCRATCH_EN: 0
; COMPUTE_PGM_RSRC2:USER_SGPR: 6
; COMPUTE_PGM_RSRC2:TRAP_HANDLER: 0
; COMPUTE_PGM_RSRC2:TGID_X_EN: 1
; COMPUTE_PGM_RSRC2:TGID_Y_EN: 0
; COMPUTE_PGM_RSRC2:TGID_Z_EN: 0
; COMPUTE_PGM_RSRC2:TIDIG_COMP_CNT: 0
; COMPUTE_PGM_RSRC3_GFX90A:ACCUM_OFFSET: 11
; COMPUTE_PGM_RSRC3_GFX90A:TG_SPLIT: 0
	.section	.text._ZN2at6native12_GLOBAL__N_143distribution_elementwise_grid_stride_kernelImLi2EZZZNS0_9templates4cuda21random_from_to_kernelIPNS_17CUDAGeneratorImplEEEvRNS_18TensorIteratorBaseEmlT_ENKUlvE_clEvENKUlvE0_clEvEUlP25hiprandStatePhilox4_32_10E_ZNS1_27distribution_nullary_kernelIam15HIP_vector_typeIyLj2EES7_SF_ZZZNS5_IS7_EEvS9_mlSA_ENKSB_clEvENKSC_clEvEUlmE_EEvS9_T2_RKT3_T4_EUlimE0_EEvlNS_15PhiloxCudaStateET1_SK_,"axG",@progbits,_ZN2at6native12_GLOBAL__N_143distribution_elementwise_grid_stride_kernelImLi2EZZZNS0_9templates4cuda21random_from_to_kernelIPNS_17CUDAGeneratorImplEEEvRNS_18TensorIteratorBaseEmlT_ENKUlvE_clEvENKUlvE0_clEvEUlP25hiprandStatePhilox4_32_10E_ZNS1_27distribution_nullary_kernelIam15HIP_vector_typeIyLj2EES7_SF_ZZZNS5_IS7_EEvS9_mlSA_ENKSB_clEvENKSC_clEvEUlmE_EEvS9_T2_RKT3_T4_EUlimE0_EEvlNS_15PhiloxCudaStateET1_SK_,comdat
	.globl	_ZN2at6native12_GLOBAL__N_143distribution_elementwise_grid_stride_kernelImLi2EZZZNS0_9templates4cuda21random_from_to_kernelIPNS_17CUDAGeneratorImplEEEvRNS_18TensorIteratorBaseEmlT_ENKUlvE_clEvENKUlvE0_clEvEUlP25hiprandStatePhilox4_32_10E_ZNS1_27distribution_nullary_kernelIam15HIP_vector_typeIyLj2EES7_SF_ZZZNS5_IS7_EEvS9_mlSA_ENKSB_clEvENKSC_clEvEUlmE_EEvS9_T2_RKT3_T4_EUlimE0_EEvlNS_15PhiloxCudaStateET1_SK_ ; -- Begin function _ZN2at6native12_GLOBAL__N_143distribution_elementwise_grid_stride_kernelImLi2EZZZNS0_9templates4cuda21random_from_to_kernelIPNS_17CUDAGeneratorImplEEEvRNS_18TensorIteratorBaseEmlT_ENKUlvE_clEvENKUlvE0_clEvEUlP25hiprandStatePhilox4_32_10E_ZNS1_27distribution_nullary_kernelIam15HIP_vector_typeIyLj2EES7_SF_ZZZNS5_IS7_EEvS9_mlSA_ENKSB_clEvENKSC_clEvEUlmE_EEvS9_T2_RKT3_T4_EUlimE0_EEvlNS_15PhiloxCudaStateET1_SK_
	.p2align	8
	.type	_ZN2at6native12_GLOBAL__N_143distribution_elementwise_grid_stride_kernelImLi2EZZZNS0_9templates4cuda21random_from_to_kernelIPNS_17CUDAGeneratorImplEEEvRNS_18TensorIteratorBaseEmlT_ENKUlvE_clEvENKUlvE0_clEvEUlP25hiprandStatePhilox4_32_10E_ZNS1_27distribution_nullary_kernelIam15HIP_vector_typeIyLj2EES7_SF_ZZZNS5_IS7_EEvS9_mlSA_ENKSB_clEvENKSC_clEvEUlmE_EEvS9_T2_RKT3_T4_EUlimE0_EEvlNS_15PhiloxCudaStateET1_SK_,@function
_ZN2at6native12_GLOBAL__N_143distribution_elementwise_grid_stride_kernelImLi2EZZZNS0_9templates4cuda21random_from_to_kernelIPNS_17CUDAGeneratorImplEEEvRNS_18TensorIteratorBaseEmlT_ENKUlvE_clEvENKUlvE0_clEvEUlP25hiprandStatePhilox4_32_10E_ZNS1_27distribution_nullary_kernelIam15HIP_vector_typeIyLj2EES7_SF_ZZZNS5_IS7_EEvS9_mlSA_ENKSB_clEvENKSC_clEvEUlmE_EEvS9_T2_RKT3_T4_EUlimE0_EEvlNS_15PhiloxCudaStateET1_SK_: ; @_ZN2at6native12_GLOBAL__N_143distribution_elementwise_grid_stride_kernelImLi2EZZZNS0_9templates4cuda21random_from_to_kernelIPNS_17CUDAGeneratorImplEEEvRNS_18TensorIteratorBaseEmlT_ENKUlvE_clEvENKUlvE0_clEvEUlP25hiprandStatePhilox4_32_10E_ZNS1_27distribution_nullary_kernelIam15HIP_vector_typeIyLj2EES7_SF_ZZZNS5_IS7_EEvS9_mlSA_ENKSB_clEvENKSC_clEvEUlmE_EEvS9_T2_RKT3_T4_EUlimE0_EEvlNS_15PhiloxCudaStateET1_SK_
; %bb.0:
	s_load_dword s2, s[4:5], 0x20
	s_load_dwordx2 s[0:1], s[4:5], 0x10
	s_load_dwordx4 s[24:27], s[4:5], 0x0
	s_waitcnt lgkmcnt(0)
	s_bitcmp0_b32 s2, 0
	s_mov_b32 s2, 0
	v_pk_mov_b32 v[2:3], s[0:1], s[0:1] op_sel:[0,1]
	v_pk_mov_b32 v[12:13], s[26:27], s[26:27] op_sel:[0,1]
	s_cbranch_scc1 .LBB5_2
; %bb.1:
	v_pk_mov_b32 v[2:3], s[0:1], s[0:1] op_sel:[0,1]
	flat_load_dwordx2 v[2:3], v[2:3]
	v_pk_mov_b32 v[4:5], s[26:27], s[26:27] op_sel:[0,1]
	flat_load_dwordx2 v[12:13], v[4:5]
	s_load_dwordx2 s[0:1], s[4:5], 0x18
	s_waitcnt lgkmcnt(0)
	v_mov_b32_e32 v1, s1
	s_waitcnt vmcnt(0)
	v_add_co_u32_e32 v2, vcc, s0, v2
	v_addc_co_u32_e32 v3, vcc, v3, v1, vcc
.LBB5_2:
	s_load_dword s0, s[4:5], 0x15c
	s_load_dword s7, s[4:5], 0x150
	s_waitcnt lgkmcnt(0)
	s_and_b32 s8, s0, 0xffff
	s_add_u32 s9, s24, -1
	s_mul_i32 s33, s7, s8
	s_addc_u32 s3, s25, -1
	s_lshl_b32 s62, s33, 1
	s_cmp_lg_u64 s[2:3], 0
	s_mov_b64 s[0:1], -1
	s_cbranch_scc0 .LBB5_59
; %bb.3:
	v_cvt_f32_u32_e32 v1, s62
	v_cvt_f32_ubyte0_e32 v4, 0
	s_sub_u32 s2, 0, s62
	s_subb_u32 s10, 0, 0
	v_madmk_f32 v1, v4, 0x4f800000, v1
	v_rcp_f32_e32 v1, v1
	v_mul_f32_e32 v1, 0x5f7ffffc, v1
	v_mul_f32_e32 v4, 0x2f800000, v1
	v_trunc_f32_e32 v4, v4
	v_madmk_f32 v1, v4, 0xcf800000, v1
	v_cvt_u32_f32_e32 v4, v4
	v_cvt_u32_f32_e32 v1, v1
	v_readfirstlane_b32 s11, v4
	v_readfirstlane_b32 s12, v1
	s_mul_i32 s13, s2, s11
	s_mul_hi_u32 s15, s2, s12
	s_mul_i32 s14, s10, s12
	s_add_i32 s13, s15, s13
	s_add_i32 s13, s13, s14
	s_mul_i32 s16, s2, s12
	s_mul_hi_u32 s14, s12, s13
	s_mul_i32 s15, s12, s13
	s_mul_hi_u32 s12, s12, s16
	s_add_u32 s12, s12, s15
	s_addc_u32 s14, 0, s14
	s_mul_hi_u32 s17, s11, s16
	s_mul_i32 s16, s11, s16
	s_add_u32 s12, s12, s16
	s_mul_hi_u32 s15, s11, s13
	s_addc_u32 s12, s14, s17
	s_addc_u32 s14, s15, 0
	s_mul_i32 s13, s11, s13
	s_add_u32 s12, s12, s13
	s_addc_u32 s13, 0, s14
	v_add_co_u32_e32 v1, vcc, s12, v1
	s_cmp_lg_u64 vcc, 0
	s_addc_u32 s11, s11, s13
	v_readfirstlane_b32 s13, v1
	s_mul_i32 s12, s2, s11
	s_mul_hi_u32 s14, s2, s13
	s_add_i32 s12, s14, s12
	s_mul_i32 s10, s10, s13
	s_add_i32 s12, s12, s10
	s_mul_i32 s2, s2, s13
	s_mul_hi_u32 s14, s11, s2
	s_mul_i32 s15, s11, s2
	s_mul_i32 s17, s13, s12
	s_mul_hi_u32 s2, s13, s2
	s_mul_hi_u32 s16, s13, s12
	s_add_u32 s2, s2, s17
	s_addc_u32 s13, 0, s16
	s_add_u32 s2, s2, s15
	s_mul_hi_u32 s10, s11, s12
	s_addc_u32 s2, s13, s14
	s_addc_u32 s10, s10, 0
	s_mul_i32 s12, s11, s12
	s_add_u32 s2, s2, s12
	s_addc_u32 s10, 0, s10
	v_add_co_u32_e32 v1, vcc, s2, v1
	s_cmp_lg_u64 vcc, 0
	s_addc_u32 s12, s11, s10
	s_ashr_i32 s10, s3, 31
	s_add_u32 s2, s9, s10
	s_mov_b32 s11, s10
	s_addc_u32 s3, s3, s10
	s_xor_b64 s[2:3], s[2:3], s[10:11]
	v_readfirstlane_b32 s15, v1
	s_mul_i32 s14, s2, s12
	s_mul_hi_u32 s16, s2, s15
	s_mul_hi_u32 s13, s2, s12
	s_add_u32 s14, s16, s14
	s_addc_u32 s13, 0, s13
	s_mul_hi_u32 s17, s3, s15
	s_mul_i32 s15, s3, s15
	s_add_u32 s14, s14, s15
	s_mul_hi_u32 s16, s3, s12
	s_addc_u32 s13, s13, s17
	s_addc_u32 s14, s16, 0
	s_mul_i32 s12, s3, s12
	s_add_u32 s12, s13, s12
	s_addc_u32 s13, 0, s14
	s_add_u32 s14, s12, 1
	s_addc_u32 s15, s13, 0
	s_add_u32 s16, s12, 2
	s_mul_i32 s18, s62, s13
	s_mul_hi_u32 s19, s62, s12
	s_addc_u32 s17, s13, 0
	s_add_i32 s19, s19, s18
	s_mul_i32 s18, s62, s12
	v_mov_b32_e32 v1, s18
	v_sub_co_u32_e32 v1, vcc, s2, v1
	s_cmp_lg_u64 vcc, 0
	s_subb_u32 s2, s3, s19
	v_subrev_co_u32_e32 v4, vcc, s62, v1
	s_cmp_lg_u64 vcc, 0
	s_subb_u32 s3, s2, 0
	v_readfirstlane_b32 s18, v4
	s_cmp_ge_u32 s18, s62
	s_cselect_b32 s18, -1, 0
	s_cmp_eq_u32 s3, 0
	s_cselect_b32 s3, s18, -1
	s_cmp_lg_u32 s3, 0
	s_cselect_b32 s3, s17, s15
	v_readfirstlane_b32 s15, v1
	s_cselect_b32 s14, s16, s14
	s_cmp_ge_u32 s15, s62
	s_cselect_b32 s15, -1, 0
	s_cmp_eq_u32 s2, 0
	s_cselect_b32 s2, s15, -1
	s_cmp_lg_u32 s2, 0
	s_cselect_b32 s3, s3, s13
	s_cselect_b32 s2, s14, s12
	s_xor_b64 s[2:3], s[2:3], s[10:11]
	s_sub_u32 s2, s2, s10
	s_subb_u32 s3, s3, s10
	s_cbranch_execnz .LBB5_5
.LBB5_4:
	v_cvt_f32_u32_e32 v1, s62
	s_sub_i32 s0, 0, s62
	s_mov_b32 s3, 0
	v_rcp_iflag_f32_e32 v1, v1
	v_mul_f32_e32 v1, 0x4f7ffffe, v1
	v_cvt_u32_f32_e32 v1, v1
	v_readfirstlane_b32 s1, v1
	s_mul_i32 s0, s0, s1
	s_mul_hi_u32 s0, s1, s0
	s_add_i32 s1, s1, s0
	s_mul_hi_u32 s0, s9, s1
	s_mul_i32 s2, s0, s62
	s_sub_i32 s2, s9, s2
	s_add_i32 s1, s0, 1
	s_sub_i32 s9, s2, s62
	s_cmp_ge_u32 s2, s62
	s_cselect_b32 s0, s1, s0
	s_cselect_b32 s2, s9, s2
	s_add_i32 s1, s0, 1
	s_cmp_ge_u32 s2, s62
	s_cselect_b32 s2, s1, s0
.LBB5_5:
	v_mov_b32_e32 v14, 0
	v_mov_b32_e32 v1, v14
	;; [unrolled: 1-line block ×3, first 2 shown]
	v_mad_u64_u32 v[16:17], s[0:1], s8, v4, v[0:1]
	s_add_u32 s0, s2, 1
	s_addc_u32 s1, s3, 0
	s_mul_hi_u32 s2, s7, s8
	s_mul_i32 s1, s33, s1
	s_mul_hi_u32 s3, s33, s0
	s_add_i32 s1, s3, s1
	s_mul_i32 s2, s2, s0
	s_add_i32 s1, s1, s2
	s_mul_i32 s0, s33, s0
	s_lshl_b64 s[26:27], s[0:1], 1
	v_cmp_gt_i64_e32 vcc, s[26:27], v[16:17]
	s_and_saveexec_b64 s[0:1], vcc
	s_cbranch_execz .LBB5_58
; %bb.6:
	s_mov_b32 s0, 0x5384540f
	v_mov_b32_e32 v0, v13
	v_add_co_u32_e32 v24, vcc, s0, v12
	s_mov_b32 s0, 0x646e171e
	v_add_co_u32_e32 v25, vcc, s0, v0
	s_mov_b32 s0, 0x1715609d
	;; [unrolled: 2-line block ×6, first 2 shown]
	v_alignbit_b32 v31, v3, v2, 2
	s_mov_b32 s64, 0xd2511f53
	v_add_co_u32_e32 v30, vcc, s0, v12
	v_mad_u64_u32 v[4:5], s[0:1], v31, s64, 0
	v_xor_b32_e32 v1, v5, v13
	v_xor_b32_e32 v1, v1, v17
	s_mov_b32 s65, 0xcd9e8d57
	v_mad_u64_u32 v[6:7], s[0:1], v1, s65, 0
	v_xor_b32_e32 v1, v30, v7
	v_mad_u64_u32 v[8:9], s[0:1], v16, s65, 0
	v_and_b32_e32 v20, 3, v2
	v_xor_b32_e32 v1, v1, v8
	v_xor_b32_e32 v2, v12, v9
	v_lshrrev_b32_e32 v32, 2, v3
	v_mad_u64_u32 v[10:11], s[0:1], v1, s64, 0
	v_xor_b32_e32 v2, v2, v32
	v_xor_b32_e32 v1, v29, v11
	v_mad_u64_u32 v[2:3], s[0:1], v2, s64, 0
	v_xor_b32_e32 v1, v1, v2
	v_mad_u64_u32 v[8:9], s[0:1], v1, s65, 0
	s_mov_b32 s0, 0xbb67ae85
	v_add_co_u32_e32 v33, vcc, s0, v0
	v_xor_b32_e32 v2, v33, v3
	v_xor_b32_e32 v2, v2, v4
	v_xor_b32_e32 v1, v28, v9
	v_mad_u64_u32 v[2:3], s[0:1], v2, s65, 0
	v_xor_b32_e32 v1, v1, v2
	v_mad_u64_u32 v[4:5], s[0:1], v1, s64, 0
	s_mov_b32 s0, 0x3c6ef372
	v_add_co_u32_e32 v34, vcc, s0, v12
	v_xor_b32_e32 v2, v34, v3
	;; [unrolled: 8-line block ×6, first 2 shown]
	v_add_co_u32_e32 v23, vcc, 0xdb3d7428, v0
	v_xor_b32_e32 v2, v2, v6
	v_xor_b32_e32 v1, v23, v5
	v_mad_u64_u32 v[2:3], s[0:1], v2, s64, 0
	v_xor_b32_e32 v1, v1, v2
	v_mad_u64_u32 v[6:7], s[0:1], v1, s65, 0
	s_mov_b32 s0, 0x1fd5c5a3
	v_add_co_u32_e32 v39, vcc, s0, v0
	v_xor_b32_e32 v0, v39, v3
	v_xor_b32_e32 v0, v0, v10
	v_mad_u64_u32 v[0:1], s[0:1], v0, s65, 0
	s_mov_b32 s0, 0xf1bbcdc8
	s_load_dwordx8 s[8:15], s[4:5], 0x30
	v_add_co_u32_e32 v40, vcc, s0, v12
	v_xor_b32_e32 v1, v40, v1
	v_xor_b32_e32 v1, v1, v8
	s_add_u32 s34, s4, 48
	v_mad_u64_u32 v[8:9], s[0:1], v1, s64, 0
	s_addc_u32 s35, s5, 0
	s_waitcnt lgkmcnt(0)
	s_add_i32 s0, s8, -1
	s_cmp_gt_u32 s0, 1
	s_cselect_b64 s[40:41], -1, 0
	s_cmp_lg_u32 s8, 0
	s_cselect_b64 s[42:43], -1, 0
	s_add_u32 s44, s4, 0xf4
	s_addc_u32 s45, s5, 0
	s_min_u32 s1, s0, 15
	s_cmp_gt_u32 s8, 1
	s_cselect_b64 s[46:47], -1, 0
	s_load_dwordx2 s[48:49], s[4:5], 0x148
	s_load_dwordx2 s[50:51], s[4:5], 0xf4
	s_load_dwordx4 s[28:31], s[4:5], 0x138
	s_add_i32 s1, s1, 1
	s_mov_b32 s8, s13
	s_and_b32 s13, s1, 3
	s_cmp_lg_u32 s0, 2
	s_cselect_b64 s[52:53], -1, 0
	s_and_b32 s15, s1, 28
	v_add_u32_e32 v21, 0x8ff34781, v12
	v_add_u32_e32 v22, 0x96a522ad, v13
	v_xor_b32_e32 v0, v7, v0
	v_xor_b32_e32 v1, v9, v4
	s_cmp_lg_u32 s13, 0
	s_mov_b32 s63, 0
	v_xor_b32_e32 v0, v21, v0
	v_xor_b32_e32 v2, v22, v1
	v_mov_b32_e32 v1, v6
	v_mov_b32_e32 v3, v8
	s_mov_b64 s[54:55], 0
	s_cselect_b64 s[56:57], -1, 0
	v_mov_b32_e32 v41, v16
	v_mov_b32_e32 v42, v17
	s_branch .LBB5_9
.LBB5_7:                                ;   in Loop: Header=BB5_9 Depth=1
	s_or_b64 exec, exec, s[0:1]
	v_add_u32_e32 v0, s48, v10
	global_store_byte v8, v0, s[28:29]
.LBB5_8:                                ;   in Loop: Header=BB5_9 Depth=1
	s_or_b64 exec, exec, s[36:37]
	v_add_co_u32_e32 v16, vcc, s62, v16
	v_addc_co_u32_e32 v17, vcc, 0, v17, vcc
	v_mov_b32_e32 v7, v18
	v_cmp_le_i64_e32 vcc, s[26:27], v[16:17]
	v_pk_mov_b32 v[0:1], v[4:5], v[4:5] op_sel:[0,1]
	s_or_b64 s[54:55], vcc, s[54:55]
	v_pk_mov_b32 v[2:3], v[6:7], v[6:7] op_sel:[0,1]
	s_waitcnt lgkmcnt(0)
	s_barrier
	s_andn2_b64 exec, exec, s[54:55]
	s_cbranch_execz .LBB5_58
.LBB5_9:                                ; =>This Loop Header: Depth=1
                                        ;     Child Loop BB5_24 Depth 2
                                        ;     Child Loop BB5_30 Depth 2
	;; [unrolled: 1-line block ×4, first 2 shown]
	v_add_co_u32_e32 v31, vcc, 1, v31
	v_cndmask_b32_e64 v4, 0, 1, vcc
	v_addc_co_u32_e32 v32, vcc, 0, v32, vcc
	v_cmp_eq_u32_e32 vcc, 0, v32
	v_cndmask_b32_e32 v4, 0, v4, vcc
	v_add_u32_e32 v41, v4, v41
	v_cmp_eq_u32_e32 vcc, 0, v41
	v_cndmask_b32_e32 v4, 0, v4, vcc
	v_add_u32_e32 v42, v4, v42
	v_mad_u64_u32 v[4:5], s[0:1], v31, s64, 0
	v_mad_u64_u32 v[6:7], s[0:1], v41, s65, 0
	v_xor_b32_e32 v5, v5, v13
	v_xor_b32_e32 v7, v7, v12
	v_xor_b32_e32 v5, v42, v5
	v_xor_b32_e32 v7, v32, v7
	v_mad_u64_u32 v[10:11], s[0:1], v5, s65, 0
	v_mad_u64_u32 v[8:9], s[0:1], v7, s64, 0
	v_xor_b32_e32 v5, v30, v11
	v_xor_b32_e32 v5, v5, v6
	v_xor_b32_e32 v6, v33, v9
	v_xor_b32_e32 v6, v6, v4
	;; [unrolled: 6-line block ×10, first 2 shown]
	v_mov_b32_e32 v5, v10
	v_mov_b32_e32 v6, v11
	v_cmp_lt_i32_e32 vcc, 1, v20
	s_and_saveexec_b64 s[0:1], vcc
	s_xor_b64 s[0:1], exec, s[0:1]
	s_cbranch_execz .LBB5_15
; %bb.10:                               ;   in Loop: Header=BB5_9 Depth=1
	v_cmp_lt_i32_e32 vcc, 2, v20
	s_and_saveexec_b64 s[2:3], vcc
	s_xor_b64 s[2:3], exec, s[2:3]
; %bb.11:                               ;   in Loop: Header=BB5_9 Depth=1
	v_mov_b32_e32 v8, v3
	v_mov_b32_e32 v9, v4
	v_pk_mov_b32 v[0:1], v[8:9], v[8:9] op_sel:[0,1]
	v_pk_mov_b32 v[2:3], v[10:11], v[10:11] op_sel:[0,1]
                                        ; implicit-def: $vgpr10_vgpr11
; %bb.12:                               ;   in Loop: Header=BB5_9 Depth=1
	s_andn2_saveexec_b64 s[2:3], s[2:3]
; %bb.13:                               ;   in Loop: Header=BB5_9 Depth=1
	v_mov_b32_e32 v0, v2
	v_mov_b32_e32 v1, v3
	;; [unrolled: 1-line block ×4, first 2 shown]
; %bb.14:                               ;   in Loop: Header=BB5_9 Depth=1
	s_or_b64 exec, exec, s[2:3]
.LBB5_15:                               ;   in Loop: Header=BB5_9 Depth=1
	s_andn2_saveexec_b64 s[0:1], s[0:1]
	s_cbranch_execz .LBB5_19
; %bb.16:                               ;   in Loop: Header=BB5_9 Depth=1
	v_cmp_eq_u32_e32 vcc, 1, v20
	s_and_saveexec_b64 s[2:3], vcc
; %bb.17:                               ;   in Loop: Header=BB5_9 Depth=1
	v_mov_b32_e32 v0, v1
	v_mov_b32_e32 v1, v2
	;; [unrolled: 1-line block ×4, first 2 shown]
; %bb.18:                               ;   in Loop: Header=BB5_9 Depth=1
	s_or_b64 exec, exec, s[2:3]
.LBB5_19:                               ;   in Loop: Header=BB5_9 Depth=1
	s_or_b64 exec, exec, s[0:1]
	v_cndmask_b32_e64 v7, 0, 1, s[40:41]
	v_cmp_gt_i64_e32 vcc, s[24:25], v[16:17]
	v_cmp_ne_u32_e64 s[0:1], 1, v7
	s_and_saveexec_b64 s[58:59], vcc
	s_cbranch_execz .LBB5_39
; %bb.20:                               ;   in Loop: Header=BB5_9 Depth=1
	s_and_b64 vcc, exec, s[0:1]
	s_cbranch_vccnz .LBB5_26
; %bb.21:                               ;   in Loop: Header=BB5_9 Depth=1
	s_andn2_b64 vcc, exec, s[42:43]
	s_cbranch_vccnz .LBB5_27
; %bb.22:                               ;   in Loop: Header=BB5_9 Depth=1
	s_mov_b32 s4, 0
	s_andn2_b64 vcc, exec, s[52:53]
	v_mov_b32_e32 v8, 0
	s_cbranch_vccnz .LBB5_28
; %bb.23:                               ;   in Loop: Header=BB5_9 Depth=1
	s_waitcnt lgkmcnt(0)
	s_mov_b32 s49, 0
	v_mov_b32_e32 v8, 0
	s_mov_b64 s[2:3], s[34:35]
	s_mov_b64 s[60:61], s[44:45]
	v_mov_b32_e32 v7, v16
.LBB5_24:                               ;   Parent Loop BB5_9 Depth=1
                                        ; =>  This Inner Loop Header: Depth=2
	s_load_dwordx8 s[16:23], s[2:3], 0x4
	s_load_dwordx4 s[4:7], s[2:3], 0x24
	s_load_dwordx4 s[36:39], s[60:61], 0x0
	s_add_u32 s2, s2, 48
	s_addc_u32 s3, s3, 0
	s_waitcnt lgkmcnt(0)
	v_mul_hi_u32 v9, s17, v7
	v_add_u32_e32 v9, v7, v9
	v_lshrrev_b32_e32 v9, s18, v9
	v_mul_lo_u32 v10, v9, s16
	v_mul_hi_u32 v11, s20, v9
	v_sub_u32_e32 v7, v7, v10
	v_add_u32_e32 v10, v9, v11
	v_lshrrev_b32_e32 v10, s21, v10
	v_mul_lo_u32 v11, v10, s19
	v_mul_hi_u32 v15, s23, v10
	v_sub_u32_e32 v9, v9, v11
	v_add_u32_e32 v11, v10, v15
	v_mul_lo_u32 v7, v7, s36
	v_mul_lo_u32 v9, v9, s37
	v_lshrrev_b32_e32 v11, s4, v11
	v_add3_u32 v8, v7, v8, v9
	v_mul_lo_u32 v7, v11, s22
	v_mul_hi_u32 v9, s6, v11
	v_sub_u32_e32 v7, v10, v7
	v_add_u32_e32 v9, v11, v9
	v_mul_lo_u32 v10, v7, s38
	v_lshrrev_b32_e32 v7, s7, v9
	s_add_i32 s49, s49, 4
	v_mul_lo_u32 v9, v7, s5
	s_add_u32 s60, s60, 16
	v_sub_u32_e32 v9, v11, v9
	s_addc_u32 s61, s61, 0
	v_mul_lo_u32 v9, v9, s39
	s_cmp_lg_u32 s15, s49
	v_add3_u32 v8, v10, v8, v9
	s_cbranch_scc1 .LBB5_24
; %bb.25:                               ;   in Loop: Header=BB5_9 Depth=1
	s_mov_b32 s4, s15
	s_andn2_b64 vcc, exec, s[56:57]
	s_cbranch_vccz .LBB5_29
	s_branch .LBB5_31
.LBB5_26:                               ;   in Loop: Header=BB5_9 Depth=1
                                        ; implicit-def: $vgpr8
	s_branch .LBB5_32
.LBB5_27:                               ;   in Loop: Header=BB5_9 Depth=1
	v_mov_b32_e32 v8, 0
	s_branch .LBB5_31
.LBB5_28:                               ;   in Loop: Header=BB5_9 Depth=1
	v_mov_b32_e32 v7, v16
	s_andn2_b64 vcc, exec, s[56:57]
	s_cbranch_vccnz .LBB5_31
.LBB5_29:                               ;   in Loop: Header=BB5_9 Depth=1
	s_lshl_b32 s2, s4, 2
	s_add_u32 s2, s44, s2
	s_addc_u32 s3, s45, 0
	s_mul_i32 s4, s4, 12
	s_add_u32 s4, s34, s4
	s_addc_u32 s5, s35, 0
	s_mov_b32 s6, s13
.LBB5_30:                               ;   Parent Loop BB5_9 Depth=1
                                        ; =>  This Inner Loop Header: Depth=2
	s_load_dwordx2 s[16:17], s[4:5], 0x4
	s_load_dword s7, s[4:5], 0xc
	s_load_dword s18, s[2:3], 0x0
	s_add_u32 s4, s4, 12
	s_addc_u32 s5, s5, 0
	s_waitcnt lgkmcnt(0)
	v_mul_hi_u32 v9, s17, v7
	v_add_u32_e32 v9, v7, v9
	v_lshrrev_b32_e32 v9, s7, v9
	s_add_u32 s2, s2, 4
	v_mul_lo_u32 v10, v9, s16
	s_addc_u32 s3, s3, 0
	s_add_i32 s6, s6, -1
	v_sub_u32_e32 v10, v7, v10
	s_cmp_lg_u32 s6, 0
	v_mov_b32_e32 v7, v9
	v_mad_u64_u32 v[8:9], s[16:17], v10, s18, v[8:9]
	s_cbranch_scc1 .LBB5_30
.LBB5_31:                               ;   in Loop: Header=BB5_9 Depth=1
	s_cbranch_execnz .LBB5_34
.LBB5_32:                               ;   in Loop: Header=BB5_9 Depth=1
	v_mul_hi_u32 v7, v16, s10
	v_add_u32_e32 v7, v7, v16
	v_lshrrev_b32_e32 v7, s11, v7
	v_mul_lo_u32 v8, v7, s9
	v_sub_u32_e32 v8, v16, v8
	s_andn2_b64 vcc, exec, s[46:47]
	s_waitcnt lgkmcnt(0)
	v_mul_lo_u32 v8, v8, s50
	s_cbranch_vccnz .LBB5_34
; %bb.33:                               ;   in Loop: Header=BB5_9 Depth=1
	v_mul_hi_u32 v9, s8, v7
	v_add_u32_e32 v9, v7, v9
	v_lshrrev_b32_e32 v9, s14, v9
	v_mul_lo_u32 v9, v9, s12
	v_sub_u32_e32 v7, v7, v9
	v_mad_u64_u32 v[8:9], s[2:3], v7, s51, v[8:9]
.LBB5_34:                               ;   in Loop: Header=BB5_9 Depth=1
	s_waitcnt lgkmcnt(0)
	v_or_b32_e32 v15, s31, v0
	v_cmp_ne_u64_e32 vcc, 0, v[14:15]
                                        ; implicit-def: $vgpr10_vgpr11
	s_and_saveexec_b64 s[2:3], vcc
	s_xor_b64 s[4:5], exec, s[2:3]
	s_cbranch_execz .LBB5_36
; %bb.35:                               ;   in Loop: Header=BB5_9 Depth=1
	v_cvt_f32_u32_e32 v7, s30
	v_cvt_f32_u32_e32 v9, s31
	s_sub_u32 s2, 0, s30
	s_subb_u32 s3, 0, s31
	v_mac_f32_e32 v7, 0x4f800000, v9
	v_rcp_f32_e32 v7, v7
	v_mul_f32_e32 v7, 0x5f7ffffc, v7
	v_mul_f32_e32 v9, 0x2f800000, v7
	v_trunc_f32_e32 v9, v9
	v_mac_f32_e32 v7, 0xcf800000, v9
	v_cvt_u32_f32_e32 v9, v9
	v_cvt_u32_f32_e32 v7, v7
	v_mul_lo_u32 v10, s2, v9
	v_mul_hi_u32 v15, s2, v7
	v_mul_lo_u32 v11, s3, v7
	v_add_u32_e32 v10, v15, v10
	v_mul_lo_u32 v19, s2, v7
	v_add_u32_e32 v10, v10, v11
	v_mul_hi_u32 v15, v7, v19
	v_mul_lo_u32 v43, v7, v10
	v_mul_hi_u32 v11, v7, v10
	v_add_co_u32_e32 v15, vcc, v15, v43
	v_addc_co_u32_e32 v11, vcc, 0, v11, vcc
	v_mul_hi_u32 v44, v9, v19
	v_mul_lo_u32 v19, v9, v19
	v_add_co_u32_e32 v15, vcc, v15, v19
	v_mul_hi_u32 v43, v9, v10
	v_addc_co_u32_e32 v11, vcc, v11, v44, vcc
	v_addc_co_u32_e32 v15, vcc, 0, v43, vcc
	v_mul_lo_u32 v10, v9, v10
	v_add_co_u32_e32 v10, vcc, v11, v10
	v_addc_co_u32_e32 v11, vcc, 0, v15, vcc
	v_add_co_u32_e32 v7, vcc, v7, v10
	v_addc_co_u32_e32 v9, vcc, v9, v11, vcc
	v_mul_lo_u32 v10, s2, v9
	v_mul_hi_u32 v11, s2, v7
	v_add_u32_e32 v10, v11, v10
	v_mul_lo_u32 v11, s3, v7
	v_add_u32_e32 v10, v10, v11
	v_mul_lo_u32 v15, s2, v7
	v_mul_hi_u32 v19, v9, v15
	v_mul_lo_u32 v43, v9, v15
	v_mul_lo_u32 v45, v7, v10
	v_mul_hi_u32 v15, v7, v15
	v_mul_hi_u32 v44, v7, v10
	v_add_co_u32_e32 v15, vcc, v15, v45
	v_addc_co_u32_e32 v44, vcc, 0, v44, vcc
	v_add_co_u32_e32 v15, vcc, v15, v43
	v_mul_hi_u32 v11, v9, v10
	v_addc_co_u32_e32 v15, vcc, v44, v19, vcc
	v_addc_co_u32_e32 v11, vcc, 0, v11, vcc
	v_mul_lo_u32 v10, v9, v10
	v_add_co_u32_e32 v10, vcc, v15, v10
	v_addc_co_u32_e32 v11, vcc, 0, v11, vcc
	v_add_co_u32_e32 v7, vcc, v7, v10
	v_addc_co_u32_e32 v9, vcc, v9, v11, vcc
	v_mad_u64_u32 v[10:11], s[2:3], v1, v9, 0
	v_mul_hi_u32 v15, v1, v7
	v_add_co_u32_e32 v15, vcc, v15, v10
	v_addc_co_u32_e32 v19, vcc, 0, v11, vcc
	v_mad_u64_u32 v[44:45], s[2:3], v0, v7, 0
	v_add_co_u32_e32 v7, vcc, v15, v44
	v_mad_u64_u32 v[10:11], s[2:3], v0, v9, 0
	v_addc_co_u32_e32 v7, vcc, v19, v45, vcc
	v_addc_co_u32_e32 v9, vcc, 0, v11, vcc
	v_add_co_u32_e32 v7, vcc, v7, v10
	v_addc_co_u32_e32 v9, vcc, 0, v9, vcc
	v_mul_lo_u32 v15, s31, v7
	v_mul_lo_u32 v9, s30, v9
	v_mad_u64_u32 v[10:11], s[2:3], s30, v7, 0
	v_add3_u32 v7, v11, v9, v15
	v_sub_u32_e32 v9, v0, v7
	v_mov_b32_e32 v11, s31
	v_sub_co_u32_e32 v10, vcc, v1, v10
	v_subb_co_u32_e64 v9, s[2:3], v9, v11, vcc
	v_subrev_co_u32_e64 v11, s[2:3], s30, v10
	v_subbrev_co_u32_e64 v9, s[2:3], 0, v9, s[2:3]
	v_cmp_le_u32_e64 s[2:3], s31, v9
	v_subb_co_u32_e32 v0, vcc, v0, v7, vcc
	v_cndmask_b32_e64 v15, 0, -1, s[2:3]
	v_cmp_le_u32_e64 s[2:3], s30, v11
	v_cmp_le_u32_e32 vcc, s31, v0
	v_cndmask_b32_e64 v19, 0, -1, s[2:3]
	v_cmp_eq_u32_e64 s[2:3], s31, v9
	v_cndmask_b32_e64 v7, 0, -1, vcc
	v_cmp_le_u32_e32 vcc, s30, v10
	v_cndmask_b32_e64 v9, v15, v19, s[2:3]
	v_cndmask_b32_e64 v19, 0, -1, vcc
	v_cmp_eq_u32_e32 vcc, s31, v0
	v_subrev_co_u32_e64 v15, s[2:3], s30, v11
	v_cndmask_b32_e32 v0, v7, v19, vcc
	v_cmp_ne_u32_e32 vcc, 0, v9
	v_cndmask_b32_e32 v7, v11, v15, vcc
	v_cmp_ne_u32_e32 vcc, 0, v0
	v_cndmask_b32_e32 v10, v10, v7, vcc
.LBB5_36:                               ;   in Loop: Header=BB5_9 Depth=1
	s_andn2_saveexec_b64 s[2:3], s[4:5]
	s_cbranch_execz .LBB5_38
; %bb.37:                               ;   in Loop: Header=BB5_9 Depth=1
	v_cvt_f32_u32_e32 v0, s30
	s_sub_i32 s4, 0, s30
	v_rcp_iflag_f32_e32 v0, v0
	v_mul_f32_e32 v0, 0x4f7ffffe, v0
	v_cvt_u32_f32_e32 v0, v0
	v_mul_lo_u32 v7, s4, v0
	v_mul_hi_u32 v7, v0, v7
	v_add_u32_e32 v0, v0, v7
	v_mul_hi_u32 v0, v1, v0
	v_mul_lo_u32 v0, v0, s30
	v_sub_u32_e32 v0, v1, v0
	v_subrev_u32_e32 v1, s30, v0
	v_cmp_le_u32_e32 vcc, s30, v0
	v_cndmask_b32_e32 v0, v0, v1, vcc
	v_subrev_u32_e32 v1, s30, v0
	v_cmp_le_u32_e32 vcc, s30, v0
	v_cndmask_b32_e32 v10, v0, v1, vcc
.LBB5_38:                               ;   in Loop: Header=BB5_9 Depth=1
	s_or_b64 exec, exec, s[2:3]
	v_add_u32_e32 v0, s48, v10
	global_store_byte v8, v0, s[28:29]
.LBB5_39:                               ;   in Loop: Header=BB5_9 Depth=1
	s_or_b64 exec, exec, s[58:59]
	v_mov_b32_e32 v1, s63
	v_add_co_u32_e32 v0, vcc, s33, v16
	v_addc_co_u32_e32 v1, vcc, v17, v1, vcc
	v_cmp_gt_i64_e32 vcc, s[24:25], v[0:1]
	s_and_saveexec_b64 s[36:37], vcc
	s_cbranch_execz .LBB5_8
; %bb.40:                               ;   in Loop: Header=BB5_9 Depth=1
	s_and_b64 vcc, exec, s[0:1]
	s_cbranch_vccnz .LBB5_46
; %bb.41:                               ;   in Loop: Header=BB5_9 Depth=1
	s_andn2_b64 vcc, exec, s[42:43]
	s_cbranch_vccnz .LBB5_47
; %bb.42:                               ;   in Loop: Header=BB5_9 Depth=1
	s_mov_b32 s2, 0
	s_andn2_b64 vcc, exec, s[52:53]
	v_mov_b32_e32 v8, 0
	s_cbranch_vccnz .LBB5_48
; %bb.43:                               ;   in Loop: Header=BB5_9 Depth=1
	s_waitcnt lgkmcnt(0)
	s_mov_b32 s49, 0
	v_mov_b32_e32 v8, 0
	s_mov_b64 s[38:39], s[34:35]
	s_mov_b64 s[58:59], s[44:45]
	v_mov_b32_e32 v1, v0
.LBB5_44:                               ;   Parent Loop BB5_9 Depth=1
                                        ; =>  This Inner Loop Header: Depth=2
	s_load_dwordx8 s[0:7], s[38:39], 0x4
	s_load_dwordx4 s[16:19], s[38:39], 0x24
	s_load_dwordx4 s[20:23], s[58:59], 0x0
	s_add_u32 s38, s38, 48
	s_addc_u32 s39, s39, 0
	s_waitcnt lgkmcnt(0)
	v_mul_hi_u32 v7, s1, v1
	v_add_u32_e32 v7, v1, v7
	v_lshrrev_b32_e32 v7, s2, v7
	v_mul_lo_u32 v9, v7, s0
	v_mul_hi_u32 v10, s4, v7
	v_sub_u32_e32 v1, v1, v9
	v_add_u32_e32 v9, v7, v10
	v_lshrrev_b32_e32 v9, s5, v9
	v_mul_lo_u32 v10, v9, s3
	v_mul_hi_u32 v11, s7, v9
	v_sub_u32_e32 v7, v7, v10
	v_add_u32_e32 v10, v9, v11
	v_mul_lo_u32 v1, v1, s20
	v_mul_lo_u32 v7, v7, s21
	v_lshrrev_b32_e32 v10, s16, v10
	v_add3_u32 v7, v1, v8, v7
	v_mul_lo_u32 v1, v10, s6
	v_mul_hi_u32 v8, s18, v10
	v_sub_u32_e32 v1, v9, v1
	v_add_u32_e32 v8, v10, v8
	v_mul_lo_u32 v9, v1, s22
	v_lshrrev_b32_e32 v1, s19, v8
	s_add_i32 s49, s49, 4
	v_mul_lo_u32 v8, v1, s17
	s_add_u32 s58, s58, 16
	v_sub_u32_e32 v8, v10, v8
	s_addc_u32 s59, s59, 0
	v_mul_lo_u32 v8, v8, s23
	s_cmp_eq_u32 s15, s49
	v_add3_u32 v8, v9, v7, v8
	s_cbranch_scc0 .LBB5_44
; %bb.45:                               ;   in Loop: Header=BB5_9 Depth=1
	s_mov_b32 s2, s15
	s_andn2_b64 vcc, exec, s[56:57]
	s_cbranch_vccz .LBB5_49
	s_branch .LBB5_51
.LBB5_46:                               ;   in Loop: Header=BB5_9 Depth=1
                                        ; implicit-def: $vgpr8
	s_branch .LBB5_52
.LBB5_47:                               ;   in Loop: Header=BB5_9 Depth=1
	v_mov_b32_e32 v8, 0
	s_branch .LBB5_51
.LBB5_48:                               ;   in Loop: Header=BB5_9 Depth=1
	v_mov_b32_e32 v1, v0
	s_andn2_b64 vcc, exec, s[56:57]
	s_cbranch_vccnz .LBB5_51
.LBB5_49:                               ;   in Loop: Header=BB5_9 Depth=1
	s_lshl_b32 s0, s2, 2
	s_add_u32 s0, s44, s0
	s_addc_u32 s1, s45, 0
	s_mul_i32 s2, s2, 12
	s_add_u32 s2, s34, s2
	s_addc_u32 s3, s35, 0
	s_mov_b32 s4, s13
.LBB5_50:                               ;   Parent Loop BB5_9 Depth=1
                                        ; =>  This Inner Loop Header: Depth=2
	s_load_dwordx2 s[6:7], s[2:3], 0x4
	s_load_dword s5, s[2:3], 0xc
	s_load_dword s16, s[0:1], 0x0
	s_add_u32 s2, s2, 12
	s_addc_u32 s3, s3, 0
	s_waitcnt lgkmcnt(0)
	v_mul_hi_u32 v7, s7, v1
	v_add_u32_e32 v7, v1, v7
	v_lshrrev_b32_e32 v7, s5, v7
	s_add_u32 s0, s0, 4
	v_mul_lo_u32 v9, v7, s6
	s_addc_u32 s1, s1, 0
	s_add_i32 s4, s4, -1
	v_sub_u32_e32 v9, v1, v9
	s_cmp_lg_u32 s4, 0
	v_mov_b32_e32 v1, v7
	v_mad_u64_u32 v[8:9], s[6:7], v9, s16, v[8:9]
	s_cbranch_scc1 .LBB5_50
.LBB5_51:                               ;   in Loop: Header=BB5_9 Depth=1
	s_cbranch_execnz .LBB5_54
.LBB5_52:                               ;   in Loop: Header=BB5_9 Depth=1
	v_mul_hi_u32 v1, v0, s10
	v_add_u32_e32 v1, v1, v0
	v_lshrrev_b32_e32 v1, s11, v1
	v_mul_lo_u32 v7, v1, s9
	v_sub_u32_e32 v0, v0, v7
	s_andn2_b64 vcc, exec, s[46:47]
	s_waitcnt lgkmcnt(0)
	v_mul_lo_u32 v8, v0, s50
	s_cbranch_vccnz .LBB5_54
; %bb.53:                               ;   in Loop: Header=BB5_9 Depth=1
	v_mul_hi_u32 v0, s8, v1
	v_add_u32_e32 v0, v1, v0
	v_lshrrev_b32_e32 v0, s14, v0
	v_mul_lo_u32 v0, v0, s12
	v_sub_u32_e32 v0, v1, v0
	v_mad_u64_u32 v[8:9], s[0:1], v0, s51, v[8:9]
.LBB5_54:                               ;   in Loop: Header=BB5_9 Depth=1
	s_waitcnt lgkmcnt(0)
	v_or_b32_e32 v15, s31, v2
	v_cmp_ne_u64_e32 vcc, 0, v[14:15]
                                        ; implicit-def: $vgpr10_vgpr11
	s_and_saveexec_b64 s[0:1], vcc
	s_xor_b64 s[2:3], exec, s[0:1]
	s_cbranch_execz .LBB5_56
; %bb.55:                               ;   in Loop: Header=BB5_9 Depth=1
	v_cvt_f32_u32_e32 v0, s30
	v_cvt_f32_u32_e32 v1, s31
	s_sub_u32 s0, 0, s30
	s_subb_u32 s1, 0, s31
	v_mac_f32_e32 v0, 0x4f800000, v1
	v_rcp_f32_e32 v0, v0
	v_mul_f32_e32 v0, 0x5f7ffffc, v0
	v_mul_f32_e32 v1, 0x2f800000, v0
	v_trunc_f32_e32 v1, v1
	v_mac_f32_e32 v0, 0xcf800000, v1
	v_cvt_u32_f32_e32 v1, v1
	v_cvt_u32_f32_e32 v0, v0
	v_mul_lo_u32 v7, s0, v1
	v_mul_hi_u32 v10, s0, v0
	v_mul_lo_u32 v9, s1, v0
	v_add_u32_e32 v7, v10, v7
	v_mul_lo_u32 v11, s0, v0
	v_add_u32_e32 v7, v7, v9
	v_mul_hi_u32 v10, v0, v11
	v_mul_lo_u32 v15, v0, v7
	v_mul_hi_u32 v9, v0, v7
	v_add_co_u32_e32 v10, vcc, v10, v15
	v_addc_co_u32_e32 v9, vcc, 0, v9, vcc
	v_mul_hi_u32 v19, v1, v11
	v_mul_lo_u32 v11, v1, v11
	v_add_co_u32_e32 v10, vcc, v10, v11
	v_mul_hi_u32 v15, v1, v7
	v_addc_co_u32_e32 v9, vcc, v9, v19, vcc
	v_addc_co_u32_e32 v10, vcc, 0, v15, vcc
	v_mul_lo_u32 v7, v1, v7
	v_add_co_u32_e32 v7, vcc, v9, v7
	v_addc_co_u32_e32 v9, vcc, 0, v10, vcc
	v_add_co_u32_e32 v0, vcc, v0, v7
	v_addc_co_u32_e32 v1, vcc, v1, v9, vcc
	v_mul_lo_u32 v7, s0, v1
	v_mul_hi_u32 v9, s0, v0
	v_add_u32_e32 v7, v9, v7
	v_mul_lo_u32 v9, s1, v0
	v_add_u32_e32 v7, v7, v9
	v_mul_lo_u32 v10, s0, v0
	v_mul_hi_u32 v11, v1, v10
	v_mul_lo_u32 v15, v1, v10
	v_mul_lo_u32 v43, v0, v7
	v_mul_hi_u32 v10, v0, v10
	v_mul_hi_u32 v19, v0, v7
	v_add_co_u32_e32 v10, vcc, v10, v43
	v_addc_co_u32_e32 v19, vcc, 0, v19, vcc
	v_add_co_u32_e32 v10, vcc, v10, v15
	v_mul_hi_u32 v9, v1, v7
	v_addc_co_u32_e32 v10, vcc, v19, v11, vcc
	v_addc_co_u32_e32 v9, vcc, 0, v9, vcc
	v_mul_lo_u32 v7, v1, v7
	v_add_co_u32_e32 v7, vcc, v10, v7
	v_addc_co_u32_e32 v9, vcc, 0, v9, vcc
	v_add_co_u32_e32 v7, vcc, v0, v7
	v_addc_co_u32_e32 v9, vcc, v1, v9, vcc
	v_mad_u64_u32 v[0:1], s[0:1], v3, v9, 0
	v_mul_hi_u32 v10, v3, v7
	v_add_co_u32_e32 v15, vcc, v10, v0
	v_addc_co_u32_e32 v19, vcc, 0, v1, vcc
	v_mad_u64_u32 v[10:11], s[0:1], v2, v7, 0
	v_add_co_u32_e32 v7, vcc, v15, v10
	v_mad_u64_u32 v[0:1], s[0:1], v2, v9, 0
	v_addc_co_u32_e32 v7, vcc, v19, v11, vcc
	v_addc_co_u32_e32 v1, vcc, 0, v1, vcc
	v_add_co_u32_e32 v0, vcc, v7, v0
	v_addc_co_u32_e32 v1, vcc, 0, v1, vcc
	v_mul_lo_u32 v7, s31, v0
	v_mul_lo_u32 v9, s30, v1
	v_mad_u64_u32 v[0:1], s[0:1], s30, v0, 0
	v_add3_u32 v1, v1, v9, v7
	v_sub_u32_e32 v7, v2, v1
	v_mov_b32_e32 v9, s31
	v_sub_co_u32_e32 v0, vcc, v3, v0
	v_subb_co_u32_e64 v3, s[0:1], v7, v9, vcc
	v_subrev_co_u32_e64 v7, s[0:1], s30, v0
	v_subbrev_co_u32_e64 v3, s[0:1], 0, v3, s[0:1]
	v_cmp_le_u32_e64 s[0:1], s31, v3
	v_subb_co_u32_e32 v1, vcc, v2, v1, vcc
	v_cndmask_b32_e64 v9, 0, -1, s[0:1]
	v_cmp_le_u32_e64 s[0:1], s30, v7
	v_cmp_le_u32_e32 vcc, s31, v1
	v_cndmask_b32_e64 v10, 0, -1, s[0:1]
	v_cmp_eq_u32_e64 s[0:1], s31, v3
	v_cndmask_b32_e64 v2, 0, -1, vcc
	v_cmp_le_u32_e32 vcc, s30, v0
	v_cndmask_b32_e64 v3, v9, v10, s[0:1]
	v_cndmask_b32_e64 v10, 0, -1, vcc
	v_cmp_eq_u32_e32 vcc, s31, v1
	v_subrev_co_u32_e64 v9, s[0:1], s30, v7
	v_cndmask_b32_e32 v1, v2, v10, vcc
	v_cmp_ne_u32_e32 vcc, 0, v3
	v_cndmask_b32_e32 v2, v7, v9, vcc
	v_cmp_ne_u32_e32 vcc, 0, v1
	v_cndmask_b32_e32 v10, v0, v2, vcc
                                        ; implicit-def: $vgpr0_vgpr1_vgpr2_vgpr3
.LBB5_56:                               ;   in Loop: Header=BB5_9 Depth=1
	s_andn2_saveexec_b64 s[0:1], s[2:3]
	s_cbranch_execz .LBB5_7
; %bb.57:                               ;   in Loop: Header=BB5_9 Depth=1
	v_cvt_f32_u32_e32 v0, s30
	s_sub_i32 s2, 0, s30
	v_rcp_iflag_f32_e32 v0, v0
	v_mul_f32_e32 v0, 0x4f7ffffe, v0
	v_cvt_u32_f32_e32 v0, v0
	v_mul_lo_u32 v1, s2, v0
	v_mul_hi_u32 v1, v0, v1
	v_add_u32_e32 v0, v0, v1
	v_mul_hi_u32 v0, v3, v0
	v_mul_lo_u32 v0, v0, s30
	v_sub_u32_e32 v0, v3, v0
	v_subrev_u32_e32 v1, s30, v0
	v_cmp_le_u32_e32 vcc, s30, v0
	v_cndmask_b32_e32 v0, v0, v1, vcc
	v_subrev_u32_e32 v1, s30, v0
	v_cmp_le_u32_e32 vcc, s30, v0
	v_cndmask_b32_e32 v10, v0, v1, vcc
	s_branch .LBB5_7
.LBB5_58:
	s_endpgm
.LBB5_59:
                                        ; implicit-def: $sgpr2_sgpr3
	s_andn2_b64 vcc, exec, s[0:1]
	s_cbranch_vccz .LBB5_4
	s_branch .LBB5_5
	.section	.rodata,"a",@progbits
	.p2align	6, 0x0
	.amdhsa_kernel _ZN2at6native12_GLOBAL__N_143distribution_elementwise_grid_stride_kernelImLi2EZZZNS0_9templates4cuda21random_from_to_kernelIPNS_17CUDAGeneratorImplEEEvRNS_18TensorIteratorBaseEmlT_ENKUlvE_clEvENKUlvE0_clEvEUlP25hiprandStatePhilox4_32_10E_ZNS1_27distribution_nullary_kernelIam15HIP_vector_typeIyLj2EES7_SF_ZZZNS5_IS7_EEvS9_mlSA_ENKSB_clEvENKSC_clEvEUlmE_EEvS9_T2_RKT3_T4_EUlimE0_EEvlNS_15PhiloxCudaStateET1_SK_
		.amdhsa_group_segment_fixed_size 0
		.amdhsa_private_segment_fixed_size 0
		.amdhsa_kernarg_size 592
		.amdhsa_user_sgpr_count 6
		.amdhsa_user_sgpr_private_segment_buffer 1
		.amdhsa_user_sgpr_dispatch_ptr 0
		.amdhsa_user_sgpr_queue_ptr 0
		.amdhsa_user_sgpr_kernarg_segment_ptr 1
		.amdhsa_user_sgpr_dispatch_id 0
		.amdhsa_user_sgpr_flat_scratch_init 0
		.amdhsa_user_sgpr_kernarg_preload_length 0
		.amdhsa_user_sgpr_kernarg_preload_offset 0
		.amdhsa_user_sgpr_private_segment_size 0
		.amdhsa_uses_dynamic_stack 0
		.amdhsa_system_sgpr_private_segment_wavefront_offset 0
		.amdhsa_system_sgpr_workgroup_id_x 1
		.amdhsa_system_sgpr_workgroup_id_y 0
		.amdhsa_system_sgpr_workgroup_id_z 0
		.amdhsa_system_sgpr_workgroup_info 0
		.amdhsa_system_vgpr_workitem_id 0
		.amdhsa_next_free_vgpr 46
		.amdhsa_next_free_sgpr 66
		.amdhsa_accum_offset 48
		.amdhsa_reserve_vcc 1
		.amdhsa_reserve_flat_scratch 0
		.amdhsa_float_round_mode_32 0
		.amdhsa_float_round_mode_16_64 0
		.amdhsa_float_denorm_mode_32 3
		.amdhsa_float_denorm_mode_16_64 3
		.amdhsa_dx10_clamp 1
		.amdhsa_ieee_mode 1
		.amdhsa_fp16_overflow 0
		.amdhsa_tg_split 0
		.amdhsa_exception_fp_ieee_invalid_op 0
		.amdhsa_exception_fp_denorm_src 0
		.amdhsa_exception_fp_ieee_div_zero 0
		.amdhsa_exception_fp_ieee_overflow 0
		.amdhsa_exception_fp_ieee_underflow 0
		.amdhsa_exception_fp_ieee_inexact 0
		.amdhsa_exception_int_div_zero 0
	.end_amdhsa_kernel
	.section	.text._ZN2at6native12_GLOBAL__N_143distribution_elementwise_grid_stride_kernelImLi2EZZZNS0_9templates4cuda21random_from_to_kernelIPNS_17CUDAGeneratorImplEEEvRNS_18TensorIteratorBaseEmlT_ENKUlvE_clEvENKUlvE0_clEvEUlP25hiprandStatePhilox4_32_10E_ZNS1_27distribution_nullary_kernelIam15HIP_vector_typeIyLj2EES7_SF_ZZZNS5_IS7_EEvS9_mlSA_ENKSB_clEvENKSC_clEvEUlmE_EEvS9_T2_RKT3_T4_EUlimE0_EEvlNS_15PhiloxCudaStateET1_SK_,"axG",@progbits,_ZN2at6native12_GLOBAL__N_143distribution_elementwise_grid_stride_kernelImLi2EZZZNS0_9templates4cuda21random_from_to_kernelIPNS_17CUDAGeneratorImplEEEvRNS_18TensorIteratorBaseEmlT_ENKUlvE_clEvENKUlvE0_clEvEUlP25hiprandStatePhilox4_32_10E_ZNS1_27distribution_nullary_kernelIam15HIP_vector_typeIyLj2EES7_SF_ZZZNS5_IS7_EEvS9_mlSA_ENKSB_clEvENKSC_clEvEUlmE_EEvS9_T2_RKT3_T4_EUlimE0_EEvlNS_15PhiloxCudaStateET1_SK_,comdat
.Lfunc_end5:
	.size	_ZN2at6native12_GLOBAL__N_143distribution_elementwise_grid_stride_kernelImLi2EZZZNS0_9templates4cuda21random_from_to_kernelIPNS_17CUDAGeneratorImplEEEvRNS_18TensorIteratorBaseEmlT_ENKUlvE_clEvENKUlvE0_clEvEUlP25hiprandStatePhilox4_32_10E_ZNS1_27distribution_nullary_kernelIam15HIP_vector_typeIyLj2EES7_SF_ZZZNS5_IS7_EEvS9_mlSA_ENKSB_clEvENKSC_clEvEUlmE_EEvS9_T2_RKT3_T4_EUlimE0_EEvlNS_15PhiloxCudaStateET1_SK_, .Lfunc_end5-_ZN2at6native12_GLOBAL__N_143distribution_elementwise_grid_stride_kernelImLi2EZZZNS0_9templates4cuda21random_from_to_kernelIPNS_17CUDAGeneratorImplEEEvRNS_18TensorIteratorBaseEmlT_ENKUlvE_clEvENKUlvE0_clEvEUlP25hiprandStatePhilox4_32_10E_ZNS1_27distribution_nullary_kernelIam15HIP_vector_typeIyLj2EES7_SF_ZZZNS5_IS7_EEvS9_mlSA_ENKSB_clEvENKSC_clEvEUlmE_EEvS9_T2_RKT3_T4_EUlimE0_EEvlNS_15PhiloxCudaStateET1_SK_
                                        ; -- End function
	.section	.AMDGPU.csdata,"",@progbits
; Kernel info:
; codeLenInByte = 4592
; NumSgprs: 70
; NumVgprs: 46
; NumAgprs: 0
; TotalNumVgprs: 46
; ScratchSize: 0
; MemoryBound: 0
; FloatMode: 240
; IeeeMode: 1
; LDSByteSize: 0 bytes/workgroup (compile time only)
; SGPRBlocks: 8
; VGPRBlocks: 5
; NumSGPRsForWavesPerEU: 70
; NumVGPRsForWavesPerEU: 46
; AccumOffset: 48
; Occupancy: 8
; WaveLimiterHint : 1
; COMPUTE_PGM_RSRC2:SCRATCH_EN: 0
; COMPUTE_PGM_RSRC2:USER_SGPR: 6
; COMPUTE_PGM_RSRC2:TRAP_HANDLER: 0
; COMPUTE_PGM_RSRC2:TGID_X_EN: 1
; COMPUTE_PGM_RSRC2:TGID_Y_EN: 0
; COMPUTE_PGM_RSRC2:TGID_Z_EN: 0
; COMPUTE_PGM_RSRC2:TIDIG_COMP_CNT: 0
; COMPUTE_PGM_RSRC3_GFX90A:ACCUM_OFFSET: 11
; COMPUTE_PGM_RSRC3_GFX90A:TG_SPLIT: 0
	.section	.text._ZN2at6native12_GLOBAL__N_143distribution_elementwise_grid_stride_kernelIjLi4EZZZNS0_9templates4cuda21random_from_to_kernelIPNS_17CUDAGeneratorImplEEEvRNS_18TensorIteratorBaseEmlT_ENKUlvE_clEvENKUlvE0_clEvEUlP25hiprandStatePhilox4_32_10E0_ZNS1_27distribution_nullary_kernelIaj15HIP_vector_typeIjLj4EES7_SF_ZZZNS5_IS7_EEvS9_mlSA_ENKSB_clEvENKSC_clEvEUljE_EEvS9_T2_RKT3_T4_EUlijE_EEvlNS_15PhiloxCudaStateET1_SK_,"axG",@progbits,_ZN2at6native12_GLOBAL__N_143distribution_elementwise_grid_stride_kernelIjLi4EZZZNS0_9templates4cuda21random_from_to_kernelIPNS_17CUDAGeneratorImplEEEvRNS_18TensorIteratorBaseEmlT_ENKUlvE_clEvENKUlvE0_clEvEUlP25hiprandStatePhilox4_32_10E0_ZNS1_27distribution_nullary_kernelIaj15HIP_vector_typeIjLj4EES7_SF_ZZZNS5_IS7_EEvS9_mlSA_ENKSB_clEvENKSC_clEvEUljE_EEvS9_T2_RKT3_T4_EUlijE_EEvlNS_15PhiloxCudaStateET1_SK_,comdat
	.globl	_ZN2at6native12_GLOBAL__N_143distribution_elementwise_grid_stride_kernelIjLi4EZZZNS0_9templates4cuda21random_from_to_kernelIPNS_17CUDAGeneratorImplEEEvRNS_18TensorIteratorBaseEmlT_ENKUlvE_clEvENKUlvE0_clEvEUlP25hiprandStatePhilox4_32_10E0_ZNS1_27distribution_nullary_kernelIaj15HIP_vector_typeIjLj4EES7_SF_ZZZNS5_IS7_EEvS9_mlSA_ENKSB_clEvENKSC_clEvEUljE_EEvS9_T2_RKT3_T4_EUlijE_EEvlNS_15PhiloxCudaStateET1_SK_ ; -- Begin function _ZN2at6native12_GLOBAL__N_143distribution_elementwise_grid_stride_kernelIjLi4EZZZNS0_9templates4cuda21random_from_to_kernelIPNS_17CUDAGeneratorImplEEEvRNS_18TensorIteratorBaseEmlT_ENKUlvE_clEvENKUlvE0_clEvEUlP25hiprandStatePhilox4_32_10E0_ZNS1_27distribution_nullary_kernelIaj15HIP_vector_typeIjLj4EES7_SF_ZZZNS5_IS7_EEvS9_mlSA_ENKSB_clEvENKSC_clEvEUljE_EEvS9_T2_RKT3_T4_EUlijE_EEvlNS_15PhiloxCudaStateET1_SK_
	.p2align	8
	.type	_ZN2at6native12_GLOBAL__N_143distribution_elementwise_grid_stride_kernelIjLi4EZZZNS0_9templates4cuda21random_from_to_kernelIPNS_17CUDAGeneratorImplEEEvRNS_18TensorIteratorBaseEmlT_ENKUlvE_clEvENKUlvE0_clEvEUlP25hiprandStatePhilox4_32_10E0_ZNS1_27distribution_nullary_kernelIaj15HIP_vector_typeIjLj4EES7_SF_ZZZNS5_IS7_EEvS9_mlSA_ENKSB_clEvENKSC_clEvEUljE_EEvS9_T2_RKT3_T4_EUlijE_EEvlNS_15PhiloxCudaStateET1_SK_,@function
_ZN2at6native12_GLOBAL__N_143distribution_elementwise_grid_stride_kernelIjLi4EZZZNS0_9templates4cuda21random_from_to_kernelIPNS_17CUDAGeneratorImplEEEvRNS_18TensorIteratorBaseEmlT_ENKUlvE_clEvENKUlvE0_clEvEUlP25hiprandStatePhilox4_32_10E0_ZNS1_27distribution_nullary_kernelIaj15HIP_vector_typeIjLj4EES7_SF_ZZZNS5_IS7_EEvS9_mlSA_ENKSB_clEvENKSC_clEvEUljE_EEvS9_T2_RKT3_T4_EUlijE_EEvlNS_15PhiloxCudaStateET1_SK_: ; @_ZN2at6native12_GLOBAL__N_143distribution_elementwise_grid_stride_kernelIjLi4EZZZNS0_9templates4cuda21random_from_to_kernelIPNS_17CUDAGeneratorImplEEEvRNS_18TensorIteratorBaseEmlT_ENKUlvE_clEvENKUlvE0_clEvEUlP25hiprandStatePhilox4_32_10E0_ZNS1_27distribution_nullary_kernelIaj15HIP_vector_typeIjLj4EES7_SF_ZZZNS5_IS7_EEvS9_mlSA_ENKSB_clEvENKSC_clEvEUljE_EEvS9_T2_RKT3_T4_EUlijE_EEvlNS_15PhiloxCudaStateET1_SK_
; %bb.0:
	s_load_dword s7, s[4:5], 0x20
	s_load_dwordx2 s[10:11], s[4:5], 0x10
	s_load_dwordx4 s[0:3], s[4:5], 0x0
	s_mov_b32 s8, 0
	s_waitcnt lgkmcnt(0)
	s_bitcmp0_b32 s7, 0
	v_pk_mov_b32 v[2:3], s[10:11], s[10:11] op_sel:[0,1]
	v_pk_mov_b32 v[14:15], s[2:3], s[2:3] op_sel:[0,1]
	s_cbranch_scc1 .LBB6_2
; %bb.1:
	v_pk_mov_b32 v[2:3], s[10:11], s[10:11] op_sel:[0,1]
	flat_load_dwordx2 v[2:3], v[2:3]
	v_pk_mov_b32 v[4:5], s[2:3], s[2:3] op_sel:[0,1]
	flat_load_dwordx2 v[14:15], v[4:5]
	s_load_dwordx2 s[2:3], s[4:5], 0x18
	s_waitcnt lgkmcnt(0)
	v_mov_b32_e32 v1, s3
	s_waitcnt vmcnt(0)
	v_add_co_u32_e32 v2, vcc, s2, v2
	v_addc_co_u32_e32 v3, vcc, v3, v1, vcc
.LBB6_2:
	s_load_dword s2, s[4:5], 0x5c
	s_load_dword s14, s[4:5], 0x50
	s_waitcnt lgkmcnt(0)
	s_and_b32 s7, s2, 0xffff
	s_add_u32 s10, s0, -1
	s_mul_i32 s16, s14, s7
	s_addc_u32 s9, s1, -1
	s_lshl_b32 s17, s16, 2
	s_cmp_lg_u64 s[8:9], 0
	s_mov_b64 s[2:3], -1
	s_cbranch_scc0 .LBB6_35
; %bb.3:
	v_cvt_f32_u32_e32 v1, s17
	v_cvt_f32_ubyte0_e32 v4, 0
	s_sub_u32 s8, 0, s17
	s_subb_u32 s11, 0, 0
	v_madmk_f32 v1, v4, 0x4f800000, v1
	v_rcp_f32_e32 v1, v1
	v_mul_f32_e32 v1, 0x5f7ffffc, v1
	v_mul_f32_e32 v4, 0x2f800000, v1
	v_trunc_f32_e32 v4, v4
	v_madmk_f32 v1, v4, 0xcf800000, v1
	v_cvt_u32_f32_e32 v4, v4
	v_cvt_u32_f32_e32 v1, v1
	v_readfirstlane_b32 s12, v4
	v_readfirstlane_b32 s13, v1
	s_mul_i32 s15, s8, s12
	s_mul_hi_u32 s19, s8, s13
	s_mul_i32 s18, s11, s13
	s_add_i32 s15, s19, s15
	s_add_i32 s15, s15, s18
	s_mul_i32 s20, s8, s13
	s_mul_hi_u32 s18, s13, s15
	s_mul_i32 s19, s13, s15
	s_mul_hi_u32 s13, s13, s20
	s_add_u32 s13, s13, s19
	s_addc_u32 s18, 0, s18
	s_mul_hi_u32 s21, s12, s20
	s_mul_i32 s20, s12, s20
	s_add_u32 s13, s13, s20
	s_mul_hi_u32 s19, s12, s15
	s_addc_u32 s13, s18, s21
	s_addc_u32 s18, s19, 0
	s_mul_i32 s15, s12, s15
	s_add_u32 s13, s13, s15
	s_addc_u32 s15, 0, s18
	v_add_co_u32_e32 v1, vcc, s13, v1
	s_cmp_lg_u64 vcc, 0
	s_addc_u32 s12, s12, s15
	v_readfirstlane_b32 s15, v1
	s_mul_i32 s13, s8, s12
	s_mul_hi_u32 s18, s8, s15
	s_add_i32 s13, s18, s13
	s_mul_i32 s11, s11, s15
	s_add_i32 s13, s13, s11
	s_mul_i32 s8, s8, s15
	s_mul_hi_u32 s18, s12, s8
	s_mul_i32 s19, s12, s8
	s_mul_i32 s21, s15, s13
	s_mul_hi_u32 s8, s15, s8
	s_mul_hi_u32 s20, s15, s13
	s_add_u32 s8, s8, s21
	s_addc_u32 s15, 0, s20
	s_add_u32 s8, s8, s19
	s_mul_hi_u32 s11, s12, s13
	s_addc_u32 s8, s15, s18
	s_addc_u32 s11, s11, 0
	s_mul_i32 s13, s12, s13
	s_add_u32 s8, s8, s13
	s_addc_u32 s11, 0, s11
	v_add_co_u32_e32 v1, vcc, s8, v1
	s_cmp_lg_u64 vcc, 0
	s_addc_u32 s11, s12, s11
	s_ashr_i32 s12, s9, 31
	s_add_u32 s8, s10, s12
	s_mov_b32 s13, s12
	s_addc_u32 s9, s9, s12
	s_xor_b64 s[8:9], s[8:9], s[12:13]
	v_readfirstlane_b32 s19, v1
	s_mul_i32 s18, s8, s11
	s_mul_hi_u32 s20, s8, s19
	s_mul_hi_u32 s15, s8, s11
	s_add_u32 s18, s20, s18
	s_addc_u32 s15, 0, s15
	s_mul_hi_u32 s21, s9, s19
	s_mul_i32 s19, s9, s19
	s_add_u32 s18, s18, s19
	s_mul_hi_u32 s20, s9, s11
	s_addc_u32 s15, s15, s21
	s_addc_u32 s18, s20, 0
	s_mul_i32 s11, s9, s11
	s_add_u32 s11, s15, s11
	s_addc_u32 s15, 0, s18
	s_add_u32 s18, s11, 1
	s_addc_u32 s19, s15, 0
	s_add_u32 s20, s11, 2
	s_mul_i32 s22, s17, s15
	s_mul_hi_u32 s23, s17, s11
	s_addc_u32 s21, s15, 0
	s_add_i32 s23, s23, s22
	s_mul_i32 s22, s17, s11
	v_mov_b32_e32 v1, s22
	v_sub_co_u32_e32 v1, vcc, s8, v1
	s_cmp_lg_u64 vcc, 0
	s_subb_u32 s8, s9, s23
	v_subrev_co_u32_e32 v4, vcc, s17, v1
	s_cmp_lg_u64 vcc, 0
	s_subb_u32 s9, s8, 0
	v_readfirstlane_b32 s22, v4
	s_cmp_ge_u32 s22, s17
	s_cselect_b32 s22, -1, 0
	s_cmp_eq_u32 s9, 0
	s_cselect_b32 s9, s22, -1
	s_cmp_lg_u32 s9, 0
	s_cselect_b32 s9, s21, s19
	v_readfirstlane_b32 s19, v1
	s_cselect_b32 s18, s20, s18
	s_cmp_ge_u32 s19, s17
	s_cselect_b32 s19, -1, 0
	s_cmp_eq_u32 s8, 0
	s_cselect_b32 s8, s19, -1
	s_cmp_lg_u32 s8, 0
	s_cselect_b32 s9, s9, s15
	s_cselect_b32 s8, s18, s11
	s_xor_b64 s[8:9], s[8:9], s[12:13]
	s_sub_u32 s8, s8, s12
	s_subb_u32 s9, s9, s12
	s_cbranch_execnz .LBB6_5
.LBB6_4:
	v_cvt_f32_u32_e32 v1, s17
	s_sub_i32 s2, 0, s17
	s_mov_b32 s9, 0
	v_rcp_iflag_f32_e32 v1, v1
	v_mul_f32_e32 v1, 0x4f7ffffe, v1
	v_cvt_u32_f32_e32 v1, v1
	v_readfirstlane_b32 s3, v1
	s_mul_i32 s2, s2, s3
	s_mul_hi_u32 s2, s3, s2
	s_add_i32 s3, s3, s2
	s_mul_hi_u32 s2, s10, s3
	s_mul_i32 s8, s2, s17
	s_sub_i32 s8, s10, s8
	s_add_i32 s3, s2, 1
	s_sub_i32 s10, s8, s17
	s_cmp_ge_u32 s8, s17
	s_cselect_b32 s2, s3, s2
	s_cselect_b32 s8, s10, s8
	s_add_i32 s3, s2, 1
	s_cmp_ge_u32 s8, s17
	s_cselect_b32 s8, s3, s2
.LBB6_5:
	v_mov_b32_e32 v1, 0
	v_mov_b32_e32 v4, s6
	v_mad_u64_u32 v[16:17], s[2:3], s7, v4, v[0:1]
	s_add_u32 s2, s8, 1
	s_addc_u32 s3, s9, 0
	s_mul_hi_u32 s8, s14, s7
	s_mul_i32 s3, s16, s3
	s_mul_hi_u32 s9, s16, s2
	s_add_i32 s3, s9, s3
	s_mul_i32 s8, s8, s2
	s_add_i32 s3, s3, s8
	s_mul_i32 s2, s16, s2
	s_lshl_b64 s[2:3], s[2:3], 2
	v_cmp_gt_i64_e32 vcc, s[2:3], v[16:17]
	s_and_saveexec_b64 s[8:9], vcc
	s_cbranch_execz .LBB6_34
; %bb.6:
	s_load_dwordx2 s[12:13], s[4:5], 0x30
	s_load_dword s15, s[4:5], 0x38
	s_load_dwordx4 s[8:11], s[4:5], 0x40
	v_mov_b32_e32 v4, v15
	s_mov_b32 s4, 0xdb3d7428
	v_add_co_u32_e32 v23, vcc, s4, v4
	s_mov_b32 s4, 0x5384540f
	v_add_co_u32_e32 v24, vcc, s4, v14
	;; [unrolled: 2-line block ×7, first 2 shown]
	s_mov_b32 s4, 0x9e3779b9
	v_alignbit_b32 v31, v3, v2, 2
	s_mov_b32 s18, 0xd2511f53
	v_add_co_u32_e32 v30, vcc, s4, v14
	v_mad_u64_u32 v[6:7], s[4:5], v31, s18, 0
	v_and_b32_e32 v20, 3, v2
	v_xor_b32_e32 v2, v7, v15
	v_xor_b32_e32 v2, v2, v17
	s_mov_b32 s19, 0xcd9e8d57
	v_mad_u64_u32 v[8:9], s[4:5], v2, s19, 0
	v_xor_b32_e32 v2, v30, v9
	v_mad_u64_u32 v[10:11], s[4:5], v16, s19, 0
	v_xor_b32_e32 v2, v2, v10
	;; [unrolled: 2-line block ×3, first 2 shown]
	v_lshrrev_b32_e32 v32, 2, v3
	v_xor_b32_e32 v2, v2, v32
	v_xor_b32_e32 v5, v29, v13
	v_mad_u64_u32 v[2:3], s[4:5], v2, s18, 0
	v_xor_b32_e32 v2, v5, v2
	v_mad_u64_u32 v[10:11], s[4:5], v2, s19, 0
	s_mov_b32 s4, 0xbb67ae85
	v_add_co_u32_e32 v33, vcc, s4, v4
	v_xor_b32_e32 v2, v33, v3
	v_xor_b32_e32 v2, v2, v6
	v_xor_b32_e32 v5, v28, v11
	v_mad_u64_u32 v[2:3], s[4:5], v2, s19, 0
	v_xor_b32_e32 v2, v5, v2
	v_mad_u64_u32 v[6:7], s[4:5], v2, s18, 0
	s_mov_b32 s4, 0x3c6ef372
	v_add_co_u32_e32 v34, vcc, s4, v14
	v_xor_b32_e32 v2, v34, v3
	;; [unrolled: 8-line block ×7, first 2 shown]
	v_xor_b32_e32 v2, v2, v12
	v_mad_u64_u32 v[2:3], s[4:5], v2, s19, 0
	s_mov_b32 s4, 0xf1bbcdc8
	v_add_co_u32_e32 v40, vcc, s4, v14
	v_xor_b32_e32 v3, v40, v3
	v_xor_b32_e32 v3, v3, v10
	v_mad_u64_u32 v[10:11], s[4:5], v3, s18, 0
	s_mul_i32 s4, s6, s7
	v_xor_b32_e32 v3, v11, v6
	v_add_u32_e32 v6, s4, v0
	s_waitcnt lgkmcnt(0)
	s_mul_i32 s4, s14, s15
	s_mul_i32 s4, s4, s7
	s_lshl_b32 s24, s4, 2
	s_mul_i32 s4, s14, 3
	s_add_i32 s4, s6, s4
	s_mul_i32 s4, s4, s7
	v_mul_lo_u32 v41, s15, v6
	v_add_u32_e32 v6, s4, v0
	s_lshl_b32 s4, s14, 1
	s_add_i32 s4, s6, s4
	s_mul_i32 s4, s4, s7
	v_mul_lo_u32 v42, s15, v6
	v_add_u32_e32 v6, s4, v0
	s_add_i32 s4, s6, s14
	s_mul_i32 s4, s4, s7
	s_mov_b32 s11, 0
	v_add_u32_e32 v21, 0x8ff34781, v14
	v_add_u32_e32 v22, 0x96a522ad, v15
	v_xor_b32_e32 v2, v9, v2
	v_add_u32_e32 v0, s4, v0
	v_xor_b32_e32 v2, v21, v2
	v_xor_b32_e32 v4, v22, v3
	v_mov_b32_e32 v3, v8
	v_mov_b32_e32 v5, v10
	s_lshl_b32 s20, s16, 1
	s_mov_b32 s21, s11
	s_mul_i32 s22, s16, 3
	s_mov_b32 s23, s11
	v_mul_lo_u32 v43, s15, v6
	v_mul_lo_u32 v44, s15, v0
	s_mov_b64 s[4:5], 0
	s_mov_b32 s25, s11
	v_mov_b32_e32 v45, v16
	v_mov_b32_e32 v46, v17
	s_branch .LBB6_9
.LBB6_7:                                ;   in Loop: Header=BB6_9 Depth=1
	s_or_b64 exec, exec, s[14:15]
	v_add_u32_e32 v2, s25, v42
	v_ashrrev_i32_e32 v3, 31, v2
	v_mov_b32_e32 v4, s13
	v_add_co_u32_e32 v2, vcc, s12, v2
	v_addc_co_u32_e32 v3, vcc, v4, v3, vcc
	v_add_u32_e32 v0, s10, v0
	global_store_byte v[2:3], v0, off
.LBB6_8:                                ;   in Loop: Header=BB6_9 Depth=1
	s_or_b64 exec, exec, s[6:7]
	v_add_co_u32_e32 v16, vcc, s17, v16
	v_addc_co_u32_e32 v17, vcc, 0, v17, vcc
	v_mov_b32_e32 v9, v18
	s_add_i32 s25, s25, s24
	v_cmp_le_i64_e32 vcc, s[2:3], v[16:17]
	v_pk_mov_b32 v[2:3], v[6:7], v[6:7] op_sel:[0,1]
	s_or_b64 s[4:5], vcc, s[4:5]
	v_pk_mov_b32 v[4:5], v[8:9], v[8:9] op_sel:[0,1]
	s_barrier
	s_andn2_b64 exec, exec, s[4:5]
	s_cbranch_execz .LBB6_34
.LBB6_9:                                ; =>This Inner Loop Header: Depth=1
	v_add_co_u32_e32 v31, vcc, 1, v31
	v_cndmask_b32_e64 v0, 0, 1, vcc
	v_addc_co_u32_e32 v32, vcc, 0, v32, vcc
	v_cmp_eq_u32_e32 vcc, 0, v32
	v_cndmask_b32_e32 v0, 0, v0, vcc
	v_add_u32_e32 v45, v0, v45
	v_cmp_eq_u32_e32 vcc, 0, v45
	v_cndmask_b32_e32 v0, 0, v0, vcc
	v_mad_u64_u32 v[6:7], s[6:7], v31, s18, 0
	v_mad_u64_u32 v[8:9], s[6:7], v45, s19, 0
	v_add_u32_e32 v46, v0, v46
	v_xor_b32_e32 v0, v9, v14
	v_xor_b32_e32 v7, v7, v15
	v_xor_b32_e32 v0, v32, v0
	v_xor_b32_e32 v7, v46, v7
	v_mad_u64_u32 v[10:11], s[6:7], v0, s18, 0
	v_mad_u64_u32 v[12:13], s[6:7], v7, s19, 0
	v_xor_b32_e32 v0, v30, v13
	v_xor_b32_e32 v7, v33, v11
	v_xor_b32_e32 v0, v0, v8
	v_xor_b32_e32 v8, v7, v6
	v_mad_u64_u32 v[6:7], s[6:7], v0, s18, 0
	v_mad_u64_u32 v[8:9], s[6:7], v8, s19, 0
	;; [unrolled: 6-line block ×9, first 2 shown]
	v_xor_b32_e32 v0, v13, v6
	v_xor_b32_e32 v6, v21, v0
	;; [unrolled: 1-line block ×4, first 2 shown]
	v_mov_b32_e32 v7, v12
	v_mov_b32_e32 v8, v13
	v_cmp_lt_i32_e32 vcc, 1, v20
	s_and_saveexec_b64 s[6:7], vcc
	s_xor_b64 s[6:7], exec, s[6:7]
	s_cbranch_execnz .LBB6_12
; %bb.10:                               ;   in Loop: Header=BB6_9 Depth=1
	s_andn2_saveexec_b64 s[6:7], s[6:7]
	s_cbranch_execnz .LBB6_17
.LBB6_11:                               ;   in Loop: Header=BB6_9 Depth=1
	s_or_b64 exec, exec, s[6:7]
	v_cmp_gt_i64_e32 vcc, s[0:1], v[16:17]
	s_and_saveexec_b64 s[6:7], vcc
	s_cbranch_execnz .LBB6_20
	s_branch .LBB6_23
.LBB6_12:                               ;   in Loop: Header=BB6_9 Depth=1
	v_cmp_lt_i32_e32 vcc, 2, v20
	s_and_saveexec_b64 s[14:15], vcc
	s_xor_b64 s[14:15], exec, s[14:15]
; %bb.13:                               ;   in Loop: Header=BB6_9 Depth=1
	v_mov_b32_e32 v10, v5
	v_mov_b32_e32 v11, v6
	v_pk_mov_b32 v[2:3], v[10:11], v[10:11] op_sel:[0,1]
	v_pk_mov_b32 v[4:5], v[12:13], v[12:13] op_sel:[0,1]
                                        ; implicit-def: $vgpr12_vgpr13
; %bb.14:                               ;   in Loop: Header=BB6_9 Depth=1
	s_andn2_saveexec_b64 s[14:15], s[14:15]
; %bb.15:                               ;   in Loop: Header=BB6_9 Depth=1
	v_mov_b32_e32 v2, v4
	v_mov_b32_e32 v3, v5
	;; [unrolled: 1-line block ×4, first 2 shown]
; %bb.16:                               ;   in Loop: Header=BB6_9 Depth=1
	s_or_b64 exec, exec, s[14:15]
	s_andn2_saveexec_b64 s[6:7], s[6:7]
	s_cbranch_execz .LBB6_11
.LBB6_17:                               ;   in Loop: Header=BB6_9 Depth=1
	v_cmp_eq_u32_e32 vcc, 1, v20
	s_and_saveexec_b64 s[14:15], vcc
; %bb.18:                               ;   in Loop: Header=BB6_9 Depth=1
	v_mov_b32_e32 v2, v3
	v_mov_b32_e32 v3, v4
	;; [unrolled: 1-line block ×4, first 2 shown]
; %bb.19:                               ;   in Loop: Header=BB6_9 Depth=1
	s_or_b64 exec, exec, s[14:15]
	s_or_b64 exec, exec, s[6:7]
	v_cmp_gt_i64_e32 vcc, s[0:1], v[16:17]
	s_and_saveexec_b64 s[6:7], vcc
	s_cbranch_execz .LBB6_23
.LBB6_20:                               ;   in Loop: Header=BB6_9 Depth=1
	v_mov_b32_e32 v0, v2
	v_cmp_le_u64_e32 vcc, s[8:9], v[0:1]
	s_and_saveexec_b64 s[14:15], vcc
	s_cbranch_execz .LBB6_22
; %bb.21:                               ;   in Loop: Header=BB6_9 Depth=1
	v_cvt_f32_u32_e32 v2, s8
	s_sub_i32 s26, 0, s8
	v_rcp_iflag_f32_e32 v2, v2
	v_mul_f32_e32 v2, 0x4f7ffffe, v2
	v_cvt_u32_f32_e32 v2, v2
	v_mul_lo_u32 v9, s26, v2
	v_mul_hi_u32 v9, v2, v9
	v_add_u32_e32 v2, v2, v9
	v_mul_hi_u32 v2, v0, v2
	v_mul_lo_u32 v2, v2, s8
	v_sub_u32_e32 v0, v0, v2
	v_subrev_u32_e32 v2, s8, v0
	v_cmp_le_u32_e32 vcc, s8, v0
	v_cndmask_b32_e32 v0, v0, v2, vcc
	v_subrev_u32_e32 v2, s8, v0
	v_cmp_le_u32_e32 vcc, s8, v0
	v_cndmask_b32_e32 v0, v0, v2, vcc
.LBB6_22:                               ;   in Loop: Header=BB6_9 Depth=1
	s_or_b64 exec, exec, s[14:15]
	v_add_u32_e32 v2, s25, v41
	v_ashrrev_i32_e32 v9, 31, v2
	v_mov_b32_e32 v11, s13
	v_add_co_u32_e32 v10, vcc, s12, v2
	v_addc_co_u32_e32 v11, vcc, v11, v9, vcc
	v_add_u32_e32 v0, s10, v0
	global_store_byte v[10:11], v0, off
.LBB6_23:                               ;   in Loop: Header=BB6_9 Depth=1
	s_or_b64 exec, exec, s[6:7]
	v_mov_b32_e32 v0, s11
	v_add_co_u32_e32 v10, vcc, s16, v16
	v_addc_co_u32_e32 v11, vcc, v0, v17, vcc
	v_cmp_gt_i64_e32 vcc, s[0:1], v[10:11]
	s_and_saveexec_b64 s[6:7], vcc
	s_cbranch_execz .LBB6_27
; %bb.24:                               ;   in Loop: Header=BB6_9 Depth=1
	v_mov_b32_e32 v0, v3
	v_cmp_le_u64_e32 vcc, s[8:9], v[0:1]
	s_and_saveexec_b64 s[14:15], vcc
	s_cbranch_execz .LBB6_26
; %bb.25:                               ;   in Loop: Header=BB6_9 Depth=1
	v_cvt_f32_u32_e32 v2, s8
	s_sub_i32 s26, 0, s8
	v_rcp_iflag_f32_e32 v2, v2
	v_mul_f32_e32 v2, 0x4f7ffffe, v2
	v_cvt_u32_f32_e32 v2, v2
	v_mul_lo_u32 v3, s26, v2
	v_mul_hi_u32 v3, v2, v3
	v_add_u32_e32 v2, v2, v3
	v_mul_hi_u32 v2, v0, v2
	v_mul_lo_u32 v2, v2, s8
	v_sub_u32_e32 v0, v0, v2
	v_subrev_u32_e32 v2, s8, v0
	v_cmp_le_u32_e32 vcc, s8, v0
	v_cndmask_b32_e32 v0, v0, v2, vcc
	v_subrev_u32_e32 v2, s8, v0
	v_cmp_le_u32_e32 vcc, s8, v0
	v_cndmask_b32_e32 v0, v0, v2, vcc
.LBB6_26:                               ;   in Loop: Header=BB6_9 Depth=1
	s_or_b64 exec, exec, s[14:15]
	v_add_u32_e32 v2, s25, v44
	v_ashrrev_i32_e32 v3, 31, v2
	v_mov_b32_e32 v9, s13
	v_add_co_u32_e32 v2, vcc, s12, v2
	v_addc_co_u32_e32 v3, vcc, v9, v3, vcc
	v_add_u32_e32 v0, s10, v0
	global_store_byte v[2:3], v0, off
.LBB6_27:                               ;   in Loop: Header=BB6_9 Depth=1
	s_or_b64 exec, exec, s[6:7]
	v_mov_b32_e32 v0, s21
	v_add_co_u32_e32 v2, vcc, s20, v16
	v_addc_co_u32_e32 v3, vcc, v0, v17, vcc
	v_cmp_gt_i64_e32 vcc, s[0:1], v[2:3]
	s_and_saveexec_b64 s[6:7], vcc
	s_cbranch_execz .LBB6_31
; %bb.28:                               ;   in Loop: Header=BB6_9 Depth=1
	v_mov_b32_e32 v0, v4
	v_cmp_le_u64_e32 vcc, s[8:9], v[0:1]
	s_and_saveexec_b64 s[14:15], vcc
	s_cbranch_execz .LBB6_30
; %bb.29:                               ;   in Loop: Header=BB6_9 Depth=1
	v_cvt_f32_u32_e32 v2, s8
	s_sub_i32 s26, 0, s8
	v_rcp_iflag_f32_e32 v2, v2
	v_mul_f32_e32 v2, 0x4f7ffffe, v2
	v_cvt_u32_f32_e32 v2, v2
	v_mul_lo_u32 v3, s26, v2
	v_mul_hi_u32 v3, v2, v3
	v_add_u32_e32 v2, v2, v3
	v_mul_hi_u32 v2, v0, v2
	v_mul_lo_u32 v2, v2, s8
	v_sub_u32_e32 v0, v0, v2
	v_subrev_u32_e32 v2, s8, v0
	v_cmp_le_u32_e32 vcc, s8, v0
	v_cndmask_b32_e32 v0, v0, v2, vcc
	v_subrev_u32_e32 v2, s8, v0
	v_cmp_le_u32_e32 vcc, s8, v0
	v_cndmask_b32_e32 v0, v0, v2, vcc
.LBB6_30:                               ;   in Loop: Header=BB6_9 Depth=1
	s_or_b64 exec, exec, s[14:15]
	v_add_u32_e32 v2, s25, v43
	v_ashrrev_i32_e32 v3, 31, v2
	v_mov_b32_e32 v4, s13
	v_add_co_u32_e32 v2, vcc, s12, v2
	v_addc_co_u32_e32 v3, vcc, v4, v3, vcc
	v_add_u32_e32 v0, s10, v0
	global_store_byte v[2:3], v0, off
.LBB6_31:                               ;   in Loop: Header=BB6_9 Depth=1
	s_or_b64 exec, exec, s[6:7]
	v_mov_b32_e32 v0, s23
	v_add_co_u32_e32 v2, vcc, s22, v16
	v_addc_co_u32_e32 v3, vcc, v0, v17, vcc
	v_cmp_gt_i64_e32 vcc, s[0:1], v[2:3]
	s_and_saveexec_b64 s[6:7], vcc
	s_cbranch_execz .LBB6_8
; %bb.32:                               ;   in Loop: Header=BB6_9 Depth=1
	v_mov_b32_e32 v0, v5
	v_cmp_le_u64_e32 vcc, s[8:9], v[0:1]
	s_and_saveexec_b64 s[14:15], vcc
	s_cbranch_execz .LBB6_7
; %bb.33:                               ;   in Loop: Header=BB6_9 Depth=1
	v_cvt_f32_u32_e32 v2, s8
	s_sub_i32 s26, 0, s8
	v_rcp_iflag_f32_e32 v2, v2
	v_mul_f32_e32 v2, 0x4f7ffffe, v2
	v_cvt_u32_f32_e32 v2, v2
	v_mul_lo_u32 v3, s26, v2
	v_mul_hi_u32 v3, v2, v3
	v_add_u32_e32 v2, v2, v3
	v_mul_hi_u32 v2, v0, v2
	v_mul_lo_u32 v2, v2, s8
	v_sub_u32_e32 v0, v0, v2
	v_subrev_u32_e32 v2, s8, v0
	v_cmp_le_u32_e32 vcc, s8, v0
	v_cndmask_b32_e32 v0, v0, v2, vcc
	v_subrev_u32_e32 v2, s8, v0
	v_cmp_le_u32_e32 vcc, s8, v0
	v_cndmask_b32_e32 v0, v0, v2, vcc
	s_branch .LBB6_7
.LBB6_34:
	s_endpgm
.LBB6_35:
                                        ; implicit-def: $sgpr8_sgpr9
	s_andn2_b64 vcc, exec, s[2:3]
	s_cbranch_vccz .LBB6_4
	s_branch .LBB6_5
	.section	.rodata,"a",@progbits
	.p2align	6, 0x0
	.amdhsa_kernel _ZN2at6native12_GLOBAL__N_143distribution_elementwise_grid_stride_kernelIjLi4EZZZNS0_9templates4cuda21random_from_to_kernelIPNS_17CUDAGeneratorImplEEEvRNS_18TensorIteratorBaseEmlT_ENKUlvE_clEvENKUlvE0_clEvEUlP25hiprandStatePhilox4_32_10E0_ZNS1_27distribution_nullary_kernelIaj15HIP_vector_typeIjLj4EES7_SF_ZZZNS5_IS7_EEvS9_mlSA_ENKSB_clEvENKSC_clEvEUljE_EEvS9_T2_RKT3_T4_EUlijE_EEvlNS_15PhiloxCudaStateET1_SK_
		.amdhsa_group_segment_fixed_size 0
		.amdhsa_private_segment_fixed_size 0
		.amdhsa_kernarg_size 336
		.amdhsa_user_sgpr_count 6
		.amdhsa_user_sgpr_private_segment_buffer 1
		.amdhsa_user_sgpr_dispatch_ptr 0
		.amdhsa_user_sgpr_queue_ptr 0
		.amdhsa_user_sgpr_kernarg_segment_ptr 1
		.amdhsa_user_sgpr_dispatch_id 0
		.amdhsa_user_sgpr_flat_scratch_init 0
		.amdhsa_user_sgpr_kernarg_preload_length 0
		.amdhsa_user_sgpr_kernarg_preload_offset 0
		.amdhsa_user_sgpr_private_segment_size 0
		.amdhsa_uses_dynamic_stack 0
		.amdhsa_system_sgpr_private_segment_wavefront_offset 0
		.amdhsa_system_sgpr_workgroup_id_x 1
		.amdhsa_system_sgpr_workgroup_id_y 0
		.amdhsa_system_sgpr_workgroup_id_z 0
		.amdhsa_system_sgpr_workgroup_info 0
		.amdhsa_system_vgpr_workitem_id 0
		.amdhsa_next_free_vgpr 47
		.amdhsa_next_free_sgpr 27
		.amdhsa_accum_offset 48
		.amdhsa_reserve_vcc 1
		.amdhsa_reserve_flat_scratch 0
		.amdhsa_float_round_mode_32 0
		.amdhsa_float_round_mode_16_64 0
		.amdhsa_float_denorm_mode_32 3
		.amdhsa_float_denorm_mode_16_64 3
		.amdhsa_dx10_clamp 1
		.amdhsa_ieee_mode 1
		.amdhsa_fp16_overflow 0
		.amdhsa_tg_split 0
		.amdhsa_exception_fp_ieee_invalid_op 0
		.amdhsa_exception_fp_denorm_src 0
		.amdhsa_exception_fp_ieee_div_zero 0
		.amdhsa_exception_fp_ieee_overflow 0
		.amdhsa_exception_fp_ieee_underflow 0
		.amdhsa_exception_fp_ieee_inexact 0
		.amdhsa_exception_int_div_zero 0
	.end_amdhsa_kernel
	.section	.text._ZN2at6native12_GLOBAL__N_143distribution_elementwise_grid_stride_kernelIjLi4EZZZNS0_9templates4cuda21random_from_to_kernelIPNS_17CUDAGeneratorImplEEEvRNS_18TensorIteratorBaseEmlT_ENKUlvE_clEvENKUlvE0_clEvEUlP25hiprandStatePhilox4_32_10E0_ZNS1_27distribution_nullary_kernelIaj15HIP_vector_typeIjLj4EES7_SF_ZZZNS5_IS7_EEvS9_mlSA_ENKSB_clEvENKSC_clEvEUljE_EEvS9_T2_RKT3_T4_EUlijE_EEvlNS_15PhiloxCudaStateET1_SK_,"axG",@progbits,_ZN2at6native12_GLOBAL__N_143distribution_elementwise_grid_stride_kernelIjLi4EZZZNS0_9templates4cuda21random_from_to_kernelIPNS_17CUDAGeneratorImplEEEvRNS_18TensorIteratorBaseEmlT_ENKUlvE_clEvENKUlvE0_clEvEUlP25hiprandStatePhilox4_32_10E0_ZNS1_27distribution_nullary_kernelIaj15HIP_vector_typeIjLj4EES7_SF_ZZZNS5_IS7_EEvS9_mlSA_ENKSB_clEvENKSC_clEvEUljE_EEvS9_T2_RKT3_T4_EUlijE_EEvlNS_15PhiloxCudaStateET1_SK_,comdat
.Lfunc_end6:
	.size	_ZN2at6native12_GLOBAL__N_143distribution_elementwise_grid_stride_kernelIjLi4EZZZNS0_9templates4cuda21random_from_to_kernelIPNS_17CUDAGeneratorImplEEEvRNS_18TensorIteratorBaseEmlT_ENKUlvE_clEvENKUlvE0_clEvEUlP25hiprandStatePhilox4_32_10E0_ZNS1_27distribution_nullary_kernelIaj15HIP_vector_typeIjLj4EES7_SF_ZZZNS5_IS7_EEvS9_mlSA_ENKSB_clEvENKSC_clEvEUljE_EEvS9_T2_RKT3_T4_EUlijE_EEvlNS_15PhiloxCudaStateET1_SK_, .Lfunc_end6-_ZN2at6native12_GLOBAL__N_143distribution_elementwise_grid_stride_kernelIjLi4EZZZNS0_9templates4cuda21random_from_to_kernelIPNS_17CUDAGeneratorImplEEEvRNS_18TensorIteratorBaseEmlT_ENKUlvE_clEvENKUlvE0_clEvEUlP25hiprandStatePhilox4_32_10E0_ZNS1_27distribution_nullary_kernelIaj15HIP_vector_typeIjLj4EES7_SF_ZZZNS5_IS7_EEvS9_mlSA_ENKSB_clEvENKSC_clEvEUljE_EEvS9_T2_RKT3_T4_EUlijE_EEvlNS_15PhiloxCudaStateET1_SK_
                                        ; -- End function
	.section	.AMDGPU.csdata,"",@progbits
; Kernel info:
; codeLenInByte = 2796
; NumSgprs: 31
; NumVgprs: 47
; NumAgprs: 0
; TotalNumVgprs: 47
; ScratchSize: 0
; MemoryBound: 0
; FloatMode: 240
; IeeeMode: 1
; LDSByteSize: 0 bytes/workgroup (compile time only)
; SGPRBlocks: 3
; VGPRBlocks: 5
; NumSGPRsForWavesPerEU: 31
; NumVGPRsForWavesPerEU: 47
; AccumOffset: 48
; Occupancy: 8
; WaveLimiterHint : 0
; COMPUTE_PGM_RSRC2:SCRATCH_EN: 0
; COMPUTE_PGM_RSRC2:USER_SGPR: 6
; COMPUTE_PGM_RSRC2:TRAP_HANDLER: 0
; COMPUTE_PGM_RSRC2:TGID_X_EN: 1
; COMPUTE_PGM_RSRC2:TGID_Y_EN: 0
; COMPUTE_PGM_RSRC2:TGID_Z_EN: 0
; COMPUTE_PGM_RSRC2:TIDIG_COMP_CNT: 0
; COMPUTE_PGM_RSRC3_GFX90A:ACCUM_OFFSET: 11
; COMPUTE_PGM_RSRC3_GFX90A:TG_SPLIT: 0
	.section	.text._ZN2at6native12_GLOBAL__N_143distribution_elementwise_grid_stride_kernelIjLi4EZZZNS0_9templates4cuda21random_from_to_kernelIPNS_17CUDAGeneratorImplEEEvRNS_18TensorIteratorBaseEmlT_ENKUlvE_clEvENKUlvE0_clEvEUlP25hiprandStatePhilox4_32_10E0_ZNS1_27distribution_nullary_kernelIaj15HIP_vector_typeIjLj4EES7_SF_ZZZNS5_IS7_EEvS9_mlSA_ENKSB_clEvENKSC_clEvEUljE_EEvS9_T2_RKT3_T4_EUlijE0_EEvlNS_15PhiloxCudaStateET1_SK_,"axG",@progbits,_ZN2at6native12_GLOBAL__N_143distribution_elementwise_grid_stride_kernelIjLi4EZZZNS0_9templates4cuda21random_from_to_kernelIPNS_17CUDAGeneratorImplEEEvRNS_18TensorIteratorBaseEmlT_ENKUlvE_clEvENKUlvE0_clEvEUlP25hiprandStatePhilox4_32_10E0_ZNS1_27distribution_nullary_kernelIaj15HIP_vector_typeIjLj4EES7_SF_ZZZNS5_IS7_EEvS9_mlSA_ENKSB_clEvENKSC_clEvEUljE_EEvS9_T2_RKT3_T4_EUlijE0_EEvlNS_15PhiloxCudaStateET1_SK_,comdat
	.globl	_ZN2at6native12_GLOBAL__N_143distribution_elementwise_grid_stride_kernelIjLi4EZZZNS0_9templates4cuda21random_from_to_kernelIPNS_17CUDAGeneratorImplEEEvRNS_18TensorIteratorBaseEmlT_ENKUlvE_clEvENKUlvE0_clEvEUlP25hiprandStatePhilox4_32_10E0_ZNS1_27distribution_nullary_kernelIaj15HIP_vector_typeIjLj4EES7_SF_ZZZNS5_IS7_EEvS9_mlSA_ENKSB_clEvENKSC_clEvEUljE_EEvS9_T2_RKT3_T4_EUlijE0_EEvlNS_15PhiloxCudaStateET1_SK_ ; -- Begin function _ZN2at6native12_GLOBAL__N_143distribution_elementwise_grid_stride_kernelIjLi4EZZZNS0_9templates4cuda21random_from_to_kernelIPNS_17CUDAGeneratorImplEEEvRNS_18TensorIteratorBaseEmlT_ENKUlvE_clEvENKUlvE0_clEvEUlP25hiprandStatePhilox4_32_10E0_ZNS1_27distribution_nullary_kernelIaj15HIP_vector_typeIjLj4EES7_SF_ZZZNS5_IS7_EEvS9_mlSA_ENKSB_clEvENKSC_clEvEUljE_EEvS9_T2_RKT3_T4_EUlijE0_EEvlNS_15PhiloxCudaStateET1_SK_
	.p2align	8
	.type	_ZN2at6native12_GLOBAL__N_143distribution_elementwise_grid_stride_kernelIjLi4EZZZNS0_9templates4cuda21random_from_to_kernelIPNS_17CUDAGeneratorImplEEEvRNS_18TensorIteratorBaseEmlT_ENKUlvE_clEvENKUlvE0_clEvEUlP25hiprandStatePhilox4_32_10E0_ZNS1_27distribution_nullary_kernelIaj15HIP_vector_typeIjLj4EES7_SF_ZZZNS5_IS7_EEvS9_mlSA_ENKSB_clEvENKSC_clEvEUljE_EEvS9_T2_RKT3_T4_EUlijE0_EEvlNS_15PhiloxCudaStateET1_SK_,@function
_ZN2at6native12_GLOBAL__N_143distribution_elementwise_grid_stride_kernelIjLi4EZZZNS0_9templates4cuda21random_from_to_kernelIPNS_17CUDAGeneratorImplEEEvRNS_18TensorIteratorBaseEmlT_ENKUlvE_clEvENKUlvE0_clEvEUlP25hiprandStatePhilox4_32_10E0_ZNS1_27distribution_nullary_kernelIaj15HIP_vector_typeIjLj4EES7_SF_ZZZNS5_IS7_EEvS9_mlSA_ENKSB_clEvENKSC_clEvEUljE_EEvS9_T2_RKT3_T4_EUlijE0_EEvlNS_15PhiloxCudaStateET1_SK_: ; @_ZN2at6native12_GLOBAL__N_143distribution_elementwise_grid_stride_kernelIjLi4EZZZNS0_9templates4cuda21random_from_to_kernelIPNS_17CUDAGeneratorImplEEEvRNS_18TensorIteratorBaseEmlT_ENKUlvE_clEvENKUlvE0_clEvEUlP25hiprandStatePhilox4_32_10E0_ZNS1_27distribution_nullary_kernelIaj15HIP_vector_typeIjLj4EES7_SF_ZZZNS5_IS7_EEvS9_mlSA_ENKSB_clEvENKSC_clEvEUljE_EEvS9_T2_RKT3_T4_EUlijE0_EEvlNS_15PhiloxCudaStateET1_SK_
; %bb.0:
	s_load_dword s2, s[4:5], 0x20
	s_load_dwordx2 s[0:1], s[4:5], 0x10
	s_load_dwordx4 s[24:27], s[4:5], 0x0
	s_waitcnt lgkmcnt(0)
	s_bitcmp0_b32 s2, 0
	s_mov_b32 s2, 0
	v_pk_mov_b32 v[2:3], s[0:1], s[0:1] op_sel:[0,1]
	v_pk_mov_b32 v[14:15], s[26:27], s[26:27] op_sel:[0,1]
	s_cbranch_scc1 .LBB7_2
; %bb.1:
	v_pk_mov_b32 v[2:3], s[0:1], s[0:1] op_sel:[0,1]
	flat_load_dwordx2 v[2:3], v[2:3]
	v_pk_mov_b32 v[4:5], s[26:27], s[26:27] op_sel:[0,1]
	flat_load_dwordx2 v[14:15], v[4:5]
	s_load_dwordx2 s[0:1], s[4:5], 0x18
	s_waitcnt lgkmcnt(0)
	v_mov_b32_e32 v1, s1
	s_waitcnt vmcnt(0)
	v_add_co_u32_e32 v2, vcc, s0, v2
	v_addc_co_u32_e32 v3, vcc, v3, v1, vcc
.LBB7_2:
	s_load_dword s0, s[4:5], 0x15c
	s_load_dword s7, s[4:5], 0x150
	s_waitcnt lgkmcnt(0)
	s_and_b32 s8, s0, 0xffff
	s_add_u32 s9, s24, -1
	s_mul_i32 s33, s7, s8
	s_addc_u32 s3, s25, -1
	s_lshl_b32 s62, s33, 2
	s_cmp_lg_u64 s[2:3], 0
	s_mov_b64 s[0:1], -1
	s_cbranch_scc0 .LBB7_91
; %bb.3:
	v_cvt_f32_u32_e32 v1, s62
	v_cvt_f32_ubyte0_e32 v4, 0
	s_sub_u32 s2, 0, s62
	s_subb_u32 s10, 0, 0
	v_madmk_f32 v1, v4, 0x4f800000, v1
	v_rcp_f32_e32 v1, v1
	v_mul_f32_e32 v1, 0x5f7ffffc, v1
	v_mul_f32_e32 v4, 0x2f800000, v1
	v_trunc_f32_e32 v4, v4
	v_madmk_f32 v1, v4, 0xcf800000, v1
	v_cvt_u32_f32_e32 v4, v4
	v_cvt_u32_f32_e32 v1, v1
	v_readfirstlane_b32 s11, v4
	v_readfirstlane_b32 s12, v1
	s_mul_i32 s13, s2, s11
	s_mul_hi_u32 s15, s2, s12
	s_mul_i32 s14, s10, s12
	s_add_i32 s13, s15, s13
	s_add_i32 s13, s13, s14
	s_mul_i32 s16, s2, s12
	s_mul_hi_u32 s14, s12, s13
	s_mul_i32 s15, s12, s13
	s_mul_hi_u32 s12, s12, s16
	s_add_u32 s12, s12, s15
	s_addc_u32 s14, 0, s14
	s_mul_hi_u32 s17, s11, s16
	s_mul_i32 s16, s11, s16
	s_add_u32 s12, s12, s16
	s_mul_hi_u32 s15, s11, s13
	s_addc_u32 s12, s14, s17
	s_addc_u32 s14, s15, 0
	s_mul_i32 s13, s11, s13
	s_add_u32 s12, s12, s13
	s_addc_u32 s13, 0, s14
	v_add_co_u32_e32 v1, vcc, s12, v1
	s_cmp_lg_u64 vcc, 0
	s_addc_u32 s11, s11, s13
	v_readfirstlane_b32 s13, v1
	s_mul_i32 s12, s2, s11
	s_mul_hi_u32 s14, s2, s13
	s_add_i32 s12, s14, s12
	s_mul_i32 s10, s10, s13
	s_add_i32 s12, s12, s10
	s_mul_i32 s2, s2, s13
	s_mul_hi_u32 s14, s11, s2
	s_mul_i32 s15, s11, s2
	s_mul_i32 s17, s13, s12
	s_mul_hi_u32 s2, s13, s2
	s_mul_hi_u32 s16, s13, s12
	s_add_u32 s2, s2, s17
	s_addc_u32 s13, 0, s16
	s_add_u32 s2, s2, s15
	s_mul_hi_u32 s10, s11, s12
	s_addc_u32 s2, s13, s14
	s_addc_u32 s10, s10, 0
	s_mul_i32 s12, s11, s12
	s_add_u32 s2, s2, s12
	s_addc_u32 s10, 0, s10
	v_add_co_u32_e32 v1, vcc, s2, v1
	s_cmp_lg_u64 vcc, 0
	s_addc_u32 s12, s11, s10
	s_ashr_i32 s10, s3, 31
	s_add_u32 s2, s9, s10
	s_mov_b32 s11, s10
	s_addc_u32 s3, s3, s10
	s_xor_b64 s[2:3], s[2:3], s[10:11]
	v_readfirstlane_b32 s15, v1
	s_mul_i32 s14, s2, s12
	s_mul_hi_u32 s16, s2, s15
	s_mul_hi_u32 s13, s2, s12
	s_add_u32 s14, s16, s14
	s_addc_u32 s13, 0, s13
	s_mul_hi_u32 s17, s3, s15
	s_mul_i32 s15, s3, s15
	s_add_u32 s14, s14, s15
	s_mul_hi_u32 s16, s3, s12
	s_addc_u32 s13, s13, s17
	s_addc_u32 s14, s16, 0
	s_mul_i32 s12, s3, s12
	s_add_u32 s12, s13, s12
	s_addc_u32 s13, 0, s14
	s_add_u32 s14, s12, 1
	s_addc_u32 s15, s13, 0
	s_add_u32 s16, s12, 2
	s_mul_i32 s18, s62, s13
	s_mul_hi_u32 s19, s62, s12
	s_addc_u32 s17, s13, 0
	s_add_i32 s19, s19, s18
	s_mul_i32 s18, s62, s12
	v_mov_b32_e32 v1, s18
	v_sub_co_u32_e32 v1, vcc, s2, v1
	s_cmp_lg_u64 vcc, 0
	s_subb_u32 s2, s3, s19
	v_subrev_co_u32_e32 v4, vcc, s62, v1
	s_cmp_lg_u64 vcc, 0
	s_subb_u32 s3, s2, 0
	v_readfirstlane_b32 s18, v4
	s_cmp_ge_u32 s18, s62
	s_cselect_b32 s18, -1, 0
	s_cmp_eq_u32 s3, 0
	s_cselect_b32 s3, s18, -1
	s_cmp_lg_u32 s3, 0
	s_cselect_b32 s3, s17, s15
	v_readfirstlane_b32 s15, v1
	s_cselect_b32 s14, s16, s14
	s_cmp_ge_u32 s15, s62
	s_cselect_b32 s15, -1, 0
	s_cmp_eq_u32 s2, 0
	s_cselect_b32 s2, s15, -1
	s_cmp_lg_u32 s2, 0
	s_cselect_b32 s3, s3, s13
	s_cselect_b32 s2, s14, s12
	s_xor_b64 s[2:3], s[2:3], s[10:11]
	s_sub_u32 s2, s2, s10
	s_subb_u32 s3, s3, s10
	s_cbranch_execnz .LBB7_5
.LBB7_4:
	v_cvt_f32_u32_e32 v1, s62
	s_sub_i32 s0, 0, s62
	s_mov_b32 s3, 0
	v_rcp_iflag_f32_e32 v1, v1
	v_mul_f32_e32 v1, 0x4f7ffffe, v1
	v_cvt_u32_f32_e32 v1, v1
	v_readfirstlane_b32 s1, v1
	s_mul_i32 s0, s0, s1
	s_mul_hi_u32 s0, s1, s0
	s_add_i32 s1, s1, s0
	s_mul_hi_u32 s0, s9, s1
	s_mul_i32 s2, s0, s62
	s_sub_i32 s2, s9, s2
	s_add_i32 s1, s0, 1
	s_sub_i32 s9, s2, s62
	s_cmp_ge_u32 s2, s62
	s_cselect_b32 s0, s1, s0
	s_cselect_b32 s2, s9, s2
	s_add_i32 s1, s0, 1
	s_cmp_ge_u32 s2, s62
	s_cselect_b32 s2, s1, s0
.LBB7_5:
	v_mov_b32_e32 v1, 0
	v_mov_b32_e32 v4, s6
	v_mad_u64_u32 v[16:17], s[0:1], s8, v4, v[0:1]
	s_add_u32 s0, s2, 1
	s_addc_u32 s1, s3, 0
	s_mul_hi_u32 s2, s7, s8
	s_mul_i32 s1, s33, s1
	s_mul_hi_u32 s3, s33, s0
	s_add_i32 s1, s3, s1
	s_mul_i32 s2, s2, s0
	s_add_i32 s1, s1, s2
	s_mul_i32 s0, s33, s0
	s_lshl_b64 s[26:27], s[0:1], 2
	v_cmp_gt_i64_e32 vcc, s[26:27], v[16:17]
	s_and_saveexec_b64 s[0:1], vcc
	s_cbranch_execz .LBB7_90
; %bb.6:
	s_mov_b32 s0, 0x5384540f
	v_mov_b32_e32 v0, v15
	v_add_co_u32_e32 v24, vcc, s0, v14
	s_mov_b32 s0, 0x646e171e
	v_add_co_u32_e32 v25, vcc, s0, v0
	s_mov_b32 s0, 0x1715609d
	;; [unrolled: 2-line block ×6, first 2 shown]
	v_alignbit_b32 v31, v3, v2, 2
	s_mov_b32 s64, 0xd2511f53
	v_add_co_u32_e32 v30, vcc, s0, v14
	v_mad_u64_u32 v[4:5], s[0:1], v31, s64, 0
	v_and_b32_e32 v20, 3, v2
	v_xor_b32_e32 v2, v5, v15
	v_xor_b32_e32 v2, v2, v17
	s_mov_b32 s65, 0xcd9e8d57
	v_mad_u64_u32 v[6:7], s[0:1], v2, s65, 0
	v_xor_b32_e32 v2, v30, v7
	v_mad_u64_u32 v[8:9], s[0:1], v16, s65, 0
	v_xor_b32_e32 v2, v2, v8
	;; [unrolled: 2-line block ×3, first 2 shown]
	v_lshrrev_b32_e32 v32, 2, v3
	v_xor_b32_e32 v2, v2, v32
	v_xor_b32_e32 v5, v29, v11
	v_mad_u64_u32 v[2:3], s[0:1], v2, s64, 0
	v_xor_b32_e32 v2, v5, v2
	v_mad_u64_u32 v[8:9], s[0:1], v2, s65, 0
	s_mov_b32 s0, 0xbb67ae85
	v_add_co_u32_e32 v33, vcc, s0, v0
	v_xor_b32_e32 v2, v33, v3
	v_xor_b32_e32 v2, v2, v4
	v_xor_b32_e32 v5, v28, v9
	v_mad_u64_u32 v[2:3], s[0:1], v2, s65, 0
	v_xor_b32_e32 v2, v5, v2
	v_mad_u64_u32 v[4:5], s[0:1], v2, s64, 0
	s_mov_b32 s0, 0x3c6ef372
	v_add_co_u32_e32 v34, vcc, s0, v14
	v_xor_b32_e32 v2, v34, v3
	;; [unrolled: 8-line block ×6, first 2 shown]
	v_add_co_u32_e32 v23, vcc, 0xdb3d7428, v0
	v_xor_b32_e32 v2, v2, v6
	v_xor_b32_e32 v5, v23, v5
	v_mad_u64_u32 v[2:3], s[0:1], v2, s64, 0
	v_xor_b32_e32 v2, v5, v2
	v_mad_u64_u32 v[6:7], s[0:1], v2, s65, 0
	s_mov_b32 s0, 0x1fd5c5a3
	v_add_co_u32_e32 v39, vcc, s0, v0
	v_xor_b32_e32 v0, v39, v3
	v_xor_b32_e32 v0, v0, v10
	v_mad_u64_u32 v[2:3], s[0:1], v0, s65, 0
	s_mov_b32 s0, 0xf1bbcdc8
	s_load_dwordx8 s[8:15], s[4:5], 0x30
	v_add_u32_e32 v21, 0x8ff34781, v14
	v_xor_b32_e32 v0, v7, v2
	v_add_co_u32_e32 v40, vcc, s0, v14
	v_xor_b32_e32 v2, v21, v0
	v_xor_b32_e32 v0, v40, v3
	v_xor_b32_e32 v0, v0, v8
	s_add_u32 s34, s4, 48
	v_mad_u64_u32 v[8:9], s[0:1], v0, s64, 0
	s_addc_u32 s35, s5, 0
	s_waitcnt lgkmcnt(0)
	s_add_i32 s0, s8, -1
	s_cmp_gt_u32 s0, 1
	s_cselect_b64 s[40:41], -1, 0
	s_cmp_lg_u32 s8, 0
	s_cselect_b64 s[42:43], -1, 0
	s_add_u32 s44, s4, 0xf4
	s_addc_u32 s45, s5, 0
	s_min_u32 s1, s0, 15
	s_cmp_gt_u32 s8, 1
	s_cselect_b64 s[46:47], -1, 0
	s_load_dwordx2 s[48:49], s[4:5], 0x148
	s_load_dwordx2 s[50:51], s[4:5], 0xf4
	s_load_dwordx4 s[28:31], s[4:5], 0x138
	s_add_i32 s1, s1, 1
	s_mov_b32 s8, s13
	s_lshl_b32 s13, s33, 1
	s_and_b32 s67, s1, 3
	s_cmp_lg_u32 s0, 2
	s_cselect_b64 s[52:53], -1, 0
	s_and_b32 s68, s1, 28
	s_mov_b32 s63, 0
	v_add_u32_e32 v22, 0x96a522ad, v15
	v_xor_b32_e32 v0, v9, v4
	s_cmp_lg_u32 s67, 0
	v_xor_b32_e32 v4, v22, v0
	v_mov_b32_e32 v3, v6
	v_mov_b32_e32 v5, v8
	s_mov_b32 s15, s63
	s_waitcnt lgkmcnt(0)
	s_mul_i32 s49, s33, 3
	s_mov_b32 s66, s63
	s_mov_b64 s[54:55], 0
	s_cselect_b64 s[56:57], -1, 0
	v_mov_b32_e32 v41, v16
	v_mov_b32_e32 v42, v17
	s_branch .LBB7_9
.LBB7_7:                                ;   in Loop: Header=BB7_9 Depth=1
	s_or_b64 exec, exec, s[0:1]
	v_add_u32_e32 v0, s48, v0
	global_store_byte v2, v0, s[28:29]
.LBB7_8:                                ;   in Loop: Header=BB7_9 Depth=1
	s_or_b64 exec, exec, s[36:37]
	v_add_co_u32_e32 v16, vcc, s62, v16
	v_addc_co_u32_e32 v17, vcc, 0, v17, vcc
	v_mov_b32_e32 v9, v18
	v_cmp_le_i64_e32 vcc, s[26:27], v[16:17]
	v_pk_mov_b32 v[2:3], v[6:7], v[6:7] op_sel:[0,1]
	s_or_b64 s[54:55], vcc, s[54:55]
	v_pk_mov_b32 v[4:5], v[8:9], v[8:9] op_sel:[0,1]
	s_barrier
	s_andn2_b64 exec, exec, s[54:55]
	s_cbranch_execz .LBB7_90
.LBB7_9:                                ; =>This Loop Header: Depth=1
                                        ;     Child Loop BB7_24 Depth 2
                                        ;     Child Loop BB7_30 Depth 2
	;; [unrolled: 1-line block ×8, first 2 shown]
	v_add_co_u32_e32 v31, vcc, 1, v31
	v_cndmask_b32_e64 v0, 0, 1, vcc
	v_addc_co_u32_e32 v32, vcc, 0, v32, vcc
	v_cmp_eq_u32_e32 vcc, 0, v32
	v_cndmask_b32_e32 v0, 0, v0, vcc
	v_add_u32_e32 v41, v0, v41
	v_cmp_eq_u32_e32 vcc, 0, v41
	v_cndmask_b32_e32 v0, 0, v0, vcc
	v_mad_u64_u32 v[6:7], s[0:1], v31, s64, 0
	v_mad_u64_u32 v[8:9], s[0:1], v41, s65, 0
	v_add_u32_e32 v42, v0, v42
	v_xor_b32_e32 v0, v9, v14
	v_xor_b32_e32 v7, v7, v15
	v_xor_b32_e32 v0, v32, v0
	v_xor_b32_e32 v7, v42, v7
	v_mad_u64_u32 v[10:11], s[0:1], v0, s64, 0
	v_mad_u64_u32 v[12:13], s[0:1], v7, s65, 0
	v_xor_b32_e32 v0, v30, v13
	v_xor_b32_e32 v7, v33, v11
	v_xor_b32_e32 v0, v0, v8
	v_xor_b32_e32 v8, v7, v6
	v_mad_u64_u32 v[6:7], s[0:1], v0, s64, 0
	v_mad_u64_u32 v[8:9], s[0:1], v8, s65, 0
	;; [unrolled: 6-line block ×9, first 2 shown]
	v_xor_b32_e32 v0, v13, v6
	v_xor_b32_e32 v6, v21, v0
	;; [unrolled: 1-line block ×4, first 2 shown]
	v_mov_b32_e32 v7, v12
	v_mov_b32_e32 v8, v13
	v_cmp_lt_i32_e32 vcc, 1, v20
	s_and_saveexec_b64 s[0:1], vcc
	s_xor_b64 s[0:1], exec, s[0:1]
	s_cbranch_execz .LBB7_15
; %bb.10:                               ;   in Loop: Header=BB7_9 Depth=1
	v_cmp_lt_i32_e32 vcc, 2, v20
	s_and_saveexec_b64 s[2:3], vcc
	s_xor_b64 s[2:3], exec, s[2:3]
; %bb.11:                               ;   in Loop: Header=BB7_9 Depth=1
	v_mov_b32_e32 v10, v5
	v_mov_b32_e32 v11, v6
	v_pk_mov_b32 v[2:3], v[10:11], v[10:11] op_sel:[0,1]
	v_pk_mov_b32 v[4:5], v[12:13], v[12:13] op_sel:[0,1]
                                        ; implicit-def: $vgpr12_vgpr13
; %bb.12:                               ;   in Loop: Header=BB7_9 Depth=1
	s_andn2_saveexec_b64 s[2:3], s[2:3]
; %bb.13:                               ;   in Loop: Header=BB7_9 Depth=1
	v_mov_b32_e32 v2, v4
	v_mov_b32_e32 v3, v5
	;; [unrolled: 1-line block ×4, first 2 shown]
; %bb.14:                               ;   in Loop: Header=BB7_9 Depth=1
	s_or_b64 exec, exec, s[2:3]
.LBB7_15:                               ;   in Loop: Header=BB7_9 Depth=1
	s_andn2_saveexec_b64 s[0:1], s[0:1]
	s_cbranch_execz .LBB7_19
; %bb.16:                               ;   in Loop: Header=BB7_9 Depth=1
	v_cmp_eq_u32_e32 vcc, 1, v20
	s_and_saveexec_b64 s[2:3], vcc
; %bb.17:                               ;   in Loop: Header=BB7_9 Depth=1
	v_mov_b32_e32 v2, v3
	v_mov_b32_e32 v3, v4
	v_mov_b32_e32 v4, v5
	v_mov_b32_e32 v5, v6
; %bb.18:                               ;   in Loop: Header=BB7_9 Depth=1
	s_or_b64 exec, exec, s[2:3]
.LBB7_19:                               ;   in Loop: Header=BB7_9 Depth=1
	s_or_b64 exec, exec, s[0:1]
	v_cndmask_b32_e64 v0, 0, 1, s[40:41]
	v_cmp_gt_i64_e32 vcc, s[24:25], v[16:17]
	v_cmp_ne_u32_e64 s[0:1], 1, v0
	s_and_saveexec_b64 s[2:3], vcc
	s_cbranch_execz .LBB7_37
; %bb.20:                               ;   in Loop: Header=BB7_9 Depth=1
	s_and_b64 vcc, exec, s[0:1]
	s_cbranch_vccnz .LBB7_26
; %bb.21:                               ;   in Loop: Header=BB7_9 Depth=1
	s_andn2_b64 vcc, exec, s[42:43]
	s_cbranch_vccnz .LBB7_27
; %bb.22:                               ;   in Loop: Header=BB7_9 Depth=1
	s_mov_b32 s6, 0
	s_andn2_b64 vcc, exec, s[52:53]
	v_mov_b32_e32 v10, 0
	s_cbranch_vccnz .LBB7_28
; %bb.23:                               ;   in Loop: Header=BB7_9 Depth=1
	s_mov_b32 s69, 0
	v_mov_b32_e32 v10, 0
	s_mov_b64 s[58:59], s[34:35]
	s_mov_b64 s[60:61], s[44:45]
	v_mov_b32_e32 v0, v16
.LBB7_24:                               ;   Parent Loop BB7_9 Depth=1
                                        ; =>  This Inner Loop Header: Depth=2
	s_load_dwordx8 s[16:23], s[58:59], 0x4
	s_load_dwordx4 s[4:7], s[58:59], 0x24
	s_load_dwordx4 s[36:39], s[60:61], 0x0
	s_add_u32 s58, s58, 48
	s_addc_u32 s59, s59, 0
	s_waitcnt lgkmcnt(0)
	v_mul_hi_u32 v9, s17, v0
	v_add_u32_e32 v9, v0, v9
	v_lshrrev_b32_e32 v9, s18, v9
	v_mul_lo_u32 v11, v9, s16
	v_mul_hi_u32 v12, s20, v9
	v_sub_u32_e32 v0, v0, v11
	v_add_u32_e32 v11, v9, v12
	v_lshrrev_b32_e32 v11, s21, v11
	v_mul_lo_u32 v12, v11, s19
	v_mul_hi_u32 v13, s23, v11
	v_sub_u32_e32 v9, v9, v12
	v_add_u32_e32 v12, v11, v13
	v_mul_lo_u32 v0, v0, s36
	v_mul_lo_u32 v9, v9, s37
	v_lshrrev_b32_e32 v12, s4, v12
	v_add3_u32 v9, v0, v10, v9
	v_mul_lo_u32 v0, v12, s22
	v_mul_hi_u32 v10, s6, v12
	v_sub_u32_e32 v0, v11, v0
	v_add_u32_e32 v10, v12, v10
	v_mul_lo_u32 v11, v0, s38
	v_lshrrev_b32_e32 v0, s7, v10
	s_add_i32 s69, s69, 4
	v_mul_lo_u32 v10, v0, s5
	s_add_u32 s60, s60, 16
	v_sub_u32_e32 v10, v12, v10
	s_addc_u32 s61, s61, 0
	v_mul_lo_u32 v10, v10, s39
	s_cmp_lg_u32 s68, s69
	v_add3_u32 v10, v11, v9, v10
	s_cbranch_scc1 .LBB7_24
; %bb.25:                               ;   in Loop: Header=BB7_9 Depth=1
	s_mov_b32 s6, s68
	s_andn2_b64 vcc, exec, s[56:57]
	s_cbranch_vccz .LBB7_29
	s_branch .LBB7_31
.LBB7_26:                               ;   in Loop: Header=BB7_9 Depth=1
                                        ; implicit-def: $vgpr10
	s_branch .LBB7_32
.LBB7_27:                               ;   in Loop: Header=BB7_9 Depth=1
	v_mov_b32_e32 v10, 0
	s_branch .LBB7_31
.LBB7_28:                               ;   in Loop: Header=BB7_9 Depth=1
	v_mov_b32_e32 v0, v16
	s_andn2_b64 vcc, exec, s[56:57]
	s_cbranch_vccnz .LBB7_31
.LBB7_29:                               ;   in Loop: Header=BB7_9 Depth=1
	s_lshl_b32 s4, s6, 2
	s_add_u32 s4, s44, s4
	s_addc_u32 s5, s45, 0
	s_mul_i32 s6, s6, 12
	s_add_u32 s6, s34, s6
	s_addc_u32 s7, s35, 0
	s_mov_b32 s16, s67
.LBB7_30:                               ;   Parent Loop BB7_9 Depth=1
                                        ; =>  This Inner Loop Header: Depth=2
	s_load_dwordx2 s[18:19], s[6:7], 0x4
	s_load_dword s17, s[6:7], 0xc
	s_load_dword s20, s[4:5], 0x0
	s_add_u32 s6, s6, 12
	s_addc_u32 s7, s7, 0
	s_waitcnt lgkmcnt(0)
	v_mul_hi_u32 v9, s19, v0
	v_add_u32_e32 v9, v0, v9
	v_lshrrev_b32_e32 v9, s17, v9
	s_add_u32 s4, s4, 4
	v_mul_lo_u32 v11, v9, s18
	s_addc_u32 s5, s5, 0
	s_add_i32 s16, s16, -1
	v_sub_u32_e32 v11, v0, v11
	s_cmp_lg_u32 s16, 0
	v_mov_b32_e32 v0, v9
	v_mad_u64_u32 v[10:11], s[18:19], v11, s20, v[10:11]
	s_cbranch_scc1 .LBB7_30
.LBB7_31:                               ;   in Loop: Header=BB7_9 Depth=1
	s_cbranch_execnz .LBB7_34
.LBB7_32:                               ;   in Loop: Header=BB7_9 Depth=1
	v_mul_hi_u32 v0, v16, s10
	v_add_u32_e32 v0, v0, v16
	v_lshrrev_b32_e32 v0, s11, v0
	v_mul_lo_u32 v9, v0, s9
	v_sub_u32_e32 v9, v16, v9
	s_andn2_b64 vcc, exec, s[46:47]
	v_mul_lo_u32 v10, v9, s50
	s_cbranch_vccnz .LBB7_34
; %bb.33:                               ;   in Loop: Header=BB7_9 Depth=1
	v_mul_hi_u32 v9, s8, v0
	v_add_u32_e32 v9, v0, v9
	v_lshrrev_b32_e32 v9, s14, v9
	v_mul_lo_u32 v9, v9, s12
	v_sub_u32_e32 v0, v0, v9
	v_mad_u64_u32 v[10:11], s[4:5], v0, s51, v[10:11]
.LBB7_34:                               ;   in Loop: Header=BB7_9 Depth=1
	v_mov_b32_e32 v0, v2
	v_cmp_le_u64_e32 vcc, s[30:31], v[0:1]
	s_and_saveexec_b64 s[4:5], vcc
	s_cbranch_execz .LBB7_36
; %bb.35:                               ;   in Loop: Header=BB7_9 Depth=1
	v_cvt_f32_u32_e32 v2, s30
	s_sub_i32 s6, 0, s30
	v_rcp_iflag_f32_e32 v2, v2
	v_mul_f32_e32 v2, 0x4f7ffffe, v2
	v_cvt_u32_f32_e32 v2, v2
	v_mul_lo_u32 v9, s6, v2
	v_mul_hi_u32 v9, v2, v9
	v_add_u32_e32 v2, v2, v9
	v_mul_hi_u32 v2, v0, v2
	v_mul_lo_u32 v2, v2, s30
	v_sub_u32_e32 v0, v0, v2
	v_subrev_u32_e32 v2, s30, v0
	v_cmp_le_u32_e32 vcc, s30, v0
	v_cndmask_b32_e32 v0, v0, v2, vcc
	v_subrev_u32_e32 v2, s30, v0
	v_cmp_le_u32_e32 vcc, s30, v0
	v_cndmask_b32_e32 v0, v0, v2, vcc
.LBB7_36:                               ;   in Loop: Header=BB7_9 Depth=1
	s_or_b64 exec, exec, s[4:5]
	v_add_u32_e32 v0, s48, v0
	global_store_byte v10, v0, s[28:29]
.LBB7_37:                               ;   in Loop: Header=BB7_9 Depth=1
	s_or_b64 exec, exec, s[2:3]
	v_mov_b32_e32 v0, s63
	v_add_co_u32_e32 v12, vcc, s33, v16
	v_addc_co_u32_e32 v13, vcc, v17, v0, vcc
	v_cmp_gt_i64_e32 vcc, s[24:25], v[12:13]
	s_and_saveexec_b64 s[2:3], vcc
	s_cbranch_execz .LBB7_55
; %bb.38:                               ;   in Loop: Header=BB7_9 Depth=1
	s_and_b64 vcc, exec, s[0:1]
	s_cbranch_vccnz .LBB7_44
; %bb.39:                               ;   in Loop: Header=BB7_9 Depth=1
	s_andn2_b64 vcc, exec, s[42:43]
	s_cbranch_vccnz .LBB7_45
; %bb.40:                               ;   in Loop: Header=BB7_9 Depth=1
	s_mov_b32 s6, 0
	s_andn2_b64 vcc, exec, s[52:53]
	v_mov_b32_e32 v10, 0
	s_cbranch_vccnz .LBB7_46
; %bb.41:                               ;   in Loop: Header=BB7_9 Depth=1
	s_mov_b32 s69, 0
	v_mov_b32_e32 v10, 0
	s_mov_b64 s[58:59], s[34:35]
	s_mov_b64 s[60:61], s[44:45]
	v_mov_b32_e32 v0, v12
.LBB7_42:                               ;   Parent Loop BB7_9 Depth=1
                                        ; =>  This Inner Loop Header: Depth=2
	s_load_dwordx8 s[16:23], s[58:59], 0x4
	s_load_dwordx4 s[4:7], s[58:59], 0x24
	s_load_dwordx4 s[36:39], s[60:61], 0x0
	s_add_u32 s58, s58, 48
	s_addc_u32 s59, s59, 0
	s_waitcnt lgkmcnt(0)
	v_mul_hi_u32 v2, s17, v0
	v_add_u32_e32 v2, v0, v2
	v_lshrrev_b32_e32 v2, s18, v2
	v_mul_lo_u32 v9, v2, s16
	v_mul_hi_u32 v11, s20, v2
	v_sub_u32_e32 v0, v0, v9
	v_add_u32_e32 v9, v2, v11
	v_lshrrev_b32_e32 v9, s21, v9
	v_mul_lo_u32 v11, v9, s19
	v_mul_hi_u32 v13, s23, v9
	v_sub_u32_e32 v2, v2, v11
	v_add_u32_e32 v11, v9, v13
	v_mul_lo_u32 v0, v0, s36
	v_mul_lo_u32 v2, v2, s37
	v_lshrrev_b32_e32 v11, s4, v11
	v_add3_u32 v2, v0, v10, v2
	v_mul_lo_u32 v0, v11, s22
	v_mul_hi_u32 v10, s6, v11
	v_sub_u32_e32 v0, v9, v0
	v_add_u32_e32 v9, v11, v10
	v_mul_lo_u32 v10, v0, s38
	v_lshrrev_b32_e32 v0, s7, v9
	s_add_i32 s69, s69, 4
	v_mul_lo_u32 v9, v0, s5
	s_add_u32 s60, s60, 16
	v_sub_u32_e32 v9, v11, v9
	s_addc_u32 s61, s61, 0
	v_mul_lo_u32 v9, v9, s39
	s_cmp_eq_u32 s68, s69
	v_add3_u32 v10, v10, v2, v9
	s_cbranch_scc0 .LBB7_42
; %bb.43:                               ;   in Loop: Header=BB7_9 Depth=1
	s_mov_b32 s6, s68
	s_andn2_b64 vcc, exec, s[56:57]
	s_cbranch_vccz .LBB7_47
	s_branch .LBB7_49
.LBB7_44:                               ;   in Loop: Header=BB7_9 Depth=1
                                        ; implicit-def: $vgpr10
	s_branch .LBB7_50
.LBB7_45:                               ;   in Loop: Header=BB7_9 Depth=1
	v_mov_b32_e32 v10, 0
	s_branch .LBB7_49
.LBB7_46:                               ;   in Loop: Header=BB7_9 Depth=1
	v_mov_b32_e32 v0, v12
	s_andn2_b64 vcc, exec, s[56:57]
	s_cbranch_vccnz .LBB7_49
.LBB7_47:                               ;   in Loop: Header=BB7_9 Depth=1
	s_lshl_b32 s4, s6, 2
	s_add_u32 s4, s44, s4
	s_addc_u32 s5, s45, 0
	s_mul_i32 s6, s6, 12
	s_add_u32 s6, s34, s6
	s_addc_u32 s7, s35, 0
	s_mov_b32 s16, s67
.LBB7_48:                               ;   Parent Loop BB7_9 Depth=1
                                        ; =>  This Inner Loop Header: Depth=2
	s_load_dwordx2 s[18:19], s[6:7], 0x4
	s_load_dword s17, s[6:7], 0xc
	s_load_dword s20, s[4:5], 0x0
	s_add_u32 s6, s6, 12
	s_addc_u32 s7, s7, 0
	s_waitcnt lgkmcnt(0)
	v_mul_hi_u32 v2, s19, v0
	v_add_u32_e32 v2, v0, v2
	v_lshrrev_b32_e32 v2, s17, v2
	s_add_u32 s4, s4, 4
	v_mul_lo_u32 v9, v2, s18
	s_addc_u32 s5, s5, 0
	s_add_i32 s16, s16, -1
	v_sub_u32_e32 v9, v0, v9
	s_cmp_lg_u32 s16, 0
	v_mov_b32_e32 v0, v2
	v_mad_u64_u32 v[10:11], s[18:19], v9, s20, v[10:11]
	s_cbranch_scc1 .LBB7_48
.LBB7_49:                               ;   in Loop: Header=BB7_9 Depth=1
	s_cbranch_execnz .LBB7_52
.LBB7_50:                               ;   in Loop: Header=BB7_9 Depth=1
	v_mul_hi_u32 v0, v12, s10
	v_add_u32_e32 v0, v0, v12
	v_lshrrev_b32_e32 v0, s11, v0
	v_mul_lo_u32 v2, v0, s9
	v_sub_u32_e32 v2, v12, v2
	s_andn2_b64 vcc, exec, s[46:47]
	v_mul_lo_u32 v10, v2, s50
	s_cbranch_vccnz .LBB7_52
; %bb.51:                               ;   in Loop: Header=BB7_9 Depth=1
	v_mul_hi_u32 v2, s8, v0
	v_add_u32_e32 v2, v0, v2
	v_lshrrev_b32_e32 v2, s14, v2
	v_mul_lo_u32 v2, v2, s12
	v_sub_u32_e32 v0, v0, v2
	v_mad_u64_u32 v[10:11], s[4:5], v0, s51, v[10:11]
.LBB7_52:                               ;   in Loop: Header=BB7_9 Depth=1
	v_mov_b32_e32 v0, v3
	v_cmp_le_u64_e32 vcc, s[30:31], v[0:1]
	s_and_saveexec_b64 s[4:5], vcc
	s_cbranch_execz .LBB7_54
; %bb.53:                               ;   in Loop: Header=BB7_9 Depth=1
	v_cvt_f32_u32_e32 v2, s30
	s_sub_i32 s6, 0, s30
	v_rcp_iflag_f32_e32 v2, v2
	v_mul_f32_e32 v2, 0x4f7ffffe, v2
	v_cvt_u32_f32_e32 v2, v2
	v_mul_lo_u32 v3, s6, v2
	v_mul_hi_u32 v3, v2, v3
	v_add_u32_e32 v2, v2, v3
	v_mul_hi_u32 v2, v0, v2
	v_mul_lo_u32 v2, v2, s30
	v_sub_u32_e32 v0, v0, v2
	v_subrev_u32_e32 v2, s30, v0
	v_cmp_le_u32_e32 vcc, s30, v0
	v_cndmask_b32_e32 v0, v0, v2, vcc
	v_subrev_u32_e32 v2, s30, v0
	v_cmp_le_u32_e32 vcc, s30, v0
	v_cndmask_b32_e32 v0, v0, v2, vcc
.LBB7_54:                               ;   in Loop: Header=BB7_9 Depth=1
	s_or_b64 exec, exec, s[4:5]
	v_add_u32_e32 v0, s48, v0
	global_store_byte v10, v0, s[28:29]
.LBB7_55:                               ;   in Loop: Header=BB7_9 Depth=1
	s_or_b64 exec, exec, s[2:3]
	v_mov_b32_e32 v0, s15
	v_add_co_u32_e32 v10, vcc, s13, v16
	v_addc_co_u32_e32 v11, vcc, v17, v0, vcc
	v_cmp_gt_i64_e32 vcc, s[24:25], v[10:11]
	s_and_saveexec_b64 s[2:3], vcc
	s_cbranch_execz .LBB7_73
; %bb.56:                               ;   in Loop: Header=BB7_9 Depth=1
	s_and_b64 vcc, exec, s[0:1]
	s_cbranch_vccnz .LBB7_62
; %bb.57:                               ;   in Loop: Header=BB7_9 Depth=1
	s_andn2_b64 vcc, exec, s[42:43]
	s_cbranch_vccnz .LBB7_63
; %bb.58:                               ;   in Loop: Header=BB7_9 Depth=1
	s_mov_b32 s6, 0
	s_andn2_b64 vcc, exec, s[52:53]
	v_mov_b32_e32 v2, 0
	s_cbranch_vccnz .LBB7_64
; %bb.59:                               ;   in Loop: Header=BB7_9 Depth=1
	s_mov_b32 s69, 0
	v_mov_b32_e32 v2, 0
	s_mov_b64 s[58:59], s[34:35]
	s_mov_b64 s[60:61], s[44:45]
	v_mov_b32_e32 v0, v10
.LBB7_60:                               ;   Parent Loop BB7_9 Depth=1
                                        ; =>  This Inner Loop Header: Depth=2
	s_load_dwordx8 s[16:23], s[58:59], 0x4
	s_load_dwordx4 s[4:7], s[58:59], 0x24
	s_load_dwordx4 s[36:39], s[60:61], 0x0
	s_add_u32 s58, s58, 48
	s_addc_u32 s59, s59, 0
	s_waitcnt lgkmcnt(0)
	v_mul_hi_u32 v3, s17, v0
	v_add_u32_e32 v3, v0, v3
	v_lshrrev_b32_e32 v3, s18, v3
	v_mul_lo_u32 v9, v3, s16
	v_mul_hi_u32 v11, s20, v3
	v_sub_u32_e32 v0, v0, v9
	v_add_u32_e32 v9, v3, v11
	v_lshrrev_b32_e32 v9, s21, v9
	v_mul_lo_u32 v11, v9, s19
	v_mul_hi_u32 v12, s23, v9
	v_sub_u32_e32 v3, v3, v11
	v_add_u32_e32 v11, v9, v12
	v_mul_lo_u32 v0, v0, s36
	v_mul_lo_u32 v3, v3, s37
	v_lshrrev_b32_e32 v11, s4, v11
	v_add3_u32 v2, v0, v2, v3
	v_mul_lo_u32 v0, v11, s22
	v_mul_hi_u32 v3, s6, v11
	v_sub_u32_e32 v0, v9, v0
	v_add_u32_e32 v3, v11, v3
	v_mul_lo_u32 v9, v0, s38
	v_lshrrev_b32_e32 v0, s7, v3
	s_add_i32 s69, s69, 4
	v_mul_lo_u32 v3, v0, s5
	s_add_u32 s60, s60, 16
	v_sub_u32_e32 v3, v11, v3
	s_addc_u32 s61, s61, 0
	v_mul_lo_u32 v3, v3, s39
	s_cmp_eq_u32 s68, s69
	v_add3_u32 v2, v9, v2, v3
	s_cbranch_scc0 .LBB7_60
; %bb.61:                               ;   in Loop: Header=BB7_9 Depth=1
	s_mov_b32 s6, s68
	s_andn2_b64 vcc, exec, s[56:57]
	s_cbranch_vccz .LBB7_65
	s_branch .LBB7_67
.LBB7_62:                               ;   in Loop: Header=BB7_9 Depth=1
                                        ; implicit-def: $vgpr2
	s_branch .LBB7_68
.LBB7_63:                               ;   in Loop: Header=BB7_9 Depth=1
	v_mov_b32_e32 v2, 0
	s_branch .LBB7_67
.LBB7_64:                               ;   in Loop: Header=BB7_9 Depth=1
	v_mov_b32_e32 v0, v10
	s_andn2_b64 vcc, exec, s[56:57]
	s_cbranch_vccnz .LBB7_67
.LBB7_65:                               ;   in Loop: Header=BB7_9 Depth=1
	s_lshl_b32 s4, s6, 2
	s_add_u32 s4, s44, s4
	s_addc_u32 s5, s45, 0
	s_mul_i32 s6, s6, 12
	s_add_u32 s6, s34, s6
	s_addc_u32 s7, s35, 0
	s_mov_b32 s16, s67
.LBB7_66:                               ;   Parent Loop BB7_9 Depth=1
                                        ; =>  This Inner Loop Header: Depth=2
	s_load_dwordx2 s[18:19], s[6:7], 0x4
	s_load_dword s17, s[6:7], 0xc
	s_load_dword s20, s[4:5], 0x0
	s_add_u32 s6, s6, 12
	s_addc_u32 s7, s7, 0
	s_waitcnt lgkmcnt(0)
	v_mul_hi_u32 v3, s19, v0
	v_add_u32_e32 v3, v0, v3
	v_lshrrev_b32_e32 v3, s17, v3
	s_add_u32 s4, s4, 4
	v_mul_lo_u32 v9, v3, s18
	s_addc_u32 s5, s5, 0
	s_add_i32 s16, s16, -1
	v_sub_u32_e32 v9, v0, v9
	s_cmp_lg_u32 s16, 0
	v_mov_b32_e32 v0, v3
	v_mad_u64_u32 v[2:3], s[18:19], v9, s20, v[2:3]
	s_cbranch_scc1 .LBB7_66
.LBB7_67:                               ;   in Loop: Header=BB7_9 Depth=1
	s_cbranch_execnz .LBB7_70
.LBB7_68:                               ;   in Loop: Header=BB7_9 Depth=1
	v_mul_hi_u32 v0, v10, s10
	v_add_u32_e32 v0, v0, v10
	v_lshrrev_b32_e32 v0, s11, v0
	v_mul_lo_u32 v2, v0, s9
	v_sub_u32_e32 v2, v10, v2
	s_andn2_b64 vcc, exec, s[46:47]
	v_mul_lo_u32 v2, v2, s50
	s_cbranch_vccnz .LBB7_70
; %bb.69:                               ;   in Loop: Header=BB7_9 Depth=1
	v_mul_hi_u32 v3, s8, v0
	v_add_u32_e32 v3, v0, v3
	v_lshrrev_b32_e32 v3, s14, v3
	v_mul_lo_u32 v3, v3, s12
	v_sub_u32_e32 v0, v0, v3
	v_mad_u64_u32 v[2:3], s[4:5], v0, s51, v[2:3]
.LBB7_70:                               ;   in Loop: Header=BB7_9 Depth=1
	v_mov_b32_e32 v0, v4
	v_cmp_le_u64_e32 vcc, s[30:31], v[0:1]
	s_and_saveexec_b64 s[4:5], vcc
	s_cbranch_execz .LBB7_72
; %bb.71:                               ;   in Loop: Header=BB7_9 Depth=1
	v_cvt_f32_u32_e32 v3, s30
	s_sub_i32 s6, 0, s30
	v_rcp_iflag_f32_e32 v3, v3
	v_mul_f32_e32 v3, 0x4f7ffffe, v3
	v_cvt_u32_f32_e32 v3, v3
	v_mul_lo_u32 v4, s6, v3
	v_mul_hi_u32 v4, v3, v4
	v_add_u32_e32 v3, v3, v4
	v_mul_hi_u32 v3, v0, v3
	v_mul_lo_u32 v3, v3, s30
	v_sub_u32_e32 v0, v0, v3
	v_subrev_u32_e32 v3, s30, v0
	v_cmp_le_u32_e32 vcc, s30, v0
	v_cndmask_b32_e32 v0, v0, v3, vcc
	v_subrev_u32_e32 v3, s30, v0
	v_cmp_le_u32_e32 vcc, s30, v0
	v_cndmask_b32_e32 v0, v0, v3, vcc
.LBB7_72:                               ;   in Loop: Header=BB7_9 Depth=1
	s_or_b64 exec, exec, s[4:5]
	v_add_u32_e32 v0, s48, v0
	global_store_byte v2, v0, s[28:29]
.LBB7_73:                               ;   in Loop: Header=BB7_9 Depth=1
	s_or_b64 exec, exec, s[2:3]
	v_mov_b32_e32 v0, s66
	v_add_co_u32_e32 v10, vcc, s49, v16
	v_addc_co_u32_e32 v11, vcc, v17, v0, vcc
	v_cmp_gt_i64_e32 vcc, s[24:25], v[10:11]
	s_and_saveexec_b64 s[36:37], vcc
	s_cbranch_execz .LBB7_8
; %bb.74:                               ;   in Loop: Header=BB7_9 Depth=1
	s_and_b64 vcc, exec, s[0:1]
	s_cbranch_vccnz .LBB7_80
; %bb.75:                               ;   in Loop: Header=BB7_9 Depth=1
	s_andn2_b64 vcc, exec, s[42:43]
	s_cbranch_vccnz .LBB7_81
; %bb.76:                               ;   in Loop: Header=BB7_9 Depth=1
	s_mov_b32 s2, 0
	s_andn2_b64 vcc, exec, s[52:53]
	v_mov_b32_e32 v2, 0
	s_cbranch_vccnz .LBB7_82
; %bb.77:                               ;   in Loop: Header=BB7_9 Depth=1
	s_mov_b32 s60, 0
	v_mov_b32_e32 v2, 0
	s_mov_b64 s[38:39], s[34:35]
	s_mov_b64 s[58:59], s[44:45]
	v_mov_b32_e32 v0, v10
.LBB7_78:                               ;   Parent Loop BB7_9 Depth=1
                                        ; =>  This Inner Loop Header: Depth=2
	s_load_dwordx8 s[0:7], s[38:39], 0x4
	s_load_dwordx4 s[16:19], s[38:39], 0x24
	s_load_dwordx4 s[20:23], s[58:59], 0x0
	s_add_u32 s38, s38, 48
	s_addc_u32 s39, s39, 0
	s_waitcnt lgkmcnt(0)
	v_mul_hi_u32 v3, s1, v0
	v_add_u32_e32 v3, v0, v3
	v_lshrrev_b32_e32 v3, s2, v3
	v_mul_lo_u32 v4, v3, s0
	v_mul_hi_u32 v9, s4, v3
	v_sub_u32_e32 v0, v0, v4
	v_add_u32_e32 v4, v3, v9
	v_lshrrev_b32_e32 v4, s5, v4
	v_mul_lo_u32 v9, v4, s3
	v_mul_hi_u32 v11, s7, v4
	v_sub_u32_e32 v3, v3, v9
	v_add_u32_e32 v9, v4, v11
	v_mul_lo_u32 v0, v0, s20
	v_mul_lo_u32 v3, v3, s21
	v_lshrrev_b32_e32 v9, s16, v9
	v_add3_u32 v2, v0, v2, v3
	v_mul_lo_u32 v0, v9, s6
	v_mul_hi_u32 v3, s18, v9
	v_sub_u32_e32 v0, v4, v0
	v_add_u32_e32 v3, v9, v3
	v_mul_lo_u32 v4, v0, s22
	v_lshrrev_b32_e32 v0, s19, v3
	s_add_i32 s60, s60, 4
	v_mul_lo_u32 v3, v0, s17
	s_add_u32 s58, s58, 16
	v_sub_u32_e32 v3, v9, v3
	s_addc_u32 s59, s59, 0
	v_mul_lo_u32 v3, v3, s23
	s_cmp_eq_u32 s68, s60
	v_add3_u32 v2, v4, v2, v3
	s_cbranch_scc0 .LBB7_78
; %bb.79:                               ;   in Loop: Header=BB7_9 Depth=1
	s_mov_b32 s2, s68
	s_andn2_b64 vcc, exec, s[56:57]
	s_cbranch_vccz .LBB7_83
	s_branch .LBB7_85
.LBB7_80:                               ;   in Loop: Header=BB7_9 Depth=1
                                        ; implicit-def: $vgpr2
	s_branch .LBB7_86
.LBB7_81:                               ;   in Loop: Header=BB7_9 Depth=1
	v_mov_b32_e32 v2, 0
	s_branch .LBB7_85
.LBB7_82:                               ;   in Loop: Header=BB7_9 Depth=1
	v_mov_b32_e32 v0, v10
	s_andn2_b64 vcc, exec, s[56:57]
	s_cbranch_vccnz .LBB7_85
.LBB7_83:                               ;   in Loop: Header=BB7_9 Depth=1
	s_lshl_b32 s0, s2, 2
	s_add_u32 s0, s44, s0
	s_addc_u32 s1, s45, 0
	s_mul_i32 s2, s2, 12
	s_add_u32 s2, s34, s2
	s_addc_u32 s3, s35, 0
	s_mov_b32 s4, s67
.LBB7_84:                               ;   Parent Loop BB7_9 Depth=1
                                        ; =>  This Inner Loop Header: Depth=2
	s_load_dwordx2 s[6:7], s[2:3], 0x4
	s_load_dword s5, s[2:3], 0xc
	s_load_dword s16, s[0:1], 0x0
	s_add_u32 s2, s2, 12
	s_addc_u32 s3, s3, 0
	s_waitcnt lgkmcnt(0)
	v_mul_hi_u32 v3, s7, v0
	v_add_u32_e32 v3, v0, v3
	v_lshrrev_b32_e32 v3, s5, v3
	s_add_u32 s0, s0, 4
	v_mul_lo_u32 v4, v3, s6
	s_addc_u32 s1, s1, 0
	s_add_i32 s4, s4, -1
	v_sub_u32_e32 v4, v0, v4
	s_cmp_lg_u32 s4, 0
	v_mov_b32_e32 v0, v3
	v_mad_u64_u32 v[2:3], s[6:7], v4, s16, v[2:3]
	s_cbranch_scc1 .LBB7_84
.LBB7_85:                               ;   in Loop: Header=BB7_9 Depth=1
	s_cbranch_execnz .LBB7_88
.LBB7_86:                               ;   in Loop: Header=BB7_9 Depth=1
	v_mul_hi_u32 v0, v10, s10
	v_add_u32_e32 v0, v0, v10
	v_lshrrev_b32_e32 v0, s11, v0
	v_mul_lo_u32 v2, v0, s9
	v_sub_u32_e32 v2, v10, v2
	s_andn2_b64 vcc, exec, s[46:47]
	v_mul_lo_u32 v2, v2, s50
	s_cbranch_vccnz .LBB7_88
; %bb.87:                               ;   in Loop: Header=BB7_9 Depth=1
	v_mul_hi_u32 v3, s8, v0
	v_add_u32_e32 v3, v0, v3
	v_lshrrev_b32_e32 v3, s14, v3
	v_mul_lo_u32 v3, v3, s12
	v_sub_u32_e32 v0, v0, v3
	v_mad_u64_u32 v[2:3], s[0:1], v0, s51, v[2:3]
.LBB7_88:                               ;   in Loop: Header=BB7_9 Depth=1
	v_mov_b32_e32 v0, v5
	v_cmp_le_u64_e32 vcc, s[30:31], v[0:1]
	s_and_saveexec_b64 s[0:1], vcc
	s_cbranch_execz .LBB7_7
; %bb.89:                               ;   in Loop: Header=BB7_9 Depth=1
	v_cvt_f32_u32_e32 v3, s30
	s_sub_i32 s2, 0, s30
	v_rcp_iflag_f32_e32 v3, v3
	v_mul_f32_e32 v3, 0x4f7ffffe, v3
	v_cvt_u32_f32_e32 v3, v3
	v_mul_lo_u32 v4, s2, v3
	v_mul_hi_u32 v4, v3, v4
	v_add_u32_e32 v3, v3, v4
	v_mul_hi_u32 v3, v0, v3
	v_mul_lo_u32 v3, v3, s30
	v_sub_u32_e32 v0, v0, v3
	v_subrev_u32_e32 v3, s30, v0
	v_cmp_le_u32_e32 vcc, s30, v0
	v_cndmask_b32_e32 v0, v0, v3, vcc
	v_subrev_u32_e32 v3, s30, v0
	v_cmp_le_u32_e32 vcc, s30, v0
	v_cndmask_b32_e32 v0, v0, v3, vcc
	s_branch .LBB7_7
.LBB7_90:
	s_endpgm
.LBB7_91:
                                        ; implicit-def: $sgpr2_sgpr3
	s_andn2_b64 vcc, exec, s[0:1]
	s_cbranch_vccz .LBB7_4
	s_branch .LBB7_5
	.section	.rodata,"a",@progbits
	.p2align	6, 0x0
	.amdhsa_kernel _ZN2at6native12_GLOBAL__N_143distribution_elementwise_grid_stride_kernelIjLi4EZZZNS0_9templates4cuda21random_from_to_kernelIPNS_17CUDAGeneratorImplEEEvRNS_18TensorIteratorBaseEmlT_ENKUlvE_clEvENKUlvE0_clEvEUlP25hiprandStatePhilox4_32_10E0_ZNS1_27distribution_nullary_kernelIaj15HIP_vector_typeIjLj4EES7_SF_ZZZNS5_IS7_EEvS9_mlSA_ENKSB_clEvENKSC_clEvEUljE_EEvS9_T2_RKT3_T4_EUlijE0_EEvlNS_15PhiloxCudaStateET1_SK_
		.amdhsa_group_segment_fixed_size 0
		.amdhsa_private_segment_fixed_size 0
		.amdhsa_kernarg_size 592
		.amdhsa_user_sgpr_count 6
		.amdhsa_user_sgpr_private_segment_buffer 1
		.amdhsa_user_sgpr_dispatch_ptr 0
		.amdhsa_user_sgpr_queue_ptr 0
		.amdhsa_user_sgpr_kernarg_segment_ptr 1
		.amdhsa_user_sgpr_dispatch_id 0
		.amdhsa_user_sgpr_flat_scratch_init 0
		.amdhsa_user_sgpr_kernarg_preload_length 0
		.amdhsa_user_sgpr_kernarg_preload_offset 0
		.amdhsa_user_sgpr_private_segment_size 0
		.amdhsa_uses_dynamic_stack 0
		.amdhsa_system_sgpr_private_segment_wavefront_offset 0
		.amdhsa_system_sgpr_workgroup_id_x 1
		.amdhsa_system_sgpr_workgroup_id_y 0
		.amdhsa_system_sgpr_workgroup_id_z 0
		.amdhsa_system_sgpr_workgroup_info 0
		.amdhsa_system_vgpr_workitem_id 0
		.amdhsa_next_free_vgpr 43
		.amdhsa_next_free_sgpr 70
		.amdhsa_accum_offset 44
		.amdhsa_reserve_vcc 1
		.amdhsa_reserve_flat_scratch 0
		.amdhsa_float_round_mode_32 0
		.amdhsa_float_round_mode_16_64 0
		.amdhsa_float_denorm_mode_32 3
		.amdhsa_float_denorm_mode_16_64 3
		.amdhsa_dx10_clamp 1
		.amdhsa_ieee_mode 1
		.amdhsa_fp16_overflow 0
		.amdhsa_tg_split 0
		.amdhsa_exception_fp_ieee_invalid_op 0
		.amdhsa_exception_fp_denorm_src 0
		.amdhsa_exception_fp_ieee_div_zero 0
		.amdhsa_exception_fp_ieee_overflow 0
		.amdhsa_exception_fp_ieee_underflow 0
		.amdhsa_exception_fp_ieee_inexact 0
		.amdhsa_exception_int_div_zero 0
	.end_amdhsa_kernel
	.section	.text._ZN2at6native12_GLOBAL__N_143distribution_elementwise_grid_stride_kernelIjLi4EZZZNS0_9templates4cuda21random_from_to_kernelIPNS_17CUDAGeneratorImplEEEvRNS_18TensorIteratorBaseEmlT_ENKUlvE_clEvENKUlvE0_clEvEUlP25hiprandStatePhilox4_32_10E0_ZNS1_27distribution_nullary_kernelIaj15HIP_vector_typeIjLj4EES7_SF_ZZZNS5_IS7_EEvS9_mlSA_ENKSB_clEvENKSC_clEvEUljE_EEvS9_T2_RKT3_T4_EUlijE0_EEvlNS_15PhiloxCudaStateET1_SK_,"axG",@progbits,_ZN2at6native12_GLOBAL__N_143distribution_elementwise_grid_stride_kernelIjLi4EZZZNS0_9templates4cuda21random_from_to_kernelIPNS_17CUDAGeneratorImplEEEvRNS_18TensorIteratorBaseEmlT_ENKUlvE_clEvENKUlvE0_clEvEUlP25hiprandStatePhilox4_32_10E0_ZNS1_27distribution_nullary_kernelIaj15HIP_vector_typeIjLj4EES7_SF_ZZZNS5_IS7_EEvS9_mlSA_ENKSB_clEvENKSC_clEvEUljE_EEvS9_T2_RKT3_T4_EUlijE0_EEvlNS_15PhiloxCudaStateET1_SK_,comdat
.Lfunc_end7:
	.size	_ZN2at6native12_GLOBAL__N_143distribution_elementwise_grid_stride_kernelIjLi4EZZZNS0_9templates4cuda21random_from_to_kernelIPNS_17CUDAGeneratorImplEEEvRNS_18TensorIteratorBaseEmlT_ENKUlvE_clEvENKUlvE0_clEvEUlP25hiprandStatePhilox4_32_10E0_ZNS1_27distribution_nullary_kernelIaj15HIP_vector_typeIjLj4EES7_SF_ZZZNS5_IS7_EEvS9_mlSA_ENKSB_clEvENKSC_clEvEUljE_EEvS9_T2_RKT3_T4_EUlijE0_EEvlNS_15PhiloxCudaStateET1_SK_, .Lfunc_end7-_ZN2at6native12_GLOBAL__N_143distribution_elementwise_grid_stride_kernelIjLi4EZZZNS0_9templates4cuda21random_from_to_kernelIPNS_17CUDAGeneratorImplEEEvRNS_18TensorIteratorBaseEmlT_ENKUlvE_clEvENKUlvE0_clEvEUlP25hiprandStatePhilox4_32_10E0_ZNS1_27distribution_nullary_kernelIaj15HIP_vector_typeIjLj4EES7_SF_ZZZNS5_IS7_EEvS9_mlSA_ENKSB_clEvENKSC_clEvEUljE_EEvS9_T2_RKT3_T4_EUlijE0_EEvlNS_15PhiloxCudaStateET1_SK_
                                        ; -- End function
	.section	.AMDGPU.csdata,"",@progbits
; Kernel info:
; codeLenInByte = 4756
; NumSgprs: 74
; NumVgprs: 43
; NumAgprs: 0
; TotalNumVgprs: 43
; ScratchSize: 0
; MemoryBound: 0
; FloatMode: 240
; IeeeMode: 1
; LDSByteSize: 0 bytes/workgroup (compile time only)
; SGPRBlocks: 9
; VGPRBlocks: 5
; NumSGPRsForWavesPerEU: 74
; NumVGPRsForWavesPerEU: 43
; AccumOffset: 44
; Occupancy: 8
; WaveLimiterHint : 1
; COMPUTE_PGM_RSRC2:SCRATCH_EN: 0
; COMPUTE_PGM_RSRC2:USER_SGPR: 6
; COMPUTE_PGM_RSRC2:TRAP_HANDLER: 0
; COMPUTE_PGM_RSRC2:TGID_X_EN: 1
; COMPUTE_PGM_RSRC2:TGID_Y_EN: 0
; COMPUTE_PGM_RSRC2:TGID_Z_EN: 0
; COMPUTE_PGM_RSRC2:TIDIG_COMP_CNT: 0
; COMPUTE_PGM_RSRC3_GFX90A:ACCUM_OFFSET: 10
; COMPUTE_PGM_RSRC3_GFX90A:TG_SPLIT: 0
	.section	.text._ZN2at6native12_GLOBAL__N_143distribution_elementwise_grid_stride_kernelImLi2EZZZNS0_9templates4cuda21random_from_to_kernelIPNS_17CUDAGeneratorImplEEEvRNS_18TensorIteratorBaseEmlT_ENKUlvE_clEvENKUlvE1_clEvEUlP25hiprandStatePhilox4_32_10E_ZNS1_27distribution_nullary_kernelIim15HIP_vector_typeIyLj2EES7_SF_ZZZNS5_IS7_EEvS9_mlSA_ENKSB_clEvENKSC_clEvEUlmE_EEvS9_T2_RKT3_T4_EUlimE_EEvlNS_15PhiloxCudaStateET1_SK_,"axG",@progbits,_ZN2at6native12_GLOBAL__N_143distribution_elementwise_grid_stride_kernelImLi2EZZZNS0_9templates4cuda21random_from_to_kernelIPNS_17CUDAGeneratorImplEEEvRNS_18TensorIteratorBaseEmlT_ENKUlvE_clEvENKUlvE1_clEvEUlP25hiprandStatePhilox4_32_10E_ZNS1_27distribution_nullary_kernelIim15HIP_vector_typeIyLj2EES7_SF_ZZZNS5_IS7_EEvS9_mlSA_ENKSB_clEvENKSC_clEvEUlmE_EEvS9_T2_RKT3_T4_EUlimE_EEvlNS_15PhiloxCudaStateET1_SK_,comdat
	.globl	_ZN2at6native12_GLOBAL__N_143distribution_elementwise_grid_stride_kernelImLi2EZZZNS0_9templates4cuda21random_from_to_kernelIPNS_17CUDAGeneratorImplEEEvRNS_18TensorIteratorBaseEmlT_ENKUlvE_clEvENKUlvE1_clEvEUlP25hiprandStatePhilox4_32_10E_ZNS1_27distribution_nullary_kernelIim15HIP_vector_typeIyLj2EES7_SF_ZZZNS5_IS7_EEvS9_mlSA_ENKSB_clEvENKSC_clEvEUlmE_EEvS9_T2_RKT3_T4_EUlimE_EEvlNS_15PhiloxCudaStateET1_SK_ ; -- Begin function _ZN2at6native12_GLOBAL__N_143distribution_elementwise_grid_stride_kernelImLi2EZZZNS0_9templates4cuda21random_from_to_kernelIPNS_17CUDAGeneratorImplEEEvRNS_18TensorIteratorBaseEmlT_ENKUlvE_clEvENKUlvE1_clEvEUlP25hiprandStatePhilox4_32_10E_ZNS1_27distribution_nullary_kernelIim15HIP_vector_typeIyLj2EES7_SF_ZZZNS5_IS7_EEvS9_mlSA_ENKSB_clEvENKSC_clEvEUlmE_EEvS9_T2_RKT3_T4_EUlimE_EEvlNS_15PhiloxCudaStateET1_SK_
	.p2align	8
	.type	_ZN2at6native12_GLOBAL__N_143distribution_elementwise_grid_stride_kernelImLi2EZZZNS0_9templates4cuda21random_from_to_kernelIPNS_17CUDAGeneratorImplEEEvRNS_18TensorIteratorBaseEmlT_ENKUlvE_clEvENKUlvE1_clEvEUlP25hiprandStatePhilox4_32_10E_ZNS1_27distribution_nullary_kernelIim15HIP_vector_typeIyLj2EES7_SF_ZZZNS5_IS7_EEvS9_mlSA_ENKSB_clEvENKSC_clEvEUlmE_EEvS9_T2_RKT3_T4_EUlimE_EEvlNS_15PhiloxCudaStateET1_SK_,@function
_ZN2at6native12_GLOBAL__N_143distribution_elementwise_grid_stride_kernelImLi2EZZZNS0_9templates4cuda21random_from_to_kernelIPNS_17CUDAGeneratorImplEEEvRNS_18TensorIteratorBaseEmlT_ENKUlvE_clEvENKUlvE1_clEvEUlP25hiprandStatePhilox4_32_10E_ZNS1_27distribution_nullary_kernelIim15HIP_vector_typeIyLj2EES7_SF_ZZZNS5_IS7_EEvS9_mlSA_ENKSB_clEvENKSC_clEvEUlmE_EEvS9_T2_RKT3_T4_EUlimE_EEvlNS_15PhiloxCudaStateET1_SK_: ; @_ZN2at6native12_GLOBAL__N_143distribution_elementwise_grid_stride_kernelImLi2EZZZNS0_9templates4cuda21random_from_to_kernelIPNS_17CUDAGeneratorImplEEEvRNS_18TensorIteratorBaseEmlT_ENKUlvE_clEvENKUlvE1_clEvEUlP25hiprandStatePhilox4_32_10E_ZNS1_27distribution_nullary_kernelIim15HIP_vector_typeIyLj2EES7_SF_ZZZNS5_IS7_EEvS9_mlSA_ENKSB_clEvENKSC_clEvEUlmE_EEvS9_T2_RKT3_T4_EUlimE_EEvlNS_15PhiloxCudaStateET1_SK_
; %bb.0:
	s_load_dword s2, s[4:5], 0x20
	s_load_dwordx2 s[0:1], s[4:5], 0x10
	s_load_dwordx4 s[8:11], s[4:5], 0x0
	s_waitcnt lgkmcnt(0)
	s_bitcmp0_b32 s2, 0
	s_mov_b32 s2, 0
	v_pk_mov_b32 v[2:3], s[0:1], s[0:1] op_sel:[0,1]
	v_pk_mov_b32 v[14:15], s[10:11], s[10:11] op_sel:[0,1]
	s_cbranch_scc1 .LBB8_2
; %bb.1:
	v_pk_mov_b32 v[2:3], s[0:1], s[0:1] op_sel:[0,1]
	flat_load_dwordx2 v[2:3], v[2:3]
	v_pk_mov_b32 v[4:5], s[10:11], s[10:11] op_sel:[0,1]
	flat_load_dwordx2 v[14:15], v[4:5]
	s_load_dwordx2 s[0:1], s[4:5], 0x18
	s_waitcnt lgkmcnt(0)
	v_mov_b32_e32 v1, s1
	s_waitcnt vmcnt(0)
	v_add_co_u32_e32 v2, vcc, s0, v2
	v_addc_co_u32_e32 v3, vcc, v3, v1, vcc
.LBB8_2:
	s_load_dword s0, s[4:5], 0x5c
	s_load_dword s16, s[4:5], 0x50
	s_waitcnt lgkmcnt(0)
	s_and_b32 s7, s0, 0xffff
	s_add_u32 s10, s8, -1
	s_mul_i32 s18, s16, s7
	s_addc_u32 s3, s9, -1
	s_lshl_b32 s19, s18, 1
	s_cmp_lg_u64 s[2:3], 0
	s_mov_b64 s[0:1], -1
	s_cbranch_scc0 .LBB8_31
; %bb.3:
	v_cvt_f32_u32_e32 v1, s19
	v_cvt_f32_ubyte0_e32 v4, 0
	s_sub_u32 s2, 0, s19
	s_subb_u32 s11, 0, 0
	v_madmk_f32 v1, v4, 0x4f800000, v1
	v_rcp_f32_e32 v1, v1
	v_mul_f32_e32 v1, 0x5f7ffffc, v1
	v_mul_f32_e32 v4, 0x2f800000, v1
	v_trunc_f32_e32 v4, v4
	v_madmk_f32 v1, v4, 0xcf800000, v1
	v_cvt_u32_f32_e32 v4, v4
	v_cvt_u32_f32_e32 v1, v1
	v_readfirstlane_b32 s12, v4
	v_readfirstlane_b32 s13, v1
	s_mul_i32 s14, s2, s12
	s_mul_hi_u32 s17, s2, s13
	s_mul_i32 s15, s11, s13
	s_add_i32 s14, s17, s14
	s_add_i32 s14, s14, s15
	s_mul_i32 s20, s2, s13
	s_mul_hi_u32 s15, s13, s14
	s_mul_i32 s17, s13, s14
	s_mul_hi_u32 s13, s13, s20
	s_add_u32 s13, s13, s17
	s_addc_u32 s15, 0, s15
	s_mul_hi_u32 s21, s12, s20
	s_mul_i32 s20, s12, s20
	s_add_u32 s13, s13, s20
	s_mul_hi_u32 s17, s12, s14
	s_addc_u32 s13, s15, s21
	s_addc_u32 s15, s17, 0
	s_mul_i32 s14, s12, s14
	s_add_u32 s13, s13, s14
	s_addc_u32 s14, 0, s15
	v_add_co_u32_e32 v1, vcc, s13, v1
	s_cmp_lg_u64 vcc, 0
	s_addc_u32 s12, s12, s14
	v_readfirstlane_b32 s14, v1
	s_mul_i32 s13, s2, s12
	s_mul_hi_u32 s15, s2, s14
	s_add_i32 s13, s15, s13
	s_mul_i32 s11, s11, s14
	s_add_i32 s13, s13, s11
	s_mul_i32 s2, s2, s14
	s_mul_hi_u32 s15, s12, s2
	s_mul_i32 s17, s12, s2
	s_mul_i32 s21, s14, s13
	s_mul_hi_u32 s2, s14, s2
	s_mul_hi_u32 s20, s14, s13
	s_add_u32 s2, s2, s21
	s_addc_u32 s14, 0, s20
	s_add_u32 s2, s2, s17
	s_mul_hi_u32 s11, s12, s13
	s_addc_u32 s2, s14, s15
	s_addc_u32 s11, s11, 0
	s_mul_i32 s13, s12, s13
	s_add_u32 s2, s2, s13
	s_addc_u32 s11, 0, s11
	v_add_co_u32_e32 v1, vcc, s2, v1
	s_cmp_lg_u64 vcc, 0
	s_addc_u32 s11, s12, s11
	s_ashr_i32 s12, s3, 31
	s_add_u32 s2, s10, s12
	s_mov_b32 s13, s12
	s_addc_u32 s3, s3, s12
	s_xor_b64 s[2:3], s[2:3], s[12:13]
	v_readfirstlane_b32 s17, v1
	s_mul_i32 s15, s2, s11
	s_mul_hi_u32 s20, s2, s17
	s_mul_hi_u32 s14, s2, s11
	s_add_u32 s15, s20, s15
	s_addc_u32 s14, 0, s14
	s_mul_hi_u32 s21, s3, s17
	s_mul_i32 s17, s3, s17
	s_add_u32 s15, s15, s17
	s_mul_hi_u32 s20, s3, s11
	s_addc_u32 s14, s14, s21
	s_addc_u32 s15, s20, 0
	s_mul_i32 s11, s3, s11
	s_add_u32 s11, s14, s11
	s_addc_u32 s14, 0, s15
	s_add_u32 s15, s11, 1
	s_addc_u32 s17, s14, 0
	s_add_u32 s20, s11, 2
	s_mul_i32 s22, s19, s14
	s_mul_hi_u32 s23, s19, s11
	s_addc_u32 s21, s14, 0
	s_add_i32 s23, s23, s22
	s_mul_i32 s22, s19, s11
	v_mov_b32_e32 v1, s22
	v_sub_co_u32_e32 v1, vcc, s2, v1
	s_cmp_lg_u64 vcc, 0
	s_subb_u32 s2, s3, s23
	v_subrev_co_u32_e32 v4, vcc, s19, v1
	s_cmp_lg_u64 vcc, 0
	s_subb_u32 s3, s2, 0
	v_readfirstlane_b32 s22, v4
	s_cmp_ge_u32 s22, s19
	s_cselect_b32 s22, -1, 0
	s_cmp_eq_u32 s3, 0
	s_cselect_b32 s3, s22, -1
	s_cmp_lg_u32 s3, 0
	s_cselect_b32 s3, s21, s17
	v_readfirstlane_b32 s17, v1
	s_cselect_b32 s15, s20, s15
	s_cmp_ge_u32 s17, s19
	s_cselect_b32 s17, -1, 0
	s_cmp_eq_u32 s2, 0
	s_cselect_b32 s2, s17, -1
	s_cmp_lg_u32 s2, 0
	s_cselect_b32 s3, s3, s14
	s_cselect_b32 s2, s15, s11
	s_xor_b64 s[2:3], s[2:3], s[12:13]
	s_sub_u32 s2, s2, s12
	s_subb_u32 s3, s3, s12
	s_cbranch_execnz .LBB8_5
.LBB8_4:
	v_cvt_f32_u32_e32 v1, s19
	s_sub_i32 s0, 0, s19
	s_mov_b32 s3, 0
	v_rcp_iflag_f32_e32 v1, v1
	v_mul_f32_e32 v1, 0x4f7ffffe, v1
	v_cvt_u32_f32_e32 v1, v1
	v_readfirstlane_b32 s1, v1
	s_mul_i32 s0, s0, s1
	s_mul_hi_u32 s0, s1, s0
	s_add_i32 s1, s1, s0
	s_mul_hi_u32 s0, s10, s1
	s_mul_i32 s2, s0, s19
	s_sub_i32 s2, s10, s2
	s_add_i32 s1, s0, 1
	s_sub_i32 s10, s2, s19
	s_cmp_ge_u32 s2, s19
	s_cselect_b32 s0, s1, s0
	s_cselect_b32 s2, s10, s2
	s_add_i32 s1, s0, 1
	s_cmp_ge_u32 s2, s19
	s_cselect_b32 s2, s1, s0
.LBB8_5:
	v_mov_b32_e32 v16, 0
	v_mov_b32_e32 v1, v16
	v_mov_b32_e32 v4, s6
	v_mad_u64_u32 v[18:19], s[0:1], s7, v4, v[0:1]
	s_add_u32 s0, s2, 1
	s_addc_u32 s1, s3, 0
	s_mul_hi_u32 s2, s16, s7
	s_mul_i32 s1, s18, s1
	s_mul_hi_u32 s3, s18, s0
	s_add_i32 s1, s3, s1
	s_mul_i32 s2, s2, s0
	s_add_i32 s1, s1, s2
	s_mul_i32 s0, s18, s0
	s_lshl_b64 s[2:3], s[0:1], 1
	v_cmp_gt_i64_e32 vcc, s[2:3], v[18:19]
	s_and_saveexec_b64 s[0:1], vcc
	s_cbranch_execz .LBB8_30
; %bb.6:
	v_mov_b32_e32 v4, v15
	s_mov_b32 s0, 0xdb3d7428
	v_add_co_u32_e32 v23, vcc, s0, v4
	s_mov_b32 s0, 0x5384540f
	v_add_co_u32_e32 v24, vcc, s0, v14
	s_mov_b32 s0, 0x646e171e
	v_add_co_u32_e32 v25, vcc, s0, v4
	s_mov_b32 s0, 0x1715609d
	v_add_co_u32_e32 v26, vcc, s0, v14
	s_mov_b32 s0, 0xed9eba14
	v_add_co_u32_e32 v27, vcc, s0, v4
	s_mov_b32 s0, 0xdaa66d2b
	v_add_co_u32_e32 v28, vcc, s0, v14
	s_mov_b32 s0, 0x76cf5d0a
	v_add_co_u32_e32 v29, vcc, s0, v4
	s_mov_b32 s0, 0x9e3779b9
	v_alignbit_b32 v31, v3, v2, 2
	s_mov_b32 s20, 0xd2511f53
	v_add_co_u32_e32 v30, vcc, s0, v14
	v_mad_u64_u32 v[6:7], s[0:1], v31, s20, 0
	v_xor_b32_e32 v1, v7, v15
	v_xor_b32_e32 v1, v1, v19
	s_mov_b32 s21, 0xcd9e8d57
	v_mad_u64_u32 v[8:9], s[0:1], v1, s21, 0
	v_xor_b32_e32 v1, v30, v9
	v_mad_u64_u32 v[10:11], s[0:1], v18, s21, 0
	v_and_b32_e32 v20, 3, v2
	v_xor_b32_e32 v1, v1, v10
	v_xor_b32_e32 v2, v14, v11
	v_lshrrev_b32_e32 v32, 2, v3
	v_mad_u64_u32 v[12:13], s[0:1], v1, s20, 0
	v_xor_b32_e32 v2, v2, v32
	v_xor_b32_e32 v1, v29, v13
	v_mad_u64_u32 v[2:3], s[0:1], v2, s20, 0
	v_xor_b32_e32 v1, v1, v2
	v_mad_u64_u32 v[10:11], s[0:1], v1, s21, 0
	s_mov_b32 s0, 0xbb67ae85
	v_add_co_u32_e32 v33, vcc, s0, v4
	v_xor_b32_e32 v2, v33, v3
	v_xor_b32_e32 v2, v2, v6
	v_xor_b32_e32 v1, v28, v11
	v_mad_u64_u32 v[2:3], s[0:1], v2, s21, 0
	v_xor_b32_e32 v1, v1, v2
	v_mad_u64_u32 v[6:7], s[0:1], v1, s20, 0
	s_mov_b32 s0, 0x3c6ef372
	v_add_co_u32_e32 v34, vcc, s0, v14
	v_xor_b32_e32 v2, v34, v3
	;; [unrolled: 8-line block ×7, first 2 shown]
	v_xor_b32_e32 v1, v1, v12
	v_mad_u64_u32 v[2:3], s[0:1], v1, s21, 0
	s_mov_b32 s0, 0xf1bbcdc8
	v_add_u32_e32 v21, 0x8ff34781, v14
	v_xor_b32_e32 v1, v9, v2
	v_add_co_u32_e32 v40, vcc, s0, v14
	s_load_dwordx2 s[10:11], s[4:5], 0x30
	s_load_dword s17, s[4:5], 0x38
	s_load_dwordx4 s[12:15], s[4:5], 0x40
	v_xor_b32_e32 v2, v21, v1
	v_xor_b32_e32 v1, v40, v3
	;; [unrolled: 1-line block ×3, first 2 shown]
	v_mad_u64_u32 v[10:11], s[0:1], v1, s20, 0
	v_add_u32_e32 v22, 0x96a522ad, v15
	v_xor_b32_e32 v1, v11, v6
	s_mul_i32 s0, s6, s7
	v_xor_b32_e32 v4, v22, v1
	v_add_u32_e32 v1, s0, v0
	s_waitcnt lgkmcnt(0)
	s_mul_i32 s0, s16, s17
	s_mul_i32 s0, s0, s7
	s_lshl_b32 s22, s0, 1
	s_add_i32 s0, s6, s16
	s_mul_i32 s0, s0, s7
	s_mov_b32 s15, 0
	v_add_u32_e32 v0, s0, v0
	v_mov_b32_e32 v3, v8
	v_mov_b32_e32 v5, v10
	v_mul_lo_u32 v41, s17, v1
	v_mul_lo_u32 v42, s17, v0
	s_mov_b64 s[4:5], 0
	s_mov_b32 s23, s15
	v_mov_b32_e32 v43, v18
	v_mov_b32_e32 v44, v19
	s_branch .LBB8_9
.LBB8_7:                                ;   in Loop: Header=BB8_9 Depth=1
	s_or_b64 exec, exec, s[0:1]
	v_add_u32_e32 v1, s23, v42
	v_ashrrev_i32_e32 v3, 31, v1
	v_mov_b32_e32 v4, s11
	v_add_co_u32_e32 v2, vcc, s10, v1
	v_addc_co_u32_e32 v3, vcc, v4, v3, vcc
	v_add_u32_e32 v1, s14, v10
	global_store_dword v[2:3], v1, off
.LBB8_8:                                ;   in Loop: Header=BB8_9 Depth=1
	s_or_b64 exec, exec, s[6:7]
	v_add_co_u32_e32 v18, vcc, s19, v18
	v_addc_co_u32_e32 v19, vcc, 0, v19, vcc
	v_mov_b32_e32 v9, v0
	s_add_i32 s23, s23, s22
	v_cmp_le_i64_e32 vcc, s[2:3], v[18:19]
	v_pk_mov_b32 v[2:3], v[6:7], v[6:7] op_sel:[0,1]
	s_or_b64 s[4:5], vcc, s[4:5]
	v_pk_mov_b32 v[4:5], v[8:9], v[8:9] op_sel:[0,1]
	s_barrier
	s_andn2_b64 exec, exec, s[4:5]
	s_cbranch_execz .LBB8_30
.LBB8_9:                                ; =>This Inner Loop Header: Depth=1
	v_add_co_u32_e32 v31, vcc, 1, v31
	v_cndmask_b32_e64 v0, 0, 1, vcc
	v_addc_co_u32_e32 v32, vcc, 0, v32, vcc
	v_cmp_eq_u32_e32 vcc, 0, v32
	v_cndmask_b32_e32 v0, 0, v0, vcc
	v_add_u32_e32 v43, v0, v43
	v_cmp_eq_u32_e32 vcc, 0, v43
	v_cndmask_b32_e32 v0, 0, v0, vcc
	v_add_u32_e32 v44, v0, v44
	v_mad_u64_u32 v[0:1], s[0:1], v31, s20, 0
	v_mad_u64_u32 v[6:7], s[0:1], v43, s21, 0
	v_xor_b32_e32 v1, v1, v15
	v_xor_b32_e32 v7, v7, v14
	v_xor_b32_e32 v1, v44, v1
	v_xor_b32_e32 v7, v32, v7
	v_mad_u64_u32 v[10:11], s[0:1], v1, s21, 0
	v_mad_u64_u32 v[8:9], s[0:1], v7, s20, 0
	v_xor_b32_e32 v1, v30, v11
	v_xor_b32_e32 v1, v1, v6
	v_xor_b32_e32 v6, v33, v9
	v_xor_b32_e32 v6, v6, v0
	;; [unrolled: 6-line block ×10, first 2 shown]
	v_mov_b32_e32 v7, v12
	v_mov_b32_e32 v8, v13
	v_cmp_lt_i32_e32 vcc, 1, v20
	s_and_saveexec_b64 s[0:1], vcc
	s_xor_b64 s[0:1], exec, s[0:1]
	s_cbranch_execnz .LBB8_12
; %bb.10:                               ;   in Loop: Header=BB8_9 Depth=1
	s_andn2_saveexec_b64 s[0:1], s[0:1]
	s_cbranch_execnz .LBB8_17
.LBB8_11:                               ;   in Loop: Header=BB8_9 Depth=1
	s_or_b64 exec, exec, s[0:1]
	v_cmp_gt_i64_e32 vcc, s[8:9], v[18:19]
	s_and_saveexec_b64 s[6:7], vcc
	s_cbranch_execnz .LBB8_20
	s_branch .LBB8_25
.LBB8_12:                               ;   in Loop: Header=BB8_9 Depth=1
	v_cmp_lt_i32_e32 vcc, 2, v20
	s_and_saveexec_b64 s[6:7], vcc
	s_xor_b64 s[6:7], exec, s[6:7]
; %bb.13:                               ;   in Loop: Header=BB8_9 Depth=1
	v_mov_b32_e32 v10, v5
	v_mov_b32_e32 v11, v6
	v_pk_mov_b32 v[2:3], v[10:11], v[10:11] op_sel:[0,1]
	v_pk_mov_b32 v[4:5], v[12:13], v[12:13] op_sel:[0,1]
                                        ; implicit-def: $vgpr12_vgpr13
; %bb.14:                               ;   in Loop: Header=BB8_9 Depth=1
	s_andn2_saveexec_b64 s[6:7], s[6:7]
; %bb.15:                               ;   in Loop: Header=BB8_9 Depth=1
	v_mov_b32_e32 v2, v4
	v_mov_b32_e32 v3, v5
	;; [unrolled: 1-line block ×4, first 2 shown]
; %bb.16:                               ;   in Loop: Header=BB8_9 Depth=1
	s_or_b64 exec, exec, s[6:7]
	s_andn2_saveexec_b64 s[0:1], s[0:1]
	s_cbranch_execz .LBB8_11
.LBB8_17:                               ;   in Loop: Header=BB8_9 Depth=1
	v_cmp_eq_u32_e32 vcc, 1, v20
	s_and_saveexec_b64 s[6:7], vcc
; %bb.18:                               ;   in Loop: Header=BB8_9 Depth=1
	v_mov_b32_e32 v2, v3
	v_mov_b32_e32 v3, v4
	;; [unrolled: 1-line block ×4, first 2 shown]
; %bb.19:                               ;   in Loop: Header=BB8_9 Depth=1
	s_or_b64 exec, exec, s[6:7]
	s_or_b64 exec, exec, s[0:1]
	v_cmp_gt_i64_e32 vcc, s[8:9], v[18:19]
	s_and_saveexec_b64 s[6:7], vcc
	s_cbranch_execz .LBB8_25
.LBB8_20:                               ;   in Loop: Header=BB8_9 Depth=1
	v_or_b32_e32 v17, s13, v2
	v_cmp_ne_u64_e32 vcc, 0, v[16:17]
                                        ; implicit-def: $vgpr10_vgpr11
	s_and_saveexec_b64 s[0:1], vcc
	s_xor_b64 s[16:17], exec, s[0:1]
	s_cbranch_execz .LBB8_22
; %bb.21:                               ;   in Loop: Header=BB8_9 Depth=1
	v_cvt_f32_u32_e32 v1, s12
	v_cvt_f32_u32_e32 v9, s13
	s_sub_u32 s0, 0, s12
	s_subb_u32 s1, 0, s13
	v_mac_f32_e32 v1, 0x4f800000, v9
	v_rcp_f32_e32 v1, v1
	v_mul_f32_e32 v1, 0x5f7ffffc, v1
	v_mul_f32_e32 v9, 0x2f800000, v1
	v_trunc_f32_e32 v9, v9
	v_mac_f32_e32 v1, 0xcf800000, v9
	v_cvt_u32_f32_e32 v9, v9
	v_cvt_u32_f32_e32 v1, v1
	v_mul_lo_u32 v10, s0, v9
	v_mul_hi_u32 v12, s0, v1
	v_mul_lo_u32 v11, s1, v1
	v_add_u32_e32 v10, v12, v10
	v_mul_lo_u32 v13, s0, v1
	v_add_u32_e32 v10, v10, v11
	v_mul_hi_u32 v12, v1, v13
	v_mul_lo_u32 v17, v1, v10
	v_mul_hi_u32 v11, v1, v10
	v_add_co_u32_e32 v12, vcc, v12, v17
	v_addc_co_u32_e32 v11, vcc, 0, v11, vcc
	v_mul_hi_u32 v45, v9, v13
	v_mul_lo_u32 v13, v9, v13
	v_add_co_u32_e32 v12, vcc, v12, v13
	v_mul_hi_u32 v17, v9, v10
	v_addc_co_u32_e32 v11, vcc, v11, v45, vcc
	v_addc_co_u32_e32 v12, vcc, 0, v17, vcc
	v_mul_lo_u32 v10, v9, v10
	v_add_co_u32_e32 v10, vcc, v11, v10
	v_addc_co_u32_e32 v11, vcc, 0, v12, vcc
	v_add_co_u32_e32 v1, vcc, v1, v10
	v_addc_co_u32_e32 v9, vcc, v9, v11, vcc
	v_mul_lo_u32 v10, s0, v9
	v_mul_hi_u32 v11, s0, v1
	v_add_u32_e32 v10, v11, v10
	v_mul_lo_u32 v11, s1, v1
	v_add_u32_e32 v10, v10, v11
	v_mul_lo_u32 v12, s0, v1
	v_mul_hi_u32 v13, v9, v12
	v_mul_lo_u32 v17, v9, v12
	v_mul_lo_u32 v46, v1, v10
	v_mul_hi_u32 v12, v1, v12
	v_mul_hi_u32 v45, v1, v10
	v_add_co_u32_e32 v12, vcc, v12, v46
	v_addc_co_u32_e32 v45, vcc, 0, v45, vcc
	v_add_co_u32_e32 v12, vcc, v12, v17
	v_mul_hi_u32 v11, v9, v10
	v_addc_co_u32_e32 v12, vcc, v45, v13, vcc
	v_addc_co_u32_e32 v11, vcc, 0, v11, vcc
	v_mul_lo_u32 v10, v9, v10
	v_add_co_u32_e32 v10, vcc, v12, v10
	v_addc_co_u32_e32 v11, vcc, 0, v11, vcc
	v_add_co_u32_e32 v1, vcc, v1, v10
	v_addc_co_u32_e32 v9, vcc, v9, v11, vcc
	v_mad_u64_u32 v[10:11], s[0:1], v3, v9, 0
	v_mul_hi_u32 v12, v3, v1
	v_add_co_u32_e32 v17, vcc, v12, v10
	v_addc_co_u32_e32 v45, vcc, 0, v11, vcc
	v_mad_u64_u32 v[12:13], s[0:1], v2, v1, 0
	v_add_co_u32_e32 v1, vcc, v17, v12
	v_mad_u64_u32 v[10:11], s[0:1], v2, v9, 0
	v_addc_co_u32_e32 v1, vcc, v45, v13, vcc
	v_addc_co_u32_e32 v9, vcc, 0, v11, vcc
	v_add_co_u32_e32 v1, vcc, v1, v10
	v_addc_co_u32_e32 v9, vcc, 0, v9, vcc
	v_mul_lo_u32 v12, s13, v1
	v_mul_lo_u32 v9, s12, v9
	v_mad_u64_u32 v[10:11], s[0:1], s12, v1, 0
	v_add3_u32 v1, v11, v9, v12
	v_sub_u32_e32 v9, v2, v1
	v_mov_b32_e32 v11, s13
	v_sub_co_u32_e32 v10, vcc, v3, v10
	v_subb_co_u32_e64 v9, s[0:1], v9, v11, vcc
	v_subrev_co_u32_e64 v11, s[0:1], s12, v10
	v_subbrev_co_u32_e64 v9, s[0:1], 0, v9, s[0:1]
	v_cmp_le_u32_e64 s[0:1], s13, v9
	v_subb_co_u32_e32 v1, vcc, v2, v1, vcc
	v_cndmask_b32_e64 v12, 0, -1, s[0:1]
	v_cmp_le_u32_e64 s[0:1], s12, v11
	v_cmp_le_u32_e32 vcc, s13, v1
	v_cndmask_b32_e64 v13, 0, -1, s[0:1]
	v_cmp_eq_u32_e64 s[0:1], s13, v9
	v_cndmask_b32_e64 v2, 0, -1, vcc
	v_cmp_le_u32_e32 vcc, s12, v10
	v_cndmask_b32_e64 v9, v12, v13, s[0:1]
	v_cndmask_b32_e64 v13, 0, -1, vcc
	v_cmp_eq_u32_e32 vcc, s13, v1
	v_subrev_co_u32_e64 v12, s[0:1], s12, v11
	v_cndmask_b32_e32 v1, v2, v13, vcc
	v_cmp_ne_u32_e32 vcc, 0, v9
	v_cndmask_b32_e32 v2, v11, v12, vcc
	v_cmp_ne_u32_e32 vcc, 0, v1
	v_cndmask_b32_e32 v10, v10, v2, vcc
.LBB8_22:                               ;   in Loop: Header=BB8_9 Depth=1
	s_andn2_saveexec_b64 s[0:1], s[16:17]
	s_cbranch_execz .LBB8_24
; %bb.23:                               ;   in Loop: Header=BB8_9 Depth=1
	v_cvt_f32_u32_e32 v1, s12
	s_sub_i32 s16, 0, s12
	v_rcp_iflag_f32_e32 v1, v1
	v_mul_f32_e32 v1, 0x4f7ffffe, v1
	v_cvt_u32_f32_e32 v1, v1
	v_mul_lo_u32 v2, s16, v1
	v_mul_hi_u32 v2, v1, v2
	v_add_u32_e32 v1, v1, v2
	v_mul_hi_u32 v1, v3, v1
	v_mul_lo_u32 v1, v1, s12
	v_sub_u32_e32 v1, v3, v1
	v_subrev_u32_e32 v2, s12, v1
	v_cmp_le_u32_e32 vcc, s12, v1
	v_cndmask_b32_e32 v1, v1, v2, vcc
	v_subrev_u32_e32 v2, s12, v1
	v_cmp_le_u32_e32 vcc, s12, v1
	v_cndmask_b32_e32 v10, v1, v2, vcc
.LBB8_24:                               ;   in Loop: Header=BB8_9 Depth=1
	s_or_b64 exec, exec, s[0:1]
	v_add_u32_e32 v1, s23, v41
	v_ashrrev_i32_e32 v3, 31, v1
	v_mov_b32_e32 v9, s11
	v_add_co_u32_e32 v2, vcc, s10, v1
	v_addc_co_u32_e32 v3, vcc, v9, v3, vcc
	v_add_u32_e32 v1, s14, v10
	global_store_dword v[2:3], v1, off
.LBB8_25:                               ;   in Loop: Header=BB8_9 Depth=1
	s_or_b64 exec, exec, s[6:7]
	v_mov_b32_e32 v1, s15
	v_add_co_u32_e32 v2, vcc, s18, v18
	v_addc_co_u32_e32 v3, vcc, v1, v19, vcc
	v_cmp_gt_i64_e32 vcc, s[8:9], v[2:3]
	s_and_saveexec_b64 s[6:7], vcc
	s_cbranch_execz .LBB8_8
; %bb.26:                               ;   in Loop: Header=BB8_9 Depth=1
	v_or_b32_e32 v17, s13, v4
	v_cmp_ne_u64_e32 vcc, 0, v[16:17]
                                        ; implicit-def: $vgpr10_vgpr11
	s_and_saveexec_b64 s[0:1], vcc
	s_xor_b64 s[16:17], exec, s[0:1]
	s_cbranch_execz .LBB8_28
; %bb.27:                               ;   in Loop: Header=BB8_9 Depth=1
	v_cvt_f32_u32_e32 v1, s12
	v_cvt_f32_u32_e32 v2, s13
	s_sub_u32 s0, 0, s12
	s_subb_u32 s1, 0, s13
	v_mac_f32_e32 v1, 0x4f800000, v2
	v_rcp_f32_e32 v1, v1
	v_mul_f32_e32 v1, 0x5f7ffffc, v1
	v_mul_f32_e32 v2, 0x2f800000, v1
	v_trunc_f32_e32 v2, v2
	v_mac_f32_e32 v1, 0xcf800000, v2
	v_cvt_u32_f32_e32 v2, v2
	v_cvt_u32_f32_e32 v1, v1
	v_mul_lo_u32 v3, s0, v2
	v_mul_hi_u32 v10, s0, v1
	v_mul_lo_u32 v9, s1, v1
	v_add_u32_e32 v3, v10, v3
	v_mul_lo_u32 v11, s0, v1
	v_add_u32_e32 v3, v3, v9
	v_mul_hi_u32 v10, v1, v11
	v_mul_lo_u32 v12, v1, v3
	v_mul_hi_u32 v9, v1, v3
	v_add_co_u32_e32 v10, vcc, v10, v12
	v_addc_co_u32_e32 v9, vcc, 0, v9, vcc
	v_mul_hi_u32 v13, v2, v11
	v_mul_lo_u32 v11, v2, v11
	v_add_co_u32_e32 v10, vcc, v10, v11
	v_mul_hi_u32 v12, v2, v3
	v_addc_co_u32_e32 v9, vcc, v9, v13, vcc
	v_addc_co_u32_e32 v10, vcc, 0, v12, vcc
	v_mul_lo_u32 v3, v2, v3
	v_add_co_u32_e32 v3, vcc, v9, v3
	v_addc_co_u32_e32 v9, vcc, 0, v10, vcc
	v_add_co_u32_e32 v1, vcc, v1, v3
	v_addc_co_u32_e32 v2, vcc, v2, v9, vcc
	v_mul_lo_u32 v3, s0, v2
	v_mul_hi_u32 v9, s0, v1
	v_add_u32_e32 v3, v9, v3
	v_mul_lo_u32 v9, s1, v1
	v_add_u32_e32 v3, v3, v9
	v_mul_lo_u32 v10, s0, v1
	v_mul_hi_u32 v11, v2, v10
	v_mul_lo_u32 v12, v2, v10
	v_mul_lo_u32 v17, v1, v3
	v_mul_hi_u32 v10, v1, v10
	v_mul_hi_u32 v13, v1, v3
	v_add_co_u32_e32 v10, vcc, v10, v17
	v_addc_co_u32_e32 v13, vcc, 0, v13, vcc
	v_add_co_u32_e32 v10, vcc, v10, v12
	v_mul_hi_u32 v9, v2, v3
	v_addc_co_u32_e32 v10, vcc, v13, v11, vcc
	v_addc_co_u32_e32 v9, vcc, 0, v9, vcc
	v_mul_lo_u32 v3, v2, v3
	v_add_co_u32_e32 v3, vcc, v10, v3
	v_addc_co_u32_e32 v9, vcc, 0, v9, vcc
	v_add_co_u32_e32 v1, vcc, v1, v3
	v_addc_co_u32_e32 v9, vcc, v2, v9, vcc
	v_mad_u64_u32 v[2:3], s[0:1], v5, v9, 0
	v_mul_hi_u32 v10, v5, v1
	v_add_co_u32_e32 v12, vcc, v10, v2
	v_addc_co_u32_e32 v13, vcc, 0, v3, vcc
	v_mad_u64_u32 v[10:11], s[0:1], v4, v1, 0
	v_add_co_u32_e32 v1, vcc, v12, v10
	v_mad_u64_u32 v[2:3], s[0:1], v4, v9, 0
	v_addc_co_u32_e32 v1, vcc, v13, v11, vcc
	v_addc_co_u32_e32 v3, vcc, 0, v3, vcc
	v_add_co_u32_e32 v1, vcc, v1, v2
	v_addc_co_u32_e32 v2, vcc, 0, v3, vcc
	v_mul_lo_u32 v9, s13, v1
	v_mul_lo_u32 v10, s12, v2
	v_mad_u64_u32 v[2:3], s[0:1], s12, v1, 0
	v_add3_u32 v1, v3, v10, v9
	v_sub_u32_e32 v3, v4, v1
	v_mov_b32_e32 v9, s13
	v_sub_co_u32_e32 v2, vcc, v5, v2
	v_subb_co_u32_e64 v3, s[0:1], v3, v9, vcc
	v_subrev_co_u32_e64 v5, s[0:1], s12, v2
	v_subbrev_co_u32_e64 v3, s[0:1], 0, v3, s[0:1]
	v_cmp_le_u32_e64 s[0:1], s13, v3
	v_subb_co_u32_e32 v1, vcc, v4, v1, vcc
	v_cndmask_b32_e64 v9, 0, -1, s[0:1]
	v_cmp_le_u32_e64 s[0:1], s12, v5
	v_cmp_le_u32_e32 vcc, s13, v1
	v_cndmask_b32_e64 v10, 0, -1, s[0:1]
	v_cmp_eq_u32_e64 s[0:1], s13, v3
	v_cndmask_b32_e64 v4, 0, -1, vcc
	v_cmp_le_u32_e32 vcc, s12, v2
	v_cndmask_b32_e64 v3, v9, v10, s[0:1]
	v_cndmask_b32_e64 v10, 0, -1, vcc
	v_cmp_eq_u32_e32 vcc, s13, v1
	v_subrev_co_u32_e64 v9, s[0:1], s12, v5
	v_cndmask_b32_e32 v1, v4, v10, vcc
	v_cmp_ne_u32_e32 vcc, 0, v3
	v_cndmask_b32_e32 v3, v5, v9, vcc
	v_cmp_ne_u32_e32 vcc, 0, v1
	v_cndmask_b32_e32 v10, v2, v3, vcc
                                        ; implicit-def: $vgpr2_vgpr3_vgpr4_vgpr5
.LBB8_28:                               ;   in Loop: Header=BB8_9 Depth=1
	s_andn2_saveexec_b64 s[0:1], s[16:17]
	s_cbranch_execz .LBB8_7
; %bb.29:                               ;   in Loop: Header=BB8_9 Depth=1
	v_cvt_f32_u32_e32 v1, s12
	s_sub_i32 s16, 0, s12
	v_rcp_iflag_f32_e32 v1, v1
	v_mul_f32_e32 v1, 0x4f7ffffe, v1
	v_cvt_u32_f32_e32 v1, v1
	v_mul_lo_u32 v2, s16, v1
	v_mul_hi_u32 v2, v1, v2
	v_add_u32_e32 v1, v1, v2
	v_mul_hi_u32 v1, v5, v1
	v_mul_lo_u32 v1, v1, s12
	v_sub_u32_e32 v1, v5, v1
	v_subrev_u32_e32 v2, s12, v1
	v_cmp_le_u32_e32 vcc, s12, v1
	v_cndmask_b32_e32 v1, v1, v2, vcc
	v_subrev_u32_e32 v2, s12, v1
	v_cmp_le_u32_e32 vcc, s12, v1
	v_cndmask_b32_e32 v10, v1, v2, vcc
	s_branch .LBB8_7
.LBB8_30:
	s_endpgm
.LBB8_31:
                                        ; implicit-def: $sgpr2_sgpr3
	s_andn2_b64 vcc, exec, s[0:1]
	s_cbranch_vccz .LBB8_4
	s_branch .LBB8_5
	.section	.rodata,"a",@progbits
	.p2align	6, 0x0
	.amdhsa_kernel _ZN2at6native12_GLOBAL__N_143distribution_elementwise_grid_stride_kernelImLi2EZZZNS0_9templates4cuda21random_from_to_kernelIPNS_17CUDAGeneratorImplEEEvRNS_18TensorIteratorBaseEmlT_ENKUlvE_clEvENKUlvE1_clEvEUlP25hiprandStatePhilox4_32_10E_ZNS1_27distribution_nullary_kernelIim15HIP_vector_typeIyLj2EES7_SF_ZZZNS5_IS7_EEvS9_mlSA_ENKSB_clEvENKSC_clEvEUlmE_EEvS9_T2_RKT3_T4_EUlimE_EEvlNS_15PhiloxCudaStateET1_SK_
		.amdhsa_group_segment_fixed_size 0
		.amdhsa_private_segment_fixed_size 0
		.amdhsa_kernarg_size 336
		.amdhsa_user_sgpr_count 6
		.amdhsa_user_sgpr_private_segment_buffer 1
		.amdhsa_user_sgpr_dispatch_ptr 0
		.amdhsa_user_sgpr_queue_ptr 0
		.amdhsa_user_sgpr_kernarg_segment_ptr 1
		.amdhsa_user_sgpr_dispatch_id 0
		.amdhsa_user_sgpr_flat_scratch_init 0
		.amdhsa_user_sgpr_kernarg_preload_length 0
		.amdhsa_user_sgpr_kernarg_preload_offset 0
		.amdhsa_user_sgpr_private_segment_size 0
		.amdhsa_uses_dynamic_stack 0
		.amdhsa_system_sgpr_private_segment_wavefront_offset 0
		.amdhsa_system_sgpr_workgroup_id_x 1
		.amdhsa_system_sgpr_workgroup_id_y 0
		.amdhsa_system_sgpr_workgroup_id_z 0
		.amdhsa_system_sgpr_workgroup_info 0
		.amdhsa_system_vgpr_workitem_id 0
		.amdhsa_next_free_vgpr 48
		.amdhsa_next_free_sgpr 24
		.amdhsa_accum_offset 48
		.amdhsa_reserve_vcc 1
		.amdhsa_reserve_flat_scratch 0
		.amdhsa_float_round_mode_32 0
		.amdhsa_float_round_mode_16_64 0
		.amdhsa_float_denorm_mode_32 3
		.amdhsa_float_denorm_mode_16_64 3
		.amdhsa_dx10_clamp 1
		.amdhsa_ieee_mode 1
		.amdhsa_fp16_overflow 0
		.amdhsa_tg_split 0
		.amdhsa_exception_fp_ieee_invalid_op 0
		.amdhsa_exception_fp_denorm_src 0
		.amdhsa_exception_fp_ieee_div_zero 0
		.amdhsa_exception_fp_ieee_overflow 0
		.amdhsa_exception_fp_ieee_underflow 0
		.amdhsa_exception_fp_ieee_inexact 0
		.amdhsa_exception_int_div_zero 0
	.end_amdhsa_kernel
	.section	.text._ZN2at6native12_GLOBAL__N_143distribution_elementwise_grid_stride_kernelImLi2EZZZNS0_9templates4cuda21random_from_to_kernelIPNS_17CUDAGeneratorImplEEEvRNS_18TensorIteratorBaseEmlT_ENKUlvE_clEvENKUlvE1_clEvEUlP25hiprandStatePhilox4_32_10E_ZNS1_27distribution_nullary_kernelIim15HIP_vector_typeIyLj2EES7_SF_ZZZNS5_IS7_EEvS9_mlSA_ENKSB_clEvENKSC_clEvEUlmE_EEvS9_T2_RKT3_T4_EUlimE_EEvlNS_15PhiloxCudaStateET1_SK_,"axG",@progbits,_ZN2at6native12_GLOBAL__N_143distribution_elementwise_grid_stride_kernelImLi2EZZZNS0_9templates4cuda21random_from_to_kernelIPNS_17CUDAGeneratorImplEEEvRNS_18TensorIteratorBaseEmlT_ENKUlvE_clEvENKUlvE1_clEvEUlP25hiprandStatePhilox4_32_10E_ZNS1_27distribution_nullary_kernelIim15HIP_vector_typeIyLj2EES7_SF_ZZZNS5_IS7_EEvS9_mlSA_ENKSB_clEvENKSC_clEvEUlmE_EEvS9_T2_RKT3_T4_EUlimE_EEvlNS_15PhiloxCudaStateET1_SK_,comdat
.Lfunc_end8:
	.size	_ZN2at6native12_GLOBAL__N_143distribution_elementwise_grid_stride_kernelImLi2EZZZNS0_9templates4cuda21random_from_to_kernelIPNS_17CUDAGeneratorImplEEEvRNS_18TensorIteratorBaseEmlT_ENKUlvE_clEvENKUlvE1_clEvEUlP25hiprandStatePhilox4_32_10E_ZNS1_27distribution_nullary_kernelIim15HIP_vector_typeIyLj2EES7_SF_ZZZNS5_IS7_EEvS9_mlSA_ENKSB_clEvENKSC_clEvEUlmE_EEvS9_T2_RKT3_T4_EUlimE_EEvlNS_15PhiloxCudaStateET1_SK_, .Lfunc_end8-_ZN2at6native12_GLOBAL__N_143distribution_elementwise_grid_stride_kernelImLi2EZZZNS0_9templates4cuda21random_from_to_kernelIPNS_17CUDAGeneratorImplEEEvRNS_18TensorIteratorBaseEmlT_ENKUlvE_clEvENKUlvE1_clEvEUlP25hiprandStatePhilox4_32_10E_ZNS1_27distribution_nullary_kernelIim15HIP_vector_typeIyLj2EES7_SF_ZZZNS5_IS7_EEvS9_mlSA_ENKSB_clEvENKSC_clEvEUlmE_EEvS9_T2_RKT3_T4_EUlimE_EEvlNS_15PhiloxCudaStateET1_SK_
                                        ; -- End function
	.section	.AMDGPU.csdata,"",@progbits
; Kernel info:
; codeLenInByte = 3552
; NumSgprs: 28
; NumVgprs: 48
; NumAgprs: 0
; TotalNumVgprs: 48
; ScratchSize: 0
; MemoryBound: 0
; FloatMode: 240
; IeeeMode: 1
; LDSByteSize: 0 bytes/workgroup (compile time only)
; SGPRBlocks: 3
; VGPRBlocks: 5
; NumSGPRsForWavesPerEU: 28
; NumVGPRsForWavesPerEU: 48
; AccumOffset: 48
; Occupancy: 8
; WaveLimiterHint : 0
; COMPUTE_PGM_RSRC2:SCRATCH_EN: 0
; COMPUTE_PGM_RSRC2:USER_SGPR: 6
; COMPUTE_PGM_RSRC2:TRAP_HANDLER: 0
; COMPUTE_PGM_RSRC2:TGID_X_EN: 1
; COMPUTE_PGM_RSRC2:TGID_Y_EN: 0
; COMPUTE_PGM_RSRC2:TGID_Z_EN: 0
; COMPUTE_PGM_RSRC2:TIDIG_COMP_CNT: 0
; COMPUTE_PGM_RSRC3_GFX90A:ACCUM_OFFSET: 11
; COMPUTE_PGM_RSRC3_GFX90A:TG_SPLIT: 0
	.section	.text._ZN2at6native12_GLOBAL__N_143distribution_elementwise_grid_stride_kernelImLi2EZZZNS0_9templates4cuda21random_from_to_kernelIPNS_17CUDAGeneratorImplEEEvRNS_18TensorIteratorBaseEmlT_ENKUlvE_clEvENKUlvE1_clEvEUlP25hiprandStatePhilox4_32_10E_ZNS1_27distribution_nullary_kernelIim15HIP_vector_typeIyLj2EES7_SF_ZZZNS5_IS7_EEvS9_mlSA_ENKSB_clEvENKSC_clEvEUlmE_EEvS9_T2_RKT3_T4_EUlimE0_EEvlNS_15PhiloxCudaStateET1_SK_,"axG",@progbits,_ZN2at6native12_GLOBAL__N_143distribution_elementwise_grid_stride_kernelImLi2EZZZNS0_9templates4cuda21random_from_to_kernelIPNS_17CUDAGeneratorImplEEEvRNS_18TensorIteratorBaseEmlT_ENKUlvE_clEvENKUlvE1_clEvEUlP25hiprandStatePhilox4_32_10E_ZNS1_27distribution_nullary_kernelIim15HIP_vector_typeIyLj2EES7_SF_ZZZNS5_IS7_EEvS9_mlSA_ENKSB_clEvENKSC_clEvEUlmE_EEvS9_T2_RKT3_T4_EUlimE0_EEvlNS_15PhiloxCudaStateET1_SK_,comdat
	.globl	_ZN2at6native12_GLOBAL__N_143distribution_elementwise_grid_stride_kernelImLi2EZZZNS0_9templates4cuda21random_from_to_kernelIPNS_17CUDAGeneratorImplEEEvRNS_18TensorIteratorBaseEmlT_ENKUlvE_clEvENKUlvE1_clEvEUlP25hiprandStatePhilox4_32_10E_ZNS1_27distribution_nullary_kernelIim15HIP_vector_typeIyLj2EES7_SF_ZZZNS5_IS7_EEvS9_mlSA_ENKSB_clEvENKSC_clEvEUlmE_EEvS9_T2_RKT3_T4_EUlimE0_EEvlNS_15PhiloxCudaStateET1_SK_ ; -- Begin function _ZN2at6native12_GLOBAL__N_143distribution_elementwise_grid_stride_kernelImLi2EZZZNS0_9templates4cuda21random_from_to_kernelIPNS_17CUDAGeneratorImplEEEvRNS_18TensorIteratorBaseEmlT_ENKUlvE_clEvENKUlvE1_clEvEUlP25hiprandStatePhilox4_32_10E_ZNS1_27distribution_nullary_kernelIim15HIP_vector_typeIyLj2EES7_SF_ZZZNS5_IS7_EEvS9_mlSA_ENKSB_clEvENKSC_clEvEUlmE_EEvS9_T2_RKT3_T4_EUlimE0_EEvlNS_15PhiloxCudaStateET1_SK_
	.p2align	8
	.type	_ZN2at6native12_GLOBAL__N_143distribution_elementwise_grid_stride_kernelImLi2EZZZNS0_9templates4cuda21random_from_to_kernelIPNS_17CUDAGeneratorImplEEEvRNS_18TensorIteratorBaseEmlT_ENKUlvE_clEvENKUlvE1_clEvEUlP25hiprandStatePhilox4_32_10E_ZNS1_27distribution_nullary_kernelIim15HIP_vector_typeIyLj2EES7_SF_ZZZNS5_IS7_EEvS9_mlSA_ENKSB_clEvENKSC_clEvEUlmE_EEvS9_T2_RKT3_T4_EUlimE0_EEvlNS_15PhiloxCudaStateET1_SK_,@function
_ZN2at6native12_GLOBAL__N_143distribution_elementwise_grid_stride_kernelImLi2EZZZNS0_9templates4cuda21random_from_to_kernelIPNS_17CUDAGeneratorImplEEEvRNS_18TensorIteratorBaseEmlT_ENKUlvE_clEvENKUlvE1_clEvEUlP25hiprandStatePhilox4_32_10E_ZNS1_27distribution_nullary_kernelIim15HIP_vector_typeIyLj2EES7_SF_ZZZNS5_IS7_EEvS9_mlSA_ENKSB_clEvENKSC_clEvEUlmE_EEvS9_T2_RKT3_T4_EUlimE0_EEvlNS_15PhiloxCudaStateET1_SK_: ; @_ZN2at6native12_GLOBAL__N_143distribution_elementwise_grid_stride_kernelImLi2EZZZNS0_9templates4cuda21random_from_to_kernelIPNS_17CUDAGeneratorImplEEEvRNS_18TensorIteratorBaseEmlT_ENKUlvE_clEvENKUlvE1_clEvEUlP25hiprandStatePhilox4_32_10E_ZNS1_27distribution_nullary_kernelIim15HIP_vector_typeIyLj2EES7_SF_ZZZNS5_IS7_EEvS9_mlSA_ENKSB_clEvENKSC_clEvEUlmE_EEvS9_T2_RKT3_T4_EUlimE0_EEvlNS_15PhiloxCudaStateET1_SK_
; %bb.0:
	s_load_dword s2, s[4:5], 0x20
	s_load_dwordx2 s[0:1], s[4:5], 0x10
	s_load_dwordx4 s[24:27], s[4:5], 0x0
	s_waitcnt lgkmcnt(0)
	s_bitcmp0_b32 s2, 0
	s_mov_b32 s2, 0
	v_pk_mov_b32 v[2:3], s[0:1], s[0:1] op_sel:[0,1]
	v_pk_mov_b32 v[12:13], s[26:27], s[26:27] op_sel:[0,1]
	s_cbranch_scc1 .LBB9_2
; %bb.1:
	v_pk_mov_b32 v[2:3], s[0:1], s[0:1] op_sel:[0,1]
	flat_load_dwordx2 v[2:3], v[2:3]
	v_pk_mov_b32 v[4:5], s[26:27], s[26:27] op_sel:[0,1]
	flat_load_dwordx2 v[12:13], v[4:5]
	s_load_dwordx2 s[0:1], s[4:5], 0x18
	s_waitcnt lgkmcnt(0)
	v_mov_b32_e32 v1, s1
	s_waitcnt vmcnt(0)
	v_add_co_u32_e32 v2, vcc, s0, v2
	v_addc_co_u32_e32 v3, vcc, v3, v1, vcc
.LBB9_2:
	s_load_dword s0, s[4:5], 0x15c
	s_load_dword s7, s[4:5], 0x150
	s_waitcnt lgkmcnt(0)
	s_and_b32 s8, s0, 0xffff
	s_add_u32 s9, s24, -1
	s_mul_i32 s33, s7, s8
	s_addc_u32 s3, s25, -1
	s_lshl_b32 s62, s33, 1
	s_cmp_lg_u64 s[2:3], 0
	s_mov_b64 s[0:1], -1
	s_cbranch_scc0 .LBB9_59
; %bb.3:
	v_cvt_f32_u32_e32 v1, s62
	v_cvt_f32_ubyte0_e32 v4, 0
	s_sub_u32 s2, 0, s62
	s_subb_u32 s10, 0, 0
	v_madmk_f32 v1, v4, 0x4f800000, v1
	v_rcp_f32_e32 v1, v1
	v_mul_f32_e32 v1, 0x5f7ffffc, v1
	v_mul_f32_e32 v4, 0x2f800000, v1
	v_trunc_f32_e32 v4, v4
	v_madmk_f32 v1, v4, 0xcf800000, v1
	v_cvt_u32_f32_e32 v4, v4
	v_cvt_u32_f32_e32 v1, v1
	v_readfirstlane_b32 s11, v4
	v_readfirstlane_b32 s12, v1
	s_mul_i32 s13, s2, s11
	s_mul_hi_u32 s15, s2, s12
	s_mul_i32 s14, s10, s12
	s_add_i32 s13, s15, s13
	s_add_i32 s13, s13, s14
	s_mul_i32 s16, s2, s12
	s_mul_hi_u32 s14, s12, s13
	s_mul_i32 s15, s12, s13
	s_mul_hi_u32 s12, s12, s16
	s_add_u32 s12, s12, s15
	s_addc_u32 s14, 0, s14
	s_mul_hi_u32 s17, s11, s16
	s_mul_i32 s16, s11, s16
	s_add_u32 s12, s12, s16
	s_mul_hi_u32 s15, s11, s13
	s_addc_u32 s12, s14, s17
	s_addc_u32 s14, s15, 0
	s_mul_i32 s13, s11, s13
	s_add_u32 s12, s12, s13
	s_addc_u32 s13, 0, s14
	v_add_co_u32_e32 v1, vcc, s12, v1
	s_cmp_lg_u64 vcc, 0
	s_addc_u32 s11, s11, s13
	v_readfirstlane_b32 s13, v1
	s_mul_i32 s12, s2, s11
	s_mul_hi_u32 s14, s2, s13
	s_add_i32 s12, s14, s12
	s_mul_i32 s10, s10, s13
	s_add_i32 s12, s12, s10
	s_mul_i32 s2, s2, s13
	s_mul_hi_u32 s14, s11, s2
	s_mul_i32 s15, s11, s2
	s_mul_i32 s17, s13, s12
	s_mul_hi_u32 s2, s13, s2
	s_mul_hi_u32 s16, s13, s12
	s_add_u32 s2, s2, s17
	s_addc_u32 s13, 0, s16
	s_add_u32 s2, s2, s15
	s_mul_hi_u32 s10, s11, s12
	s_addc_u32 s2, s13, s14
	s_addc_u32 s10, s10, 0
	s_mul_i32 s12, s11, s12
	s_add_u32 s2, s2, s12
	s_addc_u32 s10, 0, s10
	v_add_co_u32_e32 v1, vcc, s2, v1
	s_cmp_lg_u64 vcc, 0
	s_addc_u32 s12, s11, s10
	s_ashr_i32 s10, s3, 31
	s_add_u32 s2, s9, s10
	s_mov_b32 s11, s10
	s_addc_u32 s3, s3, s10
	s_xor_b64 s[2:3], s[2:3], s[10:11]
	v_readfirstlane_b32 s15, v1
	s_mul_i32 s14, s2, s12
	s_mul_hi_u32 s16, s2, s15
	s_mul_hi_u32 s13, s2, s12
	s_add_u32 s14, s16, s14
	s_addc_u32 s13, 0, s13
	s_mul_hi_u32 s17, s3, s15
	s_mul_i32 s15, s3, s15
	s_add_u32 s14, s14, s15
	s_mul_hi_u32 s16, s3, s12
	s_addc_u32 s13, s13, s17
	s_addc_u32 s14, s16, 0
	s_mul_i32 s12, s3, s12
	s_add_u32 s12, s13, s12
	s_addc_u32 s13, 0, s14
	s_add_u32 s14, s12, 1
	s_addc_u32 s15, s13, 0
	s_add_u32 s16, s12, 2
	s_mul_i32 s18, s62, s13
	s_mul_hi_u32 s19, s62, s12
	s_addc_u32 s17, s13, 0
	s_add_i32 s19, s19, s18
	s_mul_i32 s18, s62, s12
	v_mov_b32_e32 v1, s18
	v_sub_co_u32_e32 v1, vcc, s2, v1
	s_cmp_lg_u64 vcc, 0
	s_subb_u32 s2, s3, s19
	v_subrev_co_u32_e32 v4, vcc, s62, v1
	s_cmp_lg_u64 vcc, 0
	s_subb_u32 s3, s2, 0
	v_readfirstlane_b32 s18, v4
	s_cmp_ge_u32 s18, s62
	s_cselect_b32 s18, -1, 0
	s_cmp_eq_u32 s3, 0
	s_cselect_b32 s3, s18, -1
	s_cmp_lg_u32 s3, 0
	s_cselect_b32 s3, s17, s15
	v_readfirstlane_b32 s15, v1
	s_cselect_b32 s14, s16, s14
	s_cmp_ge_u32 s15, s62
	s_cselect_b32 s15, -1, 0
	s_cmp_eq_u32 s2, 0
	s_cselect_b32 s2, s15, -1
	s_cmp_lg_u32 s2, 0
	s_cselect_b32 s3, s3, s13
	s_cselect_b32 s2, s14, s12
	s_xor_b64 s[2:3], s[2:3], s[10:11]
	s_sub_u32 s2, s2, s10
	s_subb_u32 s3, s3, s10
	s_cbranch_execnz .LBB9_5
.LBB9_4:
	v_cvt_f32_u32_e32 v1, s62
	s_sub_i32 s0, 0, s62
	s_mov_b32 s3, 0
	v_rcp_iflag_f32_e32 v1, v1
	v_mul_f32_e32 v1, 0x4f7ffffe, v1
	v_cvt_u32_f32_e32 v1, v1
	v_readfirstlane_b32 s1, v1
	s_mul_i32 s0, s0, s1
	s_mul_hi_u32 s0, s1, s0
	s_add_i32 s1, s1, s0
	s_mul_hi_u32 s0, s9, s1
	s_mul_i32 s2, s0, s62
	s_sub_i32 s2, s9, s2
	s_add_i32 s1, s0, 1
	s_sub_i32 s9, s2, s62
	s_cmp_ge_u32 s2, s62
	s_cselect_b32 s0, s1, s0
	s_cselect_b32 s2, s9, s2
	s_add_i32 s1, s0, 1
	s_cmp_ge_u32 s2, s62
	s_cselect_b32 s2, s1, s0
.LBB9_5:
	v_mov_b32_e32 v14, 0
	v_mov_b32_e32 v1, v14
	;; [unrolled: 1-line block ×3, first 2 shown]
	v_mad_u64_u32 v[16:17], s[0:1], s8, v4, v[0:1]
	s_add_u32 s0, s2, 1
	s_addc_u32 s1, s3, 0
	s_mul_hi_u32 s2, s7, s8
	s_mul_i32 s1, s33, s1
	s_mul_hi_u32 s3, s33, s0
	s_add_i32 s1, s3, s1
	s_mul_i32 s2, s2, s0
	s_add_i32 s1, s1, s2
	s_mul_i32 s0, s33, s0
	s_lshl_b64 s[26:27], s[0:1], 1
	v_cmp_gt_i64_e32 vcc, s[26:27], v[16:17]
	s_and_saveexec_b64 s[0:1], vcc
	s_cbranch_execz .LBB9_58
; %bb.6:
	s_mov_b32 s0, 0x5384540f
	v_mov_b32_e32 v0, v13
	v_add_co_u32_e32 v24, vcc, s0, v12
	s_mov_b32 s0, 0x646e171e
	v_add_co_u32_e32 v25, vcc, s0, v0
	s_mov_b32 s0, 0x1715609d
	;; [unrolled: 2-line block ×6, first 2 shown]
	v_alignbit_b32 v31, v3, v2, 2
	s_mov_b32 s64, 0xd2511f53
	v_add_co_u32_e32 v30, vcc, s0, v12
	v_mad_u64_u32 v[4:5], s[0:1], v31, s64, 0
	v_xor_b32_e32 v1, v5, v13
	v_xor_b32_e32 v1, v1, v17
	s_mov_b32 s65, 0xcd9e8d57
	v_mad_u64_u32 v[6:7], s[0:1], v1, s65, 0
	v_xor_b32_e32 v1, v30, v7
	v_mad_u64_u32 v[8:9], s[0:1], v16, s65, 0
	v_and_b32_e32 v20, 3, v2
	v_xor_b32_e32 v1, v1, v8
	v_xor_b32_e32 v2, v12, v9
	v_lshrrev_b32_e32 v32, 2, v3
	v_mad_u64_u32 v[10:11], s[0:1], v1, s64, 0
	v_xor_b32_e32 v2, v2, v32
	v_xor_b32_e32 v1, v29, v11
	v_mad_u64_u32 v[2:3], s[0:1], v2, s64, 0
	v_xor_b32_e32 v1, v1, v2
	v_mad_u64_u32 v[8:9], s[0:1], v1, s65, 0
	s_mov_b32 s0, 0xbb67ae85
	v_add_co_u32_e32 v33, vcc, s0, v0
	v_xor_b32_e32 v2, v33, v3
	v_xor_b32_e32 v2, v2, v4
	v_xor_b32_e32 v1, v28, v9
	v_mad_u64_u32 v[2:3], s[0:1], v2, s65, 0
	v_xor_b32_e32 v1, v1, v2
	v_mad_u64_u32 v[4:5], s[0:1], v1, s64, 0
	s_mov_b32 s0, 0x3c6ef372
	v_add_co_u32_e32 v34, vcc, s0, v12
	v_xor_b32_e32 v2, v34, v3
	;; [unrolled: 8-line block ×6, first 2 shown]
	v_add_co_u32_e32 v23, vcc, 0xdb3d7428, v0
	v_xor_b32_e32 v2, v2, v6
	v_xor_b32_e32 v1, v23, v5
	v_mad_u64_u32 v[2:3], s[0:1], v2, s64, 0
	v_xor_b32_e32 v1, v1, v2
	v_mad_u64_u32 v[6:7], s[0:1], v1, s65, 0
	s_mov_b32 s0, 0x1fd5c5a3
	v_add_co_u32_e32 v39, vcc, s0, v0
	v_xor_b32_e32 v0, v39, v3
	v_xor_b32_e32 v0, v0, v10
	v_mad_u64_u32 v[0:1], s[0:1], v0, s65, 0
	s_mov_b32 s0, 0xf1bbcdc8
	s_load_dwordx8 s[8:15], s[4:5], 0x30
	v_add_co_u32_e32 v40, vcc, s0, v12
	v_xor_b32_e32 v1, v40, v1
	v_xor_b32_e32 v1, v1, v8
	s_add_u32 s34, s4, 48
	v_mad_u64_u32 v[8:9], s[0:1], v1, s64, 0
	s_addc_u32 s35, s5, 0
	s_waitcnt lgkmcnt(0)
	s_add_i32 s0, s8, -1
	s_cmp_gt_u32 s0, 1
	s_cselect_b64 s[40:41], -1, 0
	s_cmp_lg_u32 s8, 0
	s_cselect_b64 s[42:43], -1, 0
	s_add_u32 s44, s4, 0xf4
	s_addc_u32 s45, s5, 0
	s_min_u32 s1, s0, 15
	s_cmp_gt_u32 s8, 1
	s_cselect_b64 s[46:47], -1, 0
	s_load_dwordx2 s[48:49], s[4:5], 0x148
	s_load_dwordx2 s[50:51], s[4:5], 0xf4
	s_load_dwordx4 s[28:31], s[4:5], 0x138
	s_add_i32 s1, s1, 1
	s_mov_b32 s8, s13
	s_and_b32 s13, s1, 3
	s_cmp_lg_u32 s0, 2
	s_cselect_b64 s[52:53], -1, 0
	s_and_b32 s15, s1, 28
	v_add_u32_e32 v21, 0x8ff34781, v12
	v_add_u32_e32 v22, 0x96a522ad, v13
	v_xor_b32_e32 v0, v7, v0
	v_xor_b32_e32 v1, v9, v4
	s_cmp_lg_u32 s13, 0
	s_mov_b32 s63, 0
	v_xor_b32_e32 v0, v21, v0
	v_xor_b32_e32 v2, v22, v1
	v_mov_b32_e32 v1, v6
	v_mov_b32_e32 v3, v8
	s_mov_b64 s[54:55], 0
	s_cselect_b64 s[56:57], -1, 0
	v_mov_b32_e32 v41, v16
	v_mov_b32_e32 v42, v17
	s_branch .LBB9_9
.LBB9_7:                                ;   in Loop: Header=BB9_9 Depth=1
	s_or_b64 exec, exec, s[0:1]
	v_add_u32_e32 v0, s48, v10
	global_store_dword v8, v0, s[28:29]
.LBB9_8:                                ;   in Loop: Header=BB9_9 Depth=1
	s_or_b64 exec, exec, s[36:37]
	v_add_co_u32_e32 v16, vcc, s62, v16
	v_addc_co_u32_e32 v17, vcc, 0, v17, vcc
	v_mov_b32_e32 v7, v18
	v_cmp_le_i64_e32 vcc, s[26:27], v[16:17]
	v_pk_mov_b32 v[0:1], v[4:5], v[4:5] op_sel:[0,1]
	s_or_b64 s[54:55], vcc, s[54:55]
	v_pk_mov_b32 v[2:3], v[6:7], v[6:7] op_sel:[0,1]
	s_waitcnt lgkmcnt(0)
	s_barrier
	s_andn2_b64 exec, exec, s[54:55]
	s_cbranch_execz .LBB9_58
.LBB9_9:                                ; =>This Loop Header: Depth=1
                                        ;     Child Loop BB9_24 Depth 2
                                        ;     Child Loop BB9_30 Depth 2
	;; [unrolled: 1-line block ×4, first 2 shown]
	v_add_co_u32_e32 v31, vcc, 1, v31
	v_cndmask_b32_e64 v4, 0, 1, vcc
	v_addc_co_u32_e32 v32, vcc, 0, v32, vcc
	v_cmp_eq_u32_e32 vcc, 0, v32
	v_cndmask_b32_e32 v4, 0, v4, vcc
	v_add_u32_e32 v41, v4, v41
	v_cmp_eq_u32_e32 vcc, 0, v41
	v_cndmask_b32_e32 v4, 0, v4, vcc
	v_add_u32_e32 v42, v4, v42
	v_mad_u64_u32 v[4:5], s[0:1], v31, s64, 0
	v_mad_u64_u32 v[6:7], s[0:1], v41, s65, 0
	v_xor_b32_e32 v5, v5, v13
	v_xor_b32_e32 v7, v7, v12
	v_xor_b32_e32 v5, v42, v5
	v_xor_b32_e32 v7, v32, v7
	v_mad_u64_u32 v[10:11], s[0:1], v5, s65, 0
	v_mad_u64_u32 v[8:9], s[0:1], v7, s64, 0
	v_xor_b32_e32 v5, v30, v11
	v_xor_b32_e32 v5, v5, v6
	v_xor_b32_e32 v6, v33, v9
	v_xor_b32_e32 v6, v6, v4
	;; [unrolled: 6-line block ×10, first 2 shown]
	v_mov_b32_e32 v5, v10
	v_mov_b32_e32 v6, v11
	v_cmp_lt_i32_e32 vcc, 1, v20
	s_and_saveexec_b64 s[0:1], vcc
	s_xor_b64 s[0:1], exec, s[0:1]
	s_cbranch_execz .LBB9_15
; %bb.10:                               ;   in Loop: Header=BB9_9 Depth=1
	v_cmp_lt_i32_e32 vcc, 2, v20
	s_and_saveexec_b64 s[2:3], vcc
	s_xor_b64 s[2:3], exec, s[2:3]
; %bb.11:                               ;   in Loop: Header=BB9_9 Depth=1
	v_mov_b32_e32 v8, v3
	v_mov_b32_e32 v9, v4
	v_pk_mov_b32 v[0:1], v[8:9], v[8:9] op_sel:[0,1]
	v_pk_mov_b32 v[2:3], v[10:11], v[10:11] op_sel:[0,1]
                                        ; implicit-def: $vgpr10_vgpr11
; %bb.12:                               ;   in Loop: Header=BB9_9 Depth=1
	s_andn2_saveexec_b64 s[2:3], s[2:3]
; %bb.13:                               ;   in Loop: Header=BB9_9 Depth=1
	v_mov_b32_e32 v0, v2
	v_mov_b32_e32 v1, v3
	v_mov_b32_e32 v2, v4
	v_mov_b32_e32 v3, v10
; %bb.14:                               ;   in Loop: Header=BB9_9 Depth=1
	s_or_b64 exec, exec, s[2:3]
.LBB9_15:                               ;   in Loop: Header=BB9_9 Depth=1
	s_andn2_saveexec_b64 s[0:1], s[0:1]
	s_cbranch_execz .LBB9_19
; %bb.16:                               ;   in Loop: Header=BB9_9 Depth=1
	v_cmp_eq_u32_e32 vcc, 1, v20
	s_and_saveexec_b64 s[2:3], vcc
; %bb.17:                               ;   in Loop: Header=BB9_9 Depth=1
	v_mov_b32_e32 v0, v1
	v_mov_b32_e32 v1, v2
	v_mov_b32_e32 v2, v3
	v_mov_b32_e32 v3, v4
; %bb.18:                               ;   in Loop: Header=BB9_9 Depth=1
	s_or_b64 exec, exec, s[2:3]
.LBB9_19:                               ;   in Loop: Header=BB9_9 Depth=1
	s_or_b64 exec, exec, s[0:1]
	v_cndmask_b32_e64 v7, 0, 1, s[40:41]
	v_cmp_gt_i64_e32 vcc, s[24:25], v[16:17]
	v_cmp_ne_u32_e64 s[0:1], 1, v7
	s_and_saveexec_b64 s[58:59], vcc
	s_cbranch_execz .LBB9_39
; %bb.20:                               ;   in Loop: Header=BB9_9 Depth=1
	s_and_b64 vcc, exec, s[0:1]
	s_cbranch_vccnz .LBB9_26
; %bb.21:                               ;   in Loop: Header=BB9_9 Depth=1
	s_andn2_b64 vcc, exec, s[42:43]
	s_cbranch_vccnz .LBB9_27
; %bb.22:                               ;   in Loop: Header=BB9_9 Depth=1
	s_mov_b32 s4, 0
	s_andn2_b64 vcc, exec, s[52:53]
	v_mov_b32_e32 v8, 0
	s_cbranch_vccnz .LBB9_28
; %bb.23:                               ;   in Loop: Header=BB9_9 Depth=1
	s_waitcnt lgkmcnt(0)
	s_mov_b32 s49, 0
	v_mov_b32_e32 v8, 0
	s_mov_b64 s[2:3], s[34:35]
	s_mov_b64 s[60:61], s[44:45]
	v_mov_b32_e32 v7, v16
.LBB9_24:                               ;   Parent Loop BB9_9 Depth=1
                                        ; =>  This Inner Loop Header: Depth=2
	s_load_dwordx8 s[16:23], s[2:3], 0x4
	s_load_dwordx4 s[4:7], s[2:3], 0x24
	s_load_dwordx4 s[36:39], s[60:61], 0x0
	s_add_u32 s2, s2, 48
	s_addc_u32 s3, s3, 0
	s_waitcnt lgkmcnt(0)
	v_mul_hi_u32 v9, s17, v7
	v_add_u32_e32 v9, v7, v9
	v_lshrrev_b32_e32 v9, s18, v9
	v_mul_lo_u32 v10, v9, s16
	v_mul_hi_u32 v11, s20, v9
	v_sub_u32_e32 v7, v7, v10
	v_add_u32_e32 v10, v9, v11
	v_lshrrev_b32_e32 v10, s21, v10
	v_mul_lo_u32 v11, v10, s19
	v_mul_hi_u32 v15, s23, v10
	v_sub_u32_e32 v9, v9, v11
	v_add_u32_e32 v11, v10, v15
	v_mul_lo_u32 v7, v7, s36
	v_mul_lo_u32 v9, v9, s37
	v_lshrrev_b32_e32 v11, s4, v11
	v_add3_u32 v8, v7, v8, v9
	v_mul_lo_u32 v7, v11, s22
	v_mul_hi_u32 v9, s6, v11
	v_sub_u32_e32 v7, v10, v7
	v_add_u32_e32 v9, v11, v9
	v_mul_lo_u32 v10, v7, s38
	v_lshrrev_b32_e32 v7, s7, v9
	s_add_i32 s49, s49, 4
	v_mul_lo_u32 v9, v7, s5
	s_add_u32 s60, s60, 16
	v_sub_u32_e32 v9, v11, v9
	s_addc_u32 s61, s61, 0
	v_mul_lo_u32 v9, v9, s39
	s_cmp_lg_u32 s15, s49
	v_add3_u32 v8, v10, v8, v9
	s_cbranch_scc1 .LBB9_24
; %bb.25:                               ;   in Loop: Header=BB9_9 Depth=1
	s_mov_b32 s4, s15
	s_andn2_b64 vcc, exec, s[56:57]
	s_cbranch_vccz .LBB9_29
	s_branch .LBB9_31
.LBB9_26:                               ;   in Loop: Header=BB9_9 Depth=1
                                        ; implicit-def: $vgpr8
	s_branch .LBB9_32
.LBB9_27:                               ;   in Loop: Header=BB9_9 Depth=1
	v_mov_b32_e32 v8, 0
	s_branch .LBB9_31
.LBB9_28:                               ;   in Loop: Header=BB9_9 Depth=1
	v_mov_b32_e32 v7, v16
	s_andn2_b64 vcc, exec, s[56:57]
	s_cbranch_vccnz .LBB9_31
.LBB9_29:                               ;   in Loop: Header=BB9_9 Depth=1
	s_lshl_b32 s2, s4, 2
	s_add_u32 s2, s44, s2
	s_addc_u32 s3, s45, 0
	s_mul_i32 s4, s4, 12
	s_add_u32 s4, s34, s4
	s_addc_u32 s5, s35, 0
	s_mov_b32 s6, s13
.LBB9_30:                               ;   Parent Loop BB9_9 Depth=1
                                        ; =>  This Inner Loop Header: Depth=2
	s_load_dwordx2 s[16:17], s[4:5], 0x4
	s_load_dword s7, s[4:5], 0xc
	s_load_dword s18, s[2:3], 0x0
	s_add_u32 s4, s4, 12
	s_addc_u32 s5, s5, 0
	s_waitcnt lgkmcnt(0)
	v_mul_hi_u32 v9, s17, v7
	v_add_u32_e32 v9, v7, v9
	v_lshrrev_b32_e32 v9, s7, v9
	s_add_u32 s2, s2, 4
	v_mul_lo_u32 v10, v9, s16
	s_addc_u32 s3, s3, 0
	s_add_i32 s6, s6, -1
	v_sub_u32_e32 v10, v7, v10
	s_cmp_lg_u32 s6, 0
	v_mov_b32_e32 v7, v9
	v_mad_u64_u32 v[8:9], s[16:17], v10, s18, v[8:9]
	s_cbranch_scc1 .LBB9_30
.LBB9_31:                               ;   in Loop: Header=BB9_9 Depth=1
	s_cbranch_execnz .LBB9_34
.LBB9_32:                               ;   in Loop: Header=BB9_9 Depth=1
	v_mul_hi_u32 v7, v16, s10
	v_add_u32_e32 v7, v7, v16
	v_lshrrev_b32_e32 v7, s11, v7
	v_mul_lo_u32 v8, v7, s9
	v_sub_u32_e32 v8, v16, v8
	s_andn2_b64 vcc, exec, s[46:47]
	s_waitcnt lgkmcnt(0)
	v_mul_lo_u32 v8, v8, s50
	s_cbranch_vccnz .LBB9_34
; %bb.33:                               ;   in Loop: Header=BB9_9 Depth=1
	v_mul_hi_u32 v9, s8, v7
	v_add_u32_e32 v9, v7, v9
	v_lshrrev_b32_e32 v9, s14, v9
	v_mul_lo_u32 v9, v9, s12
	v_sub_u32_e32 v7, v7, v9
	v_mad_u64_u32 v[8:9], s[2:3], v7, s51, v[8:9]
.LBB9_34:                               ;   in Loop: Header=BB9_9 Depth=1
	s_waitcnt lgkmcnt(0)
	v_or_b32_e32 v15, s31, v0
	v_cmp_ne_u64_e32 vcc, 0, v[14:15]
                                        ; implicit-def: $vgpr10_vgpr11
	s_and_saveexec_b64 s[2:3], vcc
	s_xor_b64 s[4:5], exec, s[2:3]
	s_cbranch_execz .LBB9_36
; %bb.35:                               ;   in Loop: Header=BB9_9 Depth=1
	v_cvt_f32_u32_e32 v7, s30
	v_cvt_f32_u32_e32 v9, s31
	s_sub_u32 s2, 0, s30
	s_subb_u32 s3, 0, s31
	v_mac_f32_e32 v7, 0x4f800000, v9
	v_rcp_f32_e32 v7, v7
	v_mul_f32_e32 v7, 0x5f7ffffc, v7
	v_mul_f32_e32 v9, 0x2f800000, v7
	v_trunc_f32_e32 v9, v9
	v_mac_f32_e32 v7, 0xcf800000, v9
	v_cvt_u32_f32_e32 v9, v9
	v_cvt_u32_f32_e32 v7, v7
	v_mul_lo_u32 v10, s2, v9
	v_mul_hi_u32 v15, s2, v7
	v_mul_lo_u32 v11, s3, v7
	v_add_u32_e32 v10, v15, v10
	v_mul_lo_u32 v19, s2, v7
	v_add_u32_e32 v10, v10, v11
	v_mul_hi_u32 v15, v7, v19
	v_mul_lo_u32 v43, v7, v10
	v_mul_hi_u32 v11, v7, v10
	v_add_co_u32_e32 v15, vcc, v15, v43
	v_addc_co_u32_e32 v11, vcc, 0, v11, vcc
	v_mul_hi_u32 v44, v9, v19
	v_mul_lo_u32 v19, v9, v19
	v_add_co_u32_e32 v15, vcc, v15, v19
	v_mul_hi_u32 v43, v9, v10
	v_addc_co_u32_e32 v11, vcc, v11, v44, vcc
	v_addc_co_u32_e32 v15, vcc, 0, v43, vcc
	v_mul_lo_u32 v10, v9, v10
	v_add_co_u32_e32 v10, vcc, v11, v10
	v_addc_co_u32_e32 v11, vcc, 0, v15, vcc
	v_add_co_u32_e32 v7, vcc, v7, v10
	v_addc_co_u32_e32 v9, vcc, v9, v11, vcc
	v_mul_lo_u32 v10, s2, v9
	v_mul_hi_u32 v11, s2, v7
	v_add_u32_e32 v10, v11, v10
	v_mul_lo_u32 v11, s3, v7
	v_add_u32_e32 v10, v10, v11
	v_mul_lo_u32 v15, s2, v7
	v_mul_hi_u32 v19, v9, v15
	v_mul_lo_u32 v43, v9, v15
	v_mul_lo_u32 v45, v7, v10
	v_mul_hi_u32 v15, v7, v15
	v_mul_hi_u32 v44, v7, v10
	v_add_co_u32_e32 v15, vcc, v15, v45
	v_addc_co_u32_e32 v44, vcc, 0, v44, vcc
	v_add_co_u32_e32 v15, vcc, v15, v43
	v_mul_hi_u32 v11, v9, v10
	v_addc_co_u32_e32 v15, vcc, v44, v19, vcc
	v_addc_co_u32_e32 v11, vcc, 0, v11, vcc
	v_mul_lo_u32 v10, v9, v10
	v_add_co_u32_e32 v10, vcc, v15, v10
	v_addc_co_u32_e32 v11, vcc, 0, v11, vcc
	v_add_co_u32_e32 v7, vcc, v7, v10
	v_addc_co_u32_e32 v9, vcc, v9, v11, vcc
	v_mad_u64_u32 v[10:11], s[2:3], v1, v9, 0
	v_mul_hi_u32 v15, v1, v7
	v_add_co_u32_e32 v15, vcc, v15, v10
	v_addc_co_u32_e32 v19, vcc, 0, v11, vcc
	v_mad_u64_u32 v[44:45], s[2:3], v0, v7, 0
	v_add_co_u32_e32 v7, vcc, v15, v44
	v_mad_u64_u32 v[10:11], s[2:3], v0, v9, 0
	v_addc_co_u32_e32 v7, vcc, v19, v45, vcc
	v_addc_co_u32_e32 v9, vcc, 0, v11, vcc
	v_add_co_u32_e32 v7, vcc, v7, v10
	v_addc_co_u32_e32 v9, vcc, 0, v9, vcc
	v_mul_lo_u32 v15, s31, v7
	v_mul_lo_u32 v9, s30, v9
	v_mad_u64_u32 v[10:11], s[2:3], s30, v7, 0
	v_add3_u32 v7, v11, v9, v15
	v_sub_u32_e32 v9, v0, v7
	v_mov_b32_e32 v11, s31
	v_sub_co_u32_e32 v10, vcc, v1, v10
	v_subb_co_u32_e64 v9, s[2:3], v9, v11, vcc
	v_subrev_co_u32_e64 v11, s[2:3], s30, v10
	v_subbrev_co_u32_e64 v9, s[2:3], 0, v9, s[2:3]
	v_cmp_le_u32_e64 s[2:3], s31, v9
	v_subb_co_u32_e32 v0, vcc, v0, v7, vcc
	v_cndmask_b32_e64 v15, 0, -1, s[2:3]
	v_cmp_le_u32_e64 s[2:3], s30, v11
	v_cmp_le_u32_e32 vcc, s31, v0
	v_cndmask_b32_e64 v19, 0, -1, s[2:3]
	v_cmp_eq_u32_e64 s[2:3], s31, v9
	v_cndmask_b32_e64 v7, 0, -1, vcc
	v_cmp_le_u32_e32 vcc, s30, v10
	v_cndmask_b32_e64 v9, v15, v19, s[2:3]
	v_cndmask_b32_e64 v19, 0, -1, vcc
	v_cmp_eq_u32_e32 vcc, s31, v0
	v_subrev_co_u32_e64 v15, s[2:3], s30, v11
	v_cndmask_b32_e32 v0, v7, v19, vcc
	v_cmp_ne_u32_e32 vcc, 0, v9
	v_cndmask_b32_e32 v7, v11, v15, vcc
	v_cmp_ne_u32_e32 vcc, 0, v0
	v_cndmask_b32_e32 v10, v10, v7, vcc
.LBB9_36:                               ;   in Loop: Header=BB9_9 Depth=1
	s_andn2_saveexec_b64 s[2:3], s[4:5]
	s_cbranch_execz .LBB9_38
; %bb.37:                               ;   in Loop: Header=BB9_9 Depth=1
	v_cvt_f32_u32_e32 v0, s30
	s_sub_i32 s4, 0, s30
	v_rcp_iflag_f32_e32 v0, v0
	v_mul_f32_e32 v0, 0x4f7ffffe, v0
	v_cvt_u32_f32_e32 v0, v0
	v_mul_lo_u32 v7, s4, v0
	v_mul_hi_u32 v7, v0, v7
	v_add_u32_e32 v0, v0, v7
	v_mul_hi_u32 v0, v1, v0
	v_mul_lo_u32 v0, v0, s30
	v_sub_u32_e32 v0, v1, v0
	v_subrev_u32_e32 v1, s30, v0
	v_cmp_le_u32_e32 vcc, s30, v0
	v_cndmask_b32_e32 v0, v0, v1, vcc
	v_subrev_u32_e32 v1, s30, v0
	v_cmp_le_u32_e32 vcc, s30, v0
	v_cndmask_b32_e32 v10, v0, v1, vcc
.LBB9_38:                               ;   in Loop: Header=BB9_9 Depth=1
	s_or_b64 exec, exec, s[2:3]
	v_add_u32_e32 v0, s48, v10
	global_store_dword v8, v0, s[28:29]
.LBB9_39:                               ;   in Loop: Header=BB9_9 Depth=1
	s_or_b64 exec, exec, s[58:59]
	v_mov_b32_e32 v1, s63
	v_add_co_u32_e32 v0, vcc, s33, v16
	v_addc_co_u32_e32 v1, vcc, v17, v1, vcc
	v_cmp_gt_i64_e32 vcc, s[24:25], v[0:1]
	s_and_saveexec_b64 s[36:37], vcc
	s_cbranch_execz .LBB9_8
; %bb.40:                               ;   in Loop: Header=BB9_9 Depth=1
	s_and_b64 vcc, exec, s[0:1]
	s_cbranch_vccnz .LBB9_46
; %bb.41:                               ;   in Loop: Header=BB9_9 Depth=1
	s_andn2_b64 vcc, exec, s[42:43]
	s_cbranch_vccnz .LBB9_47
; %bb.42:                               ;   in Loop: Header=BB9_9 Depth=1
	s_mov_b32 s2, 0
	s_andn2_b64 vcc, exec, s[52:53]
	v_mov_b32_e32 v8, 0
	s_cbranch_vccnz .LBB9_48
; %bb.43:                               ;   in Loop: Header=BB9_9 Depth=1
	s_waitcnt lgkmcnt(0)
	s_mov_b32 s49, 0
	v_mov_b32_e32 v8, 0
	s_mov_b64 s[38:39], s[34:35]
	s_mov_b64 s[58:59], s[44:45]
	v_mov_b32_e32 v1, v0
.LBB9_44:                               ;   Parent Loop BB9_9 Depth=1
                                        ; =>  This Inner Loop Header: Depth=2
	s_load_dwordx8 s[0:7], s[38:39], 0x4
	s_load_dwordx4 s[16:19], s[38:39], 0x24
	s_load_dwordx4 s[20:23], s[58:59], 0x0
	s_add_u32 s38, s38, 48
	s_addc_u32 s39, s39, 0
	s_waitcnt lgkmcnt(0)
	v_mul_hi_u32 v7, s1, v1
	v_add_u32_e32 v7, v1, v7
	v_lshrrev_b32_e32 v7, s2, v7
	v_mul_lo_u32 v9, v7, s0
	v_mul_hi_u32 v10, s4, v7
	v_sub_u32_e32 v1, v1, v9
	v_add_u32_e32 v9, v7, v10
	v_lshrrev_b32_e32 v9, s5, v9
	v_mul_lo_u32 v10, v9, s3
	v_mul_hi_u32 v11, s7, v9
	v_sub_u32_e32 v7, v7, v10
	v_add_u32_e32 v10, v9, v11
	v_mul_lo_u32 v1, v1, s20
	v_mul_lo_u32 v7, v7, s21
	v_lshrrev_b32_e32 v10, s16, v10
	v_add3_u32 v7, v1, v8, v7
	v_mul_lo_u32 v1, v10, s6
	v_mul_hi_u32 v8, s18, v10
	v_sub_u32_e32 v1, v9, v1
	v_add_u32_e32 v8, v10, v8
	v_mul_lo_u32 v9, v1, s22
	v_lshrrev_b32_e32 v1, s19, v8
	s_add_i32 s49, s49, 4
	v_mul_lo_u32 v8, v1, s17
	s_add_u32 s58, s58, 16
	v_sub_u32_e32 v8, v10, v8
	s_addc_u32 s59, s59, 0
	v_mul_lo_u32 v8, v8, s23
	s_cmp_eq_u32 s15, s49
	v_add3_u32 v8, v9, v7, v8
	s_cbranch_scc0 .LBB9_44
; %bb.45:                               ;   in Loop: Header=BB9_9 Depth=1
	s_mov_b32 s2, s15
	s_andn2_b64 vcc, exec, s[56:57]
	s_cbranch_vccz .LBB9_49
	s_branch .LBB9_51
.LBB9_46:                               ;   in Loop: Header=BB9_9 Depth=1
                                        ; implicit-def: $vgpr8
	s_branch .LBB9_52
.LBB9_47:                               ;   in Loop: Header=BB9_9 Depth=1
	v_mov_b32_e32 v8, 0
	s_branch .LBB9_51
.LBB9_48:                               ;   in Loop: Header=BB9_9 Depth=1
	v_mov_b32_e32 v1, v0
	s_andn2_b64 vcc, exec, s[56:57]
	s_cbranch_vccnz .LBB9_51
.LBB9_49:                               ;   in Loop: Header=BB9_9 Depth=1
	s_lshl_b32 s0, s2, 2
	s_add_u32 s0, s44, s0
	s_addc_u32 s1, s45, 0
	s_mul_i32 s2, s2, 12
	s_add_u32 s2, s34, s2
	s_addc_u32 s3, s35, 0
	s_mov_b32 s4, s13
.LBB9_50:                               ;   Parent Loop BB9_9 Depth=1
                                        ; =>  This Inner Loop Header: Depth=2
	s_load_dwordx2 s[6:7], s[2:3], 0x4
	s_load_dword s5, s[2:3], 0xc
	s_load_dword s16, s[0:1], 0x0
	s_add_u32 s2, s2, 12
	s_addc_u32 s3, s3, 0
	s_waitcnt lgkmcnt(0)
	v_mul_hi_u32 v7, s7, v1
	v_add_u32_e32 v7, v1, v7
	v_lshrrev_b32_e32 v7, s5, v7
	s_add_u32 s0, s0, 4
	v_mul_lo_u32 v9, v7, s6
	s_addc_u32 s1, s1, 0
	s_add_i32 s4, s4, -1
	v_sub_u32_e32 v9, v1, v9
	s_cmp_lg_u32 s4, 0
	v_mov_b32_e32 v1, v7
	v_mad_u64_u32 v[8:9], s[6:7], v9, s16, v[8:9]
	s_cbranch_scc1 .LBB9_50
.LBB9_51:                               ;   in Loop: Header=BB9_9 Depth=1
	s_cbranch_execnz .LBB9_54
.LBB9_52:                               ;   in Loop: Header=BB9_9 Depth=1
	v_mul_hi_u32 v1, v0, s10
	v_add_u32_e32 v1, v1, v0
	v_lshrrev_b32_e32 v1, s11, v1
	v_mul_lo_u32 v7, v1, s9
	v_sub_u32_e32 v0, v0, v7
	s_andn2_b64 vcc, exec, s[46:47]
	s_waitcnt lgkmcnt(0)
	v_mul_lo_u32 v8, v0, s50
	s_cbranch_vccnz .LBB9_54
; %bb.53:                               ;   in Loop: Header=BB9_9 Depth=1
	v_mul_hi_u32 v0, s8, v1
	v_add_u32_e32 v0, v1, v0
	v_lshrrev_b32_e32 v0, s14, v0
	v_mul_lo_u32 v0, v0, s12
	v_sub_u32_e32 v0, v1, v0
	v_mad_u64_u32 v[8:9], s[0:1], v0, s51, v[8:9]
.LBB9_54:                               ;   in Loop: Header=BB9_9 Depth=1
	s_waitcnt lgkmcnt(0)
	v_or_b32_e32 v15, s31, v2
	v_cmp_ne_u64_e32 vcc, 0, v[14:15]
                                        ; implicit-def: $vgpr10_vgpr11
	s_and_saveexec_b64 s[0:1], vcc
	s_xor_b64 s[2:3], exec, s[0:1]
	s_cbranch_execz .LBB9_56
; %bb.55:                               ;   in Loop: Header=BB9_9 Depth=1
	v_cvt_f32_u32_e32 v0, s30
	v_cvt_f32_u32_e32 v1, s31
	s_sub_u32 s0, 0, s30
	s_subb_u32 s1, 0, s31
	v_mac_f32_e32 v0, 0x4f800000, v1
	v_rcp_f32_e32 v0, v0
	v_mul_f32_e32 v0, 0x5f7ffffc, v0
	v_mul_f32_e32 v1, 0x2f800000, v0
	v_trunc_f32_e32 v1, v1
	v_mac_f32_e32 v0, 0xcf800000, v1
	v_cvt_u32_f32_e32 v1, v1
	v_cvt_u32_f32_e32 v0, v0
	v_mul_lo_u32 v7, s0, v1
	v_mul_hi_u32 v10, s0, v0
	v_mul_lo_u32 v9, s1, v0
	v_add_u32_e32 v7, v10, v7
	v_mul_lo_u32 v11, s0, v0
	v_add_u32_e32 v7, v7, v9
	v_mul_hi_u32 v10, v0, v11
	v_mul_lo_u32 v15, v0, v7
	v_mul_hi_u32 v9, v0, v7
	v_add_co_u32_e32 v10, vcc, v10, v15
	v_addc_co_u32_e32 v9, vcc, 0, v9, vcc
	v_mul_hi_u32 v19, v1, v11
	v_mul_lo_u32 v11, v1, v11
	v_add_co_u32_e32 v10, vcc, v10, v11
	v_mul_hi_u32 v15, v1, v7
	v_addc_co_u32_e32 v9, vcc, v9, v19, vcc
	v_addc_co_u32_e32 v10, vcc, 0, v15, vcc
	v_mul_lo_u32 v7, v1, v7
	v_add_co_u32_e32 v7, vcc, v9, v7
	v_addc_co_u32_e32 v9, vcc, 0, v10, vcc
	v_add_co_u32_e32 v0, vcc, v0, v7
	v_addc_co_u32_e32 v1, vcc, v1, v9, vcc
	v_mul_lo_u32 v7, s0, v1
	v_mul_hi_u32 v9, s0, v0
	v_add_u32_e32 v7, v9, v7
	v_mul_lo_u32 v9, s1, v0
	v_add_u32_e32 v7, v7, v9
	v_mul_lo_u32 v10, s0, v0
	v_mul_hi_u32 v11, v1, v10
	v_mul_lo_u32 v15, v1, v10
	v_mul_lo_u32 v43, v0, v7
	v_mul_hi_u32 v10, v0, v10
	v_mul_hi_u32 v19, v0, v7
	v_add_co_u32_e32 v10, vcc, v10, v43
	v_addc_co_u32_e32 v19, vcc, 0, v19, vcc
	v_add_co_u32_e32 v10, vcc, v10, v15
	v_mul_hi_u32 v9, v1, v7
	v_addc_co_u32_e32 v10, vcc, v19, v11, vcc
	v_addc_co_u32_e32 v9, vcc, 0, v9, vcc
	v_mul_lo_u32 v7, v1, v7
	v_add_co_u32_e32 v7, vcc, v10, v7
	v_addc_co_u32_e32 v9, vcc, 0, v9, vcc
	v_add_co_u32_e32 v7, vcc, v0, v7
	v_addc_co_u32_e32 v9, vcc, v1, v9, vcc
	v_mad_u64_u32 v[0:1], s[0:1], v3, v9, 0
	v_mul_hi_u32 v10, v3, v7
	v_add_co_u32_e32 v15, vcc, v10, v0
	v_addc_co_u32_e32 v19, vcc, 0, v1, vcc
	v_mad_u64_u32 v[10:11], s[0:1], v2, v7, 0
	v_add_co_u32_e32 v7, vcc, v15, v10
	v_mad_u64_u32 v[0:1], s[0:1], v2, v9, 0
	v_addc_co_u32_e32 v7, vcc, v19, v11, vcc
	v_addc_co_u32_e32 v1, vcc, 0, v1, vcc
	v_add_co_u32_e32 v0, vcc, v7, v0
	v_addc_co_u32_e32 v1, vcc, 0, v1, vcc
	v_mul_lo_u32 v7, s31, v0
	v_mul_lo_u32 v9, s30, v1
	v_mad_u64_u32 v[0:1], s[0:1], s30, v0, 0
	v_add3_u32 v1, v1, v9, v7
	v_sub_u32_e32 v7, v2, v1
	v_mov_b32_e32 v9, s31
	v_sub_co_u32_e32 v0, vcc, v3, v0
	v_subb_co_u32_e64 v3, s[0:1], v7, v9, vcc
	v_subrev_co_u32_e64 v7, s[0:1], s30, v0
	v_subbrev_co_u32_e64 v3, s[0:1], 0, v3, s[0:1]
	v_cmp_le_u32_e64 s[0:1], s31, v3
	v_subb_co_u32_e32 v1, vcc, v2, v1, vcc
	v_cndmask_b32_e64 v9, 0, -1, s[0:1]
	v_cmp_le_u32_e64 s[0:1], s30, v7
	v_cmp_le_u32_e32 vcc, s31, v1
	v_cndmask_b32_e64 v10, 0, -1, s[0:1]
	v_cmp_eq_u32_e64 s[0:1], s31, v3
	v_cndmask_b32_e64 v2, 0, -1, vcc
	v_cmp_le_u32_e32 vcc, s30, v0
	v_cndmask_b32_e64 v3, v9, v10, s[0:1]
	v_cndmask_b32_e64 v10, 0, -1, vcc
	v_cmp_eq_u32_e32 vcc, s31, v1
	v_subrev_co_u32_e64 v9, s[0:1], s30, v7
	v_cndmask_b32_e32 v1, v2, v10, vcc
	v_cmp_ne_u32_e32 vcc, 0, v3
	v_cndmask_b32_e32 v2, v7, v9, vcc
	v_cmp_ne_u32_e32 vcc, 0, v1
	v_cndmask_b32_e32 v10, v0, v2, vcc
                                        ; implicit-def: $vgpr0_vgpr1_vgpr2_vgpr3
.LBB9_56:                               ;   in Loop: Header=BB9_9 Depth=1
	s_andn2_saveexec_b64 s[0:1], s[2:3]
	s_cbranch_execz .LBB9_7
; %bb.57:                               ;   in Loop: Header=BB9_9 Depth=1
	v_cvt_f32_u32_e32 v0, s30
	s_sub_i32 s2, 0, s30
	v_rcp_iflag_f32_e32 v0, v0
	v_mul_f32_e32 v0, 0x4f7ffffe, v0
	v_cvt_u32_f32_e32 v0, v0
	v_mul_lo_u32 v1, s2, v0
	v_mul_hi_u32 v1, v0, v1
	v_add_u32_e32 v0, v0, v1
	v_mul_hi_u32 v0, v3, v0
	v_mul_lo_u32 v0, v0, s30
	v_sub_u32_e32 v0, v3, v0
	v_subrev_u32_e32 v1, s30, v0
	v_cmp_le_u32_e32 vcc, s30, v0
	v_cndmask_b32_e32 v0, v0, v1, vcc
	v_subrev_u32_e32 v1, s30, v0
	v_cmp_le_u32_e32 vcc, s30, v0
	v_cndmask_b32_e32 v10, v0, v1, vcc
	s_branch .LBB9_7
.LBB9_58:
	s_endpgm
.LBB9_59:
                                        ; implicit-def: $sgpr2_sgpr3
	s_andn2_b64 vcc, exec, s[0:1]
	s_cbranch_vccz .LBB9_4
	s_branch .LBB9_5
	.section	.rodata,"a",@progbits
	.p2align	6, 0x0
	.amdhsa_kernel _ZN2at6native12_GLOBAL__N_143distribution_elementwise_grid_stride_kernelImLi2EZZZNS0_9templates4cuda21random_from_to_kernelIPNS_17CUDAGeneratorImplEEEvRNS_18TensorIteratorBaseEmlT_ENKUlvE_clEvENKUlvE1_clEvEUlP25hiprandStatePhilox4_32_10E_ZNS1_27distribution_nullary_kernelIim15HIP_vector_typeIyLj2EES7_SF_ZZZNS5_IS7_EEvS9_mlSA_ENKSB_clEvENKSC_clEvEUlmE_EEvS9_T2_RKT3_T4_EUlimE0_EEvlNS_15PhiloxCudaStateET1_SK_
		.amdhsa_group_segment_fixed_size 0
		.amdhsa_private_segment_fixed_size 0
		.amdhsa_kernarg_size 592
		.amdhsa_user_sgpr_count 6
		.amdhsa_user_sgpr_private_segment_buffer 1
		.amdhsa_user_sgpr_dispatch_ptr 0
		.amdhsa_user_sgpr_queue_ptr 0
		.amdhsa_user_sgpr_kernarg_segment_ptr 1
		.amdhsa_user_sgpr_dispatch_id 0
		.amdhsa_user_sgpr_flat_scratch_init 0
		.amdhsa_user_sgpr_kernarg_preload_length 0
		.amdhsa_user_sgpr_kernarg_preload_offset 0
		.amdhsa_user_sgpr_private_segment_size 0
		.amdhsa_uses_dynamic_stack 0
		.amdhsa_system_sgpr_private_segment_wavefront_offset 0
		.amdhsa_system_sgpr_workgroup_id_x 1
		.amdhsa_system_sgpr_workgroup_id_y 0
		.amdhsa_system_sgpr_workgroup_id_z 0
		.amdhsa_system_sgpr_workgroup_info 0
		.amdhsa_system_vgpr_workitem_id 0
		.amdhsa_next_free_vgpr 46
		.amdhsa_next_free_sgpr 66
		.amdhsa_accum_offset 48
		.amdhsa_reserve_vcc 1
		.amdhsa_reserve_flat_scratch 0
		.amdhsa_float_round_mode_32 0
		.amdhsa_float_round_mode_16_64 0
		.amdhsa_float_denorm_mode_32 3
		.amdhsa_float_denorm_mode_16_64 3
		.amdhsa_dx10_clamp 1
		.amdhsa_ieee_mode 1
		.amdhsa_fp16_overflow 0
		.amdhsa_tg_split 0
		.amdhsa_exception_fp_ieee_invalid_op 0
		.amdhsa_exception_fp_denorm_src 0
		.amdhsa_exception_fp_ieee_div_zero 0
		.amdhsa_exception_fp_ieee_overflow 0
		.amdhsa_exception_fp_ieee_underflow 0
		.amdhsa_exception_fp_ieee_inexact 0
		.amdhsa_exception_int_div_zero 0
	.end_amdhsa_kernel
	.section	.text._ZN2at6native12_GLOBAL__N_143distribution_elementwise_grid_stride_kernelImLi2EZZZNS0_9templates4cuda21random_from_to_kernelIPNS_17CUDAGeneratorImplEEEvRNS_18TensorIteratorBaseEmlT_ENKUlvE_clEvENKUlvE1_clEvEUlP25hiprandStatePhilox4_32_10E_ZNS1_27distribution_nullary_kernelIim15HIP_vector_typeIyLj2EES7_SF_ZZZNS5_IS7_EEvS9_mlSA_ENKSB_clEvENKSC_clEvEUlmE_EEvS9_T2_RKT3_T4_EUlimE0_EEvlNS_15PhiloxCudaStateET1_SK_,"axG",@progbits,_ZN2at6native12_GLOBAL__N_143distribution_elementwise_grid_stride_kernelImLi2EZZZNS0_9templates4cuda21random_from_to_kernelIPNS_17CUDAGeneratorImplEEEvRNS_18TensorIteratorBaseEmlT_ENKUlvE_clEvENKUlvE1_clEvEUlP25hiprandStatePhilox4_32_10E_ZNS1_27distribution_nullary_kernelIim15HIP_vector_typeIyLj2EES7_SF_ZZZNS5_IS7_EEvS9_mlSA_ENKSB_clEvENKSC_clEvEUlmE_EEvS9_T2_RKT3_T4_EUlimE0_EEvlNS_15PhiloxCudaStateET1_SK_,comdat
.Lfunc_end9:
	.size	_ZN2at6native12_GLOBAL__N_143distribution_elementwise_grid_stride_kernelImLi2EZZZNS0_9templates4cuda21random_from_to_kernelIPNS_17CUDAGeneratorImplEEEvRNS_18TensorIteratorBaseEmlT_ENKUlvE_clEvENKUlvE1_clEvEUlP25hiprandStatePhilox4_32_10E_ZNS1_27distribution_nullary_kernelIim15HIP_vector_typeIyLj2EES7_SF_ZZZNS5_IS7_EEvS9_mlSA_ENKSB_clEvENKSC_clEvEUlmE_EEvS9_T2_RKT3_T4_EUlimE0_EEvlNS_15PhiloxCudaStateET1_SK_, .Lfunc_end9-_ZN2at6native12_GLOBAL__N_143distribution_elementwise_grid_stride_kernelImLi2EZZZNS0_9templates4cuda21random_from_to_kernelIPNS_17CUDAGeneratorImplEEEvRNS_18TensorIteratorBaseEmlT_ENKUlvE_clEvENKUlvE1_clEvEUlP25hiprandStatePhilox4_32_10E_ZNS1_27distribution_nullary_kernelIim15HIP_vector_typeIyLj2EES7_SF_ZZZNS5_IS7_EEvS9_mlSA_ENKSB_clEvENKSC_clEvEUlmE_EEvS9_T2_RKT3_T4_EUlimE0_EEvlNS_15PhiloxCudaStateET1_SK_
                                        ; -- End function
	.section	.AMDGPU.csdata,"",@progbits
; Kernel info:
; codeLenInByte = 4592
; NumSgprs: 70
; NumVgprs: 46
; NumAgprs: 0
; TotalNumVgprs: 46
; ScratchSize: 0
; MemoryBound: 0
; FloatMode: 240
; IeeeMode: 1
; LDSByteSize: 0 bytes/workgroup (compile time only)
; SGPRBlocks: 8
; VGPRBlocks: 5
; NumSGPRsForWavesPerEU: 70
; NumVGPRsForWavesPerEU: 46
; AccumOffset: 48
; Occupancy: 8
; WaveLimiterHint : 1
; COMPUTE_PGM_RSRC2:SCRATCH_EN: 0
; COMPUTE_PGM_RSRC2:USER_SGPR: 6
; COMPUTE_PGM_RSRC2:TRAP_HANDLER: 0
; COMPUTE_PGM_RSRC2:TGID_X_EN: 1
; COMPUTE_PGM_RSRC2:TGID_Y_EN: 0
; COMPUTE_PGM_RSRC2:TGID_Z_EN: 0
; COMPUTE_PGM_RSRC2:TIDIG_COMP_CNT: 0
; COMPUTE_PGM_RSRC3_GFX90A:ACCUM_OFFSET: 11
; COMPUTE_PGM_RSRC3_GFX90A:TG_SPLIT: 0
	.section	.text._ZN2at6native12_GLOBAL__N_143distribution_elementwise_grid_stride_kernelIjLi4EZZZNS0_9templates4cuda21random_from_to_kernelIPNS_17CUDAGeneratorImplEEEvRNS_18TensorIteratorBaseEmlT_ENKUlvE_clEvENKUlvE1_clEvEUlP25hiprandStatePhilox4_32_10E0_ZNS1_27distribution_nullary_kernelIij15HIP_vector_typeIjLj4EES7_SF_ZZZNS5_IS7_EEvS9_mlSA_ENKSB_clEvENKSC_clEvEUljE_EEvS9_T2_RKT3_T4_EUlijE_EEvlNS_15PhiloxCudaStateET1_SK_,"axG",@progbits,_ZN2at6native12_GLOBAL__N_143distribution_elementwise_grid_stride_kernelIjLi4EZZZNS0_9templates4cuda21random_from_to_kernelIPNS_17CUDAGeneratorImplEEEvRNS_18TensorIteratorBaseEmlT_ENKUlvE_clEvENKUlvE1_clEvEUlP25hiprandStatePhilox4_32_10E0_ZNS1_27distribution_nullary_kernelIij15HIP_vector_typeIjLj4EES7_SF_ZZZNS5_IS7_EEvS9_mlSA_ENKSB_clEvENKSC_clEvEUljE_EEvS9_T2_RKT3_T4_EUlijE_EEvlNS_15PhiloxCudaStateET1_SK_,comdat
	.globl	_ZN2at6native12_GLOBAL__N_143distribution_elementwise_grid_stride_kernelIjLi4EZZZNS0_9templates4cuda21random_from_to_kernelIPNS_17CUDAGeneratorImplEEEvRNS_18TensorIteratorBaseEmlT_ENKUlvE_clEvENKUlvE1_clEvEUlP25hiprandStatePhilox4_32_10E0_ZNS1_27distribution_nullary_kernelIij15HIP_vector_typeIjLj4EES7_SF_ZZZNS5_IS7_EEvS9_mlSA_ENKSB_clEvENKSC_clEvEUljE_EEvS9_T2_RKT3_T4_EUlijE_EEvlNS_15PhiloxCudaStateET1_SK_ ; -- Begin function _ZN2at6native12_GLOBAL__N_143distribution_elementwise_grid_stride_kernelIjLi4EZZZNS0_9templates4cuda21random_from_to_kernelIPNS_17CUDAGeneratorImplEEEvRNS_18TensorIteratorBaseEmlT_ENKUlvE_clEvENKUlvE1_clEvEUlP25hiprandStatePhilox4_32_10E0_ZNS1_27distribution_nullary_kernelIij15HIP_vector_typeIjLj4EES7_SF_ZZZNS5_IS7_EEvS9_mlSA_ENKSB_clEvENKSC_clEvEUljE_EEvS9_T2_RKT3_T4_EUlijE_EEvlNS_15PhiloxCudaStateET1_SK_
	.p2align	8
	.type	_ZN2at6native12_GLOBAL__N_143distribution_elementwise_grid_stride_kernelIjLi4EZZZNS0_9templates4cuda21random_from_to_kernelIPNS_17CUDAGeneratorImplEEEvRNS_18TensorIteratorBaseEmlT_ENKUlvE_clEvENKUlvE1_clEvEUlP25hiprandStatePhilox4_32_10E0_ZNS1_27distribution_nullary_kernelIij15HIP_vector_typeIjLj4EES7_SF_ZZZNS5_IS7_EEvS9_mlSA_ENKSB_clEvENKSC_clEvEUljE_EEvS9_T2_RKT3_T4_EUlijE_EEvlNS_15PhiloxCudaStateET1_SK_,@function
_ZN2at6native12_GLOBAL__N_143distribution_elementwise_grid_stride_kernelIjLi4EZZZNS0_9templates4cuda21random_from_to_kernelIPNS_17CUDAGeneratorImplEEEvRNS_18TensorIteratorBaseEmlT_ENKUlvE_clEvENKUlvE1_clEvEUlP25hiprandStatePhilox4_32_10E0_ZNS1_27distribution_nullary_kernelIij15HIP_vector_typeIjLj4EES7_SF_ZZZNS5_IS7_EEvS9_mlSA_ENKSB_clEvENKSC_clEvEUljE_EEvS9_T2_RKT3_T4_EUlijE_EEvlNS_15PhiloxCudaStateET1_SK_: ; @_ZN2at6native12_GLOBAL__N_143distribution_elementwise_grid_stride_kernelIjLi4EZZZNS0_9templates4cuda21random_from_to_kernelIPNS_17CUDAGeneratorImplEEEvRNS_18TensorIteratorBaseEmlT_ENKUlvE_clEvENKUlvE1_clEvEUlP25hiprandStatePhilox4_32_10E0_ZNS1_27distribution_nullary_kernelIij15HIP_vector_typeIjLj4EES7_SF_ZZZNS5_IS7_EEvS9_mlSA_ENKSB_clEvENKSC_clEvEUljE_EEvS9_T2_RKT3_T4_EUlijE_EEvlNS_15PhiloxCudaStateET1_SK_
; %bb.0:
	s_load_dword s7, s[4:5], 0x20
	s_load_dwordx2 s[10:11], s[4:5], 0x10
	s_load_dwordx4 s[0:3], s[4:5], 0x0
	s_mov_b32 s8, 0
	s_waitcnt lgkmcnt(0)
	s_bitcmp0_b32 s7, 0
	v_pk_mov_b32 v[2:3], s[10:11], s[10:11] op_sel:[0,1]
	v_pk_mov_b32 v[14:15], s[2:3], s[2:3] op_sel:[0,1]
	s_cbranch_scc1 .LBB10_2
; %bb.1:
	v_pk_mov_b32 v[2:3], s[10:11], s[10:11] op_sel:[0,1]
	flat_load_dwordx2 v[2:3], v[2:3]
	v_pk_mov_b32 v[4:5], s[2:3], s[2:3] op_sel:[0,1]
	flat_load_dwordx2 v[14:15], v[4:5]
	s_load_dwordx2 s[2:3], s[4:5], 0x18
	s_waitcnt lgkmcnt(0)
	v_mov_b32_e32 v1, s3
	s_waitcnt vmcnt(0)
	v_add_co_u32_e32 v2, vcc, s2, v2
	v_addc_co_u32_e32 v3, vcc, v3, v1, vcc
.LBB10_2:
	s_load_dword s2, s[4:5], 0x5c
	s_load_dword s14, s[4:5], 0x50
	s_waitcnt lgkmcnt(0)
	s_and_b32 s7, s2, 0xffff
	s_add_u32 s10, s0, -1
	s_mul_i32 s16, s14, s7
	s_addc_u32 s9, s1, -1
	s_lshl_b32 s17, s16, 2
	s_cmp_lg_u64 s[8:9], 0
	s_mov_b64 s[2:3], -1
	s_cbranch_scc0 .LBB10_35
; %bb.3:
	v_cvt_f32_u32_e32 v1, s17
	v_cvt_f32_ubyte0_e32 v4, 0
	s_sub_u32 s8, 0, s17
	s_subb_u32 s11, 0, 0
	v_madmk_f32 v1, v4, 0x4f800000, v1
	v_rcp_f32_e32 v1, v1
	v_mul_f32_e32 v1, 0x5f7ffffc, v1
	v_mul_f32_e32 v4, 0x2f800000, v1
	v_trunc_f32_e32 v4, v4
	v_madmk_f32 v1, v4, 0xcf800000, v1
	v_cvt_u32_f32_e32 v4, v4
	v_cvt_u32_f32_e32 v1, v1
	v_readfirstlane_b32 s12, v4
	v_readfirstlane_b32 s13, v1
	s_mul_i32 s15, s8, s12
	s_mul_hi_u32 s19, s8, s13
	s_mul_i32 s18, s11, s13
	s_add_i32 s15, s19, s15
	s_add_i32 s15, s15, s18
	s_mul_i32 s20, s8, s13
	s_mul_hi_u32 s18, s13, s15
	s_mul_i32 s19, s13, s15
	s_mul_hi_u32 s13, s13, s20
	s_add_u32 s13, s13, s19
	s_addc_u32 s18, 0, s18
	s_mul_hi_u32 s21, s12, s20
	s_mul_i32 s20, s12, s20
	s_add_u32 s13, s13, s20
	s_mul_hi_u32 s19, s12, s15
	s_addc_u32 s13, s18, s21
	s_addc_u32 s18, s19, 0
	s_mul_i32 s15, s12, s15
	s_add_u32 s13, s13, s15
	s_addc_u32 s15, 0, s18
	v_add_co_u32_e32 v1, vcc, s13, v1
	s_cmp_lg_u64 vcc, 0
	s_addc_u32 s12, s12, s15
	v_readfirstlane_b32 s15, v1
	s_mul_i32 s13, s8, s12
	s_mul_hi_u32 s18, s8, s15
	s_add_i32 s13, s18, s13
	s_mul_i32 s11, s11, s15
	s_add_i32 s13, s13, s11
	s_mul_i32 s8, s8, s15
	s_mul_hi_u32 s18, s12, s8
	s_mul_i32 s19, s12, s8
	s_mul_i32 s21, s15, s13
	s_mul_hi_u32 s8, s15, s8
	s_mul_hi_u32 s20, s15, s13
	s_add_u32 s8, s8, s21
	s_addc_u32 s15, 0, s20
	s_add_u32 s8, s8, s19
	s_mul_hi_u32 s11, s12, s13
	s_addc_u32 s8, s15, s18
	s_addc_u32 s11, s11, 0
	s_mul_i32 s13, s12, s13
	s_add_u32 s8, s8, s13
	s_addc_u32 s11, 0, s11
	v_add_co_u32_e32 v1, vcc, s8, v1
	s_cmp_lg_u64 vcc, 0
	s_addc_u32 s11, s12, s11
	s_ashr_i32 s12, s9, 31
	s_add_u32 s8, s10, s12
	s_mov_b32 s13, s12
	s_addc_u32 s9, s9, s12
	s_xor_b64 s[8:9], s[8:9], s[12:13]
	v_readfirstlane_b32 s19, v1
	s_mul_i32 s18, s8, s11
	s_mul_hi_u32 s20, s8, s19
	s_mul_hi_u32 s15, s8, s11
	s_add_u32 s18, s20, s18
	s_addc_u32 s15, 0, s15
	s_mul_hi_u32 s21, s9, s19
	s_mul_i32 s19, s9, s19
	s_add_u32 s18, s18, s19
	s_mul_hi_u32 s20, s9, s11
	s_addc_u32 s15, s15, s21
	s_addc_u32 s18, s20, 0
	s_mul_i32 s11, s9, s11
	s_add_u32 s11, s15, s11
	s_addc_u32 s15, 0, s18
	s_add_u32 s18, s11, 1
	s_addc_u32 s19, s15, 0
	s_add_u32 s20, s11, 2
	s_mul_i32 s22, s17, s15
	s_mul_hi_u32 s23, s17, s11
	s_addc_u32 s21, s15, 0
	s_add_i32 s23, s23, s22
	s_mul_i32 s22, s17, s11
	v_mov_b32_e32 v1, s22
	v_sub_co_u32_e32 v1, vcc, s8, v1
	s_cmp_lg_u64 vcc, 0
	s_subb_u32 s8, s9, s23
	v_subrev_co_u32_e32 v4, vcc, s17, v1
	s_cmp_lg_u64 vcc, 0
	s_subb_u32 s9, s8, 0
	v_readfirstlane_b32 s22, v4
	s_cmp_ge_u32 s22, s17
	s_cselect_b32 s22, -1, 0
	s_cmp_eq_u32 s9, 0
	s_cselect_b32 s9, s22, -1
	s_cmp_lg_u32 s9, 0
	s_cselect_b32 s9, s21, s19
	v_readfirstlane_b32 s19, v1
	s_cselect_b32 s18, s20, s18
	s_cmp_ge_u32 s19, s17
	s_cselect_b32 s19, -1, 0
	s_cmp_eq_u32 s8, 0
	s_cselect_b32 s8, s19, -1
	s_cmp_lg_u32 s8, 0
	s_cselect_b32 s9, s9, s15
	s_cselect_b32 s8, s18, s11
	s_xor_b64 s[8:9], s[8:9], s[12:13]
	s_sub_u32 s8, s8, s12
	s_subb_u32 s9, s9, s12
	s_cbranch_execnz .LBB10_5
.LBB10_4:
	v_cvt_f32_u32_e32 v1, s17
	s_sub_i32 s2, 0, s17
	s_mov_b32 s9, 0
	v_rcp_iflag_f32_e32 v1, v1
	v_mul_f32_e32 v1, 0x4f7ffffe, v1
	v_cvt_u32_f32_e32 v1, v1
	v_readfirstlane_b32 s3, v1
	s_mul_i32 s2, s2, s3
	s_mul_hi_u32 s2, s3, s2
	s_add_i32 s3, s3, s2
	s_mul_hi_u32 s2, s10, s3
	s_mul_i32 s8, s2, s17
	s_sub_i32 s8, s10, s8
	s_add_i32 s3, s2, 1
	s_sub_i32 s10, s8, s17
	s_cmp_ge_u32 s8, s17
	s_cselect_b32 s2, s3, s2
	s_cselect_b32 s8, s10, s8
	s_add_i32 s3, s2, 1
	s_cmp_ge_u32 s8, s17
	s_cselect_b32 s8, s3, s2
.LBB10_5:
	v_mov_b32_e32 v1, 0
	v_mov_b32_e32 v4, s6
	v_mad_u64_u32 v[16:17], s[2:3], s7, v4, v[0:1]
	s_add_u32 s2, s8, 1
	s_addc_u32 s3, s9, 0
	s_mul_hi_u32 s8, s14, s7
	s_mul_i32 s3, s16, s3
	s_mul_hi_u32 s9, s16, s2
	s_add_i32 s3, s9, s3
	s_mul_i32 s8, s8, s2
	s_add_i32 s3, s3, s8
	s_mul_i32 s2, s16, s2
	s_lshl_b64 s[2:3], s[2:3], 2
	v_cmp_gt_i64_e32 vcc, s[2:3], v[16:17]
	s_and_saveexec_b64 s[8:9], vcc
	s_cbranch_execz .LBB10_34
; %bb.6:
	s_load_dwordx2 s[12:13], s[4:5], 0x30
	s_load_dword s15, s[4:5], 0x38
	s_load_dwordx4 s[8:11], s[4:5], 0x40
	v_mov_b32_e32 v4, v15
	s_mov_b32 s4, 0xdb3d7428
	v_add_co_u32_e32 v23, vcc, s4, v4
	s_mov_b32 s4, 0x5384540f
	v_add_co_u32_e32 v24, vcc, s4, v14
	;; [unrolled: 2-line block ×7, first 2 shown]
	s_mov_b32 s4, 0x9e3779b9
	v_alignbit_b32 v31, v3, v2, 2
	s_mov_b32 s18, 0xd2511f53
	v_add_co_u32_e32 v30, vcc, s4, v14
	v_mad_u64_u32 v[6:7], s[4:5], v31, s18, 0
	v_and_b32_e32 v20, 3, v2
	v_xor_b32_e32 v2, v7, v15
	v_xor_b32_e32 v2, v2, v17
	s_mov_b32 s19, 0xcd9e8d57
	v_mad_u64_u32 v[8:9], s[4:5], v2, s19, 0
	v_xor_b32_e32 v2, v30, v9
	v_mad_u64_u32 v[10:11], s[4:5], v16, s19, 0
	v_xor_b32_e32 v2, v2, v10
	;; [unrolled: 2-line block ×3, first 2 shown]
	v_lshrrev_b32_e32 v32, 2, v3
	v_xor_b32_e32 v2, v2, v32
	v_xor_b32_e32 v5, v29, v13
	v_mad_u64_u32 v[2:3], s[4:5], v2, s18, 0
	v_xor_b32_e32 v2, v5, v2
	v_mad_u64_u32 v[10:11], s[4:5], v2, s19, 0
	s_mov_b32 s4, 0xbb67ae85
	v_add_co_u32_e32 v33, vcc, s4, v4
	v_xor_b32_e32 v2, v33, v3
	v_xor_b32_e32 v2, v2, v6
	v_xor_b32_e32 v5, v28, v11
	v_mad_u64_u32 v[2:3], s[4:5], v2, s19, 0
	v_xor_b32_e32 v2, v5, v2
	v_mad_u64_u32 v[6:7], s[4:5], v2, s18, 0
	s_mov_b32 s4, 0x3c6ef372
	v_add_co_u32_e32 v34, vcc, s4, v14
	v_xor_b32_e32 v2, v34, v3
	;; [unrolled: 8-line block ×7, first 2 shown]
	v_xor_b32_e32 v2, v2, v12
	v_mad_u64_u32 v[2:3], s[4:5], v2, s19, 0
	s_mov_b32 s4, 0xf1bbcdc8
	v_add_co_u32_e32 v40, vcc, s4, v14
	v_xor_b32_e32 v3, v40, v3
	v_xor_b32_e32 v3, v3, v10
	v_mad_u64_u32 v[10:11], s[4:5], v3, s18, 0
	s_mul_i32 s4, s6, s7
	v_xor_b32_e32 v3, v11, v6
	v_add_u32_e32 v6, s4, v0
	s_waitcnt lgkmcnt(0)
	s_mul_i32 s4, s14, s15
	s_mul_i32 s4, s4, s7
	s_lshl_b32 s24, s4, 2
	s_mul_i32 s4, s14, 3
	s_add_i32 s4, s6, s4
	s_mul_i32 s4, s4, s7
	v_mul_lo_u32 v41, s15, v6
	v_add_u32_e32 v6, s4, v0
	s_lshl_b32 s4, s14, 1
	s_add_i32 s4, s6, s4
	s_mul_i32 s4, s4, s7
	v_mul_lo_u32 v42, s15, v6
	v_add_u32_e32 v6, s4, v0
	s_add_i32 s4, s6, s14
	s_mul_i32 s4, s4, s7
	s_mov_b32 s11, 0
	v_add_u32_e32 v21, 0x8ff34781, v14
	v_add_u32_e32 v22, 0x96a522ad, v15
	v_xor_b32_e32 v2, v9, v2
	v_add_u32_e32 v0, s4, v0
	v_xor_b32_e32 v2, v21, v2
	v_xor_b32_e32 v4, v22, v3
	v_mov_b32_e32 v3, v8
	v_mov_b32_e32 v5, v10
	s_lshl_b32 s20, s16, 1
	s_mov_b32 s21, s11
	s_mul_i32 s22, s16, 3
	s_mov_b32 s23, s11
	v_mul_lo_u32 v43, s15, v6
	v_mul_lo_u32 v44, s15, v0
	s_mov_b64 s[4:5], 0
	s_mov_b32 s25, s11
	v_mov_b32_e32 v45, v16
	v_mov_b32_e32 v46, v17
	s_branch .LBB10_9
.LBB10_7:                               ;   in Loop: Header=BB10_9 Depth=1
	s_or_b64 exec, exec, s[14:15]
	v_add_u32_e32 v2, s25, v42
	v_ashrrev_i32_e32 v3, 31, v2
	v_mov_b32_e32 v4, s13
	v_add_co_u32_e32 v2, vcc, s12, v2
	v_addc_co_u32_e32 v3, vcc, v4, v3, vcc
	v_add_u32_e32 v0, s10, v0
	global_store_dword v[2:3], v0, off
.LBB10_8:                               ;   in Loop: Header=BB10_9 Depth=1
	s_or_b64 exec, exec, s[6:7]
	v_add_co_u32_e32 v16, vcc, s17, v16
	v_addc_co_u32_e32 v17, vcc, 0, v17, vcc
	v_mov_b32_e32 v9, v18
	s_add_i32 s25, s25, s24
	v_cmp_le_i64_e32 vcc, s[2:3], v[16:17]
	v_pk_mov_b32 v[2:3], v[6:7], v[6:7] op_sel:[0,1]
	s_or_b64 s[4:5], vcc, s[4:5]
	v_pk_mov_b32 v[4:5], v[8:9], v[8:9] op_sel:[0,1]
	s_barrier
	s_andn2_b64 exec, exec, s[4:5]
	s_cbranch_execz .LBB10_34
.LBB10_9:                               ; =>This Inner Loop Header: Depth=1
	v_add_co_u32_e32 v31, vcc, 1, v31
	v_cndmask_b32_e64 v0, 0, 1, vcc
	v_addc_co_u32_e32 v32, vcc, 0, v32, vcc
	v_cmp_eq_u32_e32 vcc, 0, v32
	v_cndmask_b32_e32 v0, 0, v0, vcc
	v_add_u32_e32 v45, v0, v45
	v_cmp_eq_u32_e32 vcc, 0, v45
	v_cndmask_b32_e32 v0, 0, v0, vcc
	v_mad_u64_u32 v[6:7], s[6:7], v31, s18, 0
	v_mad_u64_u32 v[8:9], s[6:7], v45, s19, 0
	v_add_u32_e32 v46, v0, v46
	v_xor_b32_e32 v0, v9, v14
	v_xor_b32_e32 v7, v7, v15
	v_xor_b32_e32 v0, v32, v0
	v_xor_b32_e32 v7, v46, v7
	v_mad_u64_u32 v[10:11], s[6:7], v0, s18, 0
	v_mad_u64_u32 v[12:13], s[6:7], v7, s19, 0
	v_xor_b32_e32 v0, v30, v13
	v_xor_b32_e32 v7, v33, v11
	v_xor_b32_e32 v0, v0, v8
	v_xor_b32_e32 v8, v7, v6
	v_mad_u64_u32 v[6:7], s[6:7], v0, s18, 0
	v_mad_u64_u32 v[8:9], s[6:7], v8, s19, 0
	;; [unrolled: 6-line block ×9, first 2 shown]
	v_xor_b32_e32 v0, v13, v6
	v_xor_b32_e32 v6, v21, v0
	;; [unrolled: 1-line block ×4, first 2 shown]
	v_mov_b32_e32 v7, v12
	v_mov_b32_e32 v8, v13
	v_cmp_lt_i32_e32 vcc, 1, v20
	s_and_saveexec_b64 s[6:7], vcc
	s_xor_b64 s[6:7], exec, s[6:7]
	s_cbranch_execnz .LBB10_12
; %bb.10:                               ;   in Loop: Header=BB10_9 Depth=1
	s_andn2_saveexec_b64 s[6:7], s[6:7]
	s_cbranch_execnz .LBB10_17
.LBB10_11:                              ;   in Loop: Header=BB10_9 Depth=1
	s_or_b64 exec, exec, s[6:7]
	v_cmp_gt_i64_e32 vcc, s[0:1], v[16:17]
	s_and_saveexec_b64 s[6:7], vcc
	s_cbranch_execnz .LBB10_20
	s_branch .LBB10_23
.LBB10_12:                              ;   in Loop: Header=BB10_9 Depth=1
	v_cmp_lt_i32_e32 vcc, 2, v20
	s_and_saveexec_b64 s[14:15], vcc
	s_xor_b64 s[14:15], exec, s[14:15]
; %bb.13:                               ;   in Loop: Header=BB10_9 Depth=1
	v_mov_b32_e32 v10, v5
	v_mov_b32_e32 v11, v6
	v_pk_mov_b32 v[2:3], v[10:11], v[10:11] op_sel:[0,1]
	v_pk_mov_b32 v[4:5], v[12:13], v[12:13] op_sel:[0,1]
                                        ; implicit-def: $vgpr12_vgpr13
; %bb.14:                               ;   in Loop: Header=BB10_9 Depth=1
	s_andn2_saveexec_b64 s[14:15], s[14:15]
; %bb.15:                               ;   in Loop: Header=BB10_9 Depth=1
	v_mov_b32_e32 v2, v4
	v_mov_b32_e32 v3, v5
	;; [unrolled: 1-line block ×4, first 2 shown]
; %bb.16:                               ;   in Loop: Header=BB10_9 Depth=1
	s_or_b64 exec, exec, s[14:15]
	s_andn2_saveexec_b64 s[6:7], s[6:7]
	s_cbranch_execz .LBB10_11
.LBB10_17:                              ;   in Loop: Header=BB10_9 Depth=1
	v_cmp_eq_u32_e32 vcc, 1, v20
	s_and_saveexec_b64 s[14:15], vcc
; %bb.18:                               ;   in Loop: Header=BB10_9 Depth=1
	v_mov_b32_e32 v2, v3
	v_mov_b32_e32 v3, v4
	;; [unrolled: 1-line block ×4, first 2 shown]
; %bb.19:                               ;   in Loop: Header=BB10_9 Depth=1
	s_or_b64 exec, exec, s[14:15]
	s_or_b64 exec, exec, s[6:7]
	v_cmp_gt_i64_e32 vcc, s[0:1], v[16:17]
	s_and_saveexec_b64 s[6:7], vcc
	s_cbranch_execz .LBB10_23
.LBB10_20:                              ;   in Loop: Header=BB10_9 Depth=1
	v_mov_b32_e32 v0, v2
	v_cmp_le_u64_e32 vcc, s[8:9], v[0:1]
	s_and_saveexec_b64 s[14:15], vcc
	s_cbranch_execz .LBB10_22
; %bb.21:                               ;   in Loop: Header=BB10_9 Depth=1
	v_cvt_f32_u32_e32 v2, s8
	s_sub_i32 s26, 0, s8
	v_rcp_iflag_f32_e32 v2, v2
	v_mul_f32_e32 v2, 0x4f7ffffe, v2
	v_cvt_u32_f32_e32 v2, v2
	v_mul_lo_u32 v9, s26, v2
	v_mul_hi_u32 v9, v2, v9
	v_add_u32_e32 v2, v2, v9
	v_mul_hi_u32 v2, v0, v2
	v_mul_lo_u32 v2, v2, s8
	v_sub_u32_e32 v0, v0, v2
	v_subrev_u32_e32 v2, s8, v0
	v_cmp_le_u32_e32 vcc, s8, v0
	v_cndmask_b32_e32 v0, v0, v2, vcc
	v_subrev_u32_e32 v2, s8, v0
	v_cmp_le_u32_e32 vcc, s8, v0
	v_cndmask_b32_e32 v0, v0, v2, vcc
.LBB10_22:                              ;   in Loop: Header=BB10_9 Depth=1
	s_or_b64 exec, exec, s[14:15]
	v_add_u32_e32 v2, s25, v41
	v_ashrrev_i32_e32 v9, 31, v2
	v_mov_b32_e32 v11, s13
	v_add_co_u32_e32 v10, vcc, s12, v2
	v_addc_co_u32_e32 v11, vcc, v11, v9, vcc
	v_add_u32_e32 v0, s10, v0
	global_store_dword v[10:11], v0, off
.LBB10_23:                              ;   in Loop: Header=BB10_9 Depth=1
	s_or_b64 exec, exec, s[6:7]
	v_mov_b32_e32 v0, s11
	v_add_co_u32_e32 v10, vcc, s16, v16
	v_addc_co_u32_e32 v11, vcc, v0, v17, vcc
	v_cmp_gt_i64_e32 vcc, s[0:1], v[10:11]
	s_and_saveexec_b64 s[6:7], vcc
	s_cbranch_execz .LBB10_27
; %bb.24:                               ;   in Loop: Header=BB10_9 Depth=1
	v_mov_b32_e32 v0, v3
	v_cmp_le_u64_e32 vcc, s[8:9], v[0:1]
	s_and_saveexec_b64 s[14:15], vcc
	s_cbranch_execz .LBB10_26
; %bb.25:                               ;   in Loop: Header=BB10_9 Depth=1
	v_cvt_f32_u32_e32 v2, s8
	s_sub_i32 s26, 0, s8
	v_rcp_iflag_f32_e32 v2, v2
	v_mul_f32_e32 v2, 0x4f7ffffe, v2
	v_cvt_u32_f32_e32 v2, v2
	v_mul_lo_u32 v3, s26, v2
	v_mul_hi_u32 v3, v2, v3
	v_add_u32_e32 v2, v2, v3
	v_mul_hi_u32 v2, v0, v2
	v_mul_lo_u32 v2, v2, s8
	v_sub_u32_e32 v0, v0, v2
	v_subrev_u32_e32 v2, s8, v0
	v_cmp_le_u32_e32 vcc, s8, v0
	v_cndmask_b32_e32 v0, v0, v2, vcc
	v_subrev_u32_e32 v2, s8, v0
	v_cmp_le_u32_e32 vcc, s8, v0
	v_cndmask_b32_e32 v0, v0, v2, vcc
.LBB10_26:                              ;   in Loop: Header=BB10_9 Depth=1
	s_or_b64 exec, exec, s[14:15]
	v_add_u32_e32 v2, s25, v44
	v_ashrrev_i32_e32 v3, 31, v2
	v_mov_b32_e32 v9, s13
	v_add_co_u32_e32 v2, vcc, s12, v2
	v_addc_co_u32_e32 v3, vcc, v9, v3, vcc
	v_add_u32_e32 v0, s10, v0
	global_store_dword v[2:3], v0, off
.LBB10_27:                              ;   in Loop: Header=BB10_9 Depth=1
	s_or_b64 exec, exec, s[6:7]
	v_mov_b32_e32 v0, s21
	v_add_co_u32_e32 v2, vcc, s20, v16
	v_addc_co_u32_e32 v3, vcc, v0, v17, vcc
	v_cmp_gt_i64_e32 vcc, s[0:1], v[2:3]
	s_and_saveexec_b64 s[6:7], vcc
	s_cbranch_execz .LBB10_31
; %bb.28:                               ;   in Loop: Header=BB10_9 Depth=1
	v_mov_b32_e32 v0, v4
	v_cmp_le_u64_e32 vcc, s[8:9], v[0:1]
	s_and_saveexec_b64 s[14:15], vcc
	s_cbranch_execz .LBB10_30
; %bb.29:                               ;   in Loop: Header=BB10_9 Depth=1
	v_cvt_f32_u32_e32 v2, s8
	s_sub_i32 s26, 0, s8
	v_rcp_iflag_f32_e32 v2, v2
	v_mul_f32_e32 v2, 0x4f7ffffe, v2
	v_cvt_u32_f32_e32 v2, v2
	v_mul_lo_u32 v3, s26, v2
	v_mul_hi_u32 v3, v2, v3
	v_add_u32_e32 v2, v2, v3
	v_mul_hi_u32 v2, v0, v2
	v_mul_lo_u32 v2, v2, s8
	v_sub_u32_e32 v0, v0, v2
	v_subrev_u32_e32 v2, s8, v0
	v_cmp_le_u32_e32 vcc, s8, v0
	v_cndmask_b32_e32 v0, v0, v2, vcc
	v_subrev_u32_e32 v2, s8, v0
	v_cmp_le_u32_e32 vcc, s8, v0
	v_cndmask_b32_e32 v0, v0, v2, vcc
.LBB10_30:                              ;   in Loop: Header=BB10_9 Depth=1
	s_or_b64 exec, exec, s[14:15]
	v_add_u32_e32 v2, s25, v43
	v_ashrrev_i32_e32 v3, 31, v2
	v_mov_b32_e32 v4, s13
	v_add_co_u32_e32 v2, vcc, s12, v2
	v_addc_co_u32_e32 v3, vcc, v4, v3, vcc
	v_add_u32_e32 v0, s10, v0
	global_store_dword v[2:3], v0, off
.LBB10_31:                              ;   in Loop: Header=BB10_9 Depth=1
	s_or_b64 exec, exec, s[6:7]
	v_mov_b32_e32 v0, s23
	v_add_co_u32_e32 v2, vcc, s22, v16
	v_addc_co_u32_e32 v3, vcc, v0, v17, vcc
	v_cmp_gt_i64_e32 vcc, s[0:1], v[2:3]
	s_and_saveexec_b64 s[6:7], vcc
	s_cbranch_execz .LBB10_8
; %bb.32:                               ;   in Loop: Header=BB10_9 Depth=1
	v_mov_b32_e32 v0, v5
	v_cmp_le_u64_e32 vcc, s[8:9], v[0:1]
	s_and_saveexec_b64 s[14:15], vcc
	s_cbranch_execz .LBB10_7
; %bb.33:                               ;   in Loop: Header=BB10_9 Depth=1
	v_cvt_f32_u32_e32 v2, s8
	s_sub_i32 s26, 0, s8
	v_rcp_iflag_f32_e32 v2, v2
	v_mul_f32_e32 v2, 0x4f7ffffe, v2
	v_cvt_u32_f32_e32 v2, v2
	v_mul_lo_u32 v3, s26, v2
	v_mul_hi_u32 v3, v2, v3
	v_add_u32_e32 v2, v2, v3
	v_mul_hi_u32 v2, v0, v2
	v_mul_lo_u32 v2, v2, s8
	v_sub_u32_e32 v0, v0, v2
	v_subrev_u32_e32 v2, s8, v0
	v_cmp_le_u32_e32 vcc, s8, v0
	v_cndmask_b32_e32 v0, v0, v2, vcc
	v_subrev_u32_e32 v2, s8, v0
	v_cmp_le_u32_e32 vcc, s8, v0
	v_cndmask_b32_e32 v0, v0, v2, vcc
	s_branch .LBB10_7
.LBB10_34:
	s_endpgm
.LBB10_35:
                                        ; implicit-def: $sgpr8_sgpr9
	s_andn2_b64 vcc, exec, s[2:3]
	s_cbranch_vccz .LBB10_4
	s_branch .LBB10_5
	.section	.rodata,"a",@progbits
	.p2align	6, 0x0
	.amdhsa_kernel _ZN2at6native12_GLOBAL__N_143distribution_elementwise_grid_stride_kernelIjLi4EZZZNS0_9templates4cuda21random_from_to_kernelIPNS_17CUDAGeneratorImplEEEvRNS_18TensorIteratorBaseEmlT_ENKUlvE_clEvENKUlvE1_clEvEUlP25hiprandStatePhilox4_32_10E0_ZNS1_27distribution_nullary_kernelIij15HIP_vector_typeIjLj4EES7_SF_ZZZNS5_IS7_EEvS9_mlSA_ENKSB_clEvENKSC_clEvEUljE_EEvS9_T2_RKT3_T4_EUlijE_EEvlNS_15PhiloxCudaStateET1_SK_
		.amdhsa_group_segment_fixed_size 0
		.amdhsa_private_segment_fixed_size 0
		.amdhsa_kernarg_size 336
		.amdhsa_user_sgpr_count 6
		.amdhsa_user_sgpr_private_segment_buffer 1
		.amdhsa_user_sgpr_dispatch_ptr 0
		.amdhsa_user_sgpr_queue_ptr 0
		.amdhsa_user_sgpr_kernarg_segment_ptr 1
		.amdhsa_user_sgpr_dispatch_id 0
		.amdhsa_user_sgpr_flat_scratch_init 0
		.amdhsa_user_sgpr_kernarg_preload_length 0
		.amdhsa_user_sgpr_kernarg_preload_offset 0
		.amdhsa_user_sgpr_private_segment_size 0
		.amdhsa_uses_dynamic_stack 0
		.amdhsa_system_sgpr_private_segment_wavefront_offset 0
		.amdhsa_system_sgpr_workgroup_id_x 1
		.amdhsa_system_sgpr_workgroup_id_y 0
		.amdhsa_system_sgpr_workgroup_id_z 0
		.amdhsa_system_sgpr_workgroup_info 0
		.amdhsa_system_vgpr_workitem_id 0
		.amdhsa_next_free_vgpr 47
		.amdhsa_next_free_sgpr 27
		.amdhsa_accum_offset 48
		.amdhsa_reserve_vcc 1
		.amdhsa_reserve_flat_scratch 0
		.amdhsa_float_round_mode_32 0
		.amdhsa_float_round_mode_16_64 0
		.amdhsa_float_denorm_mode_32 3
		.amdhsa_float_denorm_mode_16_64 3
		.amdhsa_dx10_clamp 1
		.amdhsa_ieee_mode 1
		.amdhsa_fp16_overflow 0
		.amdhsa_tg_split 0
		.amdhsa_exception_fp_ieee_invalid_op 0
		.amdhsa_exception_fp_denorm_src 0
		.amdhsa_exception_fp_ieee_div_zero 0
		.amdhsa_exception_fp_ieee_overflow 0
		.amdhsa_exception_fp_ieee_underflow 0
		.amdhsa_exception_fp_ieee_inexact 0
		.amdhsa_exception_int_div_zero 0
	.end_amdhsa_kernel
	.section	.text._ZN2at6native12_GLOBAL__N_143distribution_elementwise_grid_stride_kernelIjLi4EZZZNS0_9templates4cuda21random_from_to_kernelIPNS_17CUDAGeneratorImplEEEvRNS_18TensorIteratorBaseEmlT_ENKUlvE_clEvENKUlvE1_clEvEUlP25hiprandStatePhilox4_32_10E0_ZNS1_27distribution_nullary_kernelIij15HIP_vector_typeIjLj4EES7_SF_ZZZNS5_IS7_EEvS9_mlSA_ENKSB_clEvENKSC_clEvEUljE_EEvS9_T2_RKT3_T4_EUlijE_EEvlNS_15PhiloxCudaStateET1_SK_,"axG",@progbits,_ZN2at6native12_GLOBAL__N_143distribution_elementwise_grid_stride_kernelIjLi4EZZZNS0_9templates4cuda21random_from_to_kernelIPNS_17CUDAGeneratorImplEEEvRNS_18TensorIteratorBaseEmlT_ENKUlvE_clEvENKUlvE1_clEvEUlP25hiprandStatePhilox4_32_10E0_ZNS1_27distribution_nullary_kernelIij15HIP_vector_typeIjLj4EES7_SF_ZZZNS5_IS7_EEvS9_mlSA_ENKSB_clEvENKSC_clEvEUljE_EEvS9_T2_RKT3_T4_EUlijE_EEvlNS_15PhiloxCudaStateET1_SK_,comdat
.Lfunc_end10:
	.size	_ZN2at6native12_GLOBAL__N_143distribution_elementwise_grid_stride_kernelIjLi4EZZZNS0_9templates4cuda21random_from_to_kernelIPNS_17CUDAGeneratorImplEEEvRNS_18TensorIteratorBaseEmlT_ENKUlvE_clEvENKUlvE1_clEvEUlP25hiprandStatePhilox4_32_10E0_ZNS1_27distribution_nullary_kernelIij15HIP_vector_typeIjLj4EES7_SF_ZZZNS5_IS7_EEvS9_mlSA_ENKSB_clEvENKSC_clEvEUljE_EEvS9_T2_RKT3_T4_EUlijE_EEvlNS_15PhiloxCudaStateET1_SK_, .Lfunc_end10-_ZN2at6native12_GLOBAL__N_143distribution_elementwise_grid_stride_kernelIjLi4EZZZNS0_9templates4cuda21random_from_to_kernelIPNS_17CUDAGeneratorImplEEEvRNS_18TensorIteratorBaseEmlT_ENKUlvE_clEvENKUlvE1_clEvEUlP25hiprandStatePhilox4_32_10E0_ZNS1_27distribution_nullary_kernelIij15HIP_vector_typeIjLj4EES7_SF_ZZZNS5_IS7_EEvS9_mlSA_ENKSB_clEvENKSC_clEvEUljE_EEvS9_T2_RKT3_T4_EUlijE_EEvlNS_15PhiloxCudaStateET1_SK_
                                        ; -- End function
	.section	.AMDGPU.csdata,"",@progbits
; Kernel info:
; codeLenInByte = 2796
; NumSgprs: 31
; NumVgprs: 47
; NumAgprs: 0
; TotalNumVgprs: 47
; ScratchSize: 0
; MemoryBound: 0
; FloatMode: 240
; IeeeMode: 1
; LDSByteSize: 0 bytes/workgroup (compile time only)
; SGPRBlocks: 3
; VGPRBlocks: 5
; NumSGPRsForWavesPerEU: 31
; NumVGPRsForWavesPerEU: 47
; AccumOffset: 48
; Occupancy: 8
; WaveLimiterHint : 0
; COMPUTE_PGM_RSRC2:SCRATCH_EN: 0
; COMPUTE_PGM_RSRC2:USER_SGPR: 6
; COMPUTE_PGM_RSRC2:TRAP_HANDLER: 0
; COMPUTE_PGM_RSRC2:TGID_X_EN: 1
; COMPUTE_PGM_RSRC2:TGID_Y_EN: 0
; COMPUTE_PGM_RSRC2:TGID_Z_EN: 0
; COMPUTE_PGM_RSRC2:TIDIG_COMP_CNT: 0
; COMPUTE_PGM_RSRC3_GFX90A:ACCUM_OFFSET: 11
; COMPUTE_PGM_RSRC3_GFX90A:TG_SPLIT: 0
	.section	.text._ZN2at6native12_GLOBAL__N_143distribution_elementwise_grid_stride_kernelIjLi4EZZZNS0_9templates4cuda21random_from_to_kernelIPNS_17CUDAGeneratorImplEEEvRNS_18TensorIteratorBaseEmlT_ENKUlvE_clEvENKUlvE1_clEvEUlP25hiprandStatePhilox4_32_10E0_ZNS1_27distribution_nullary_kernelIij15HIP_vector_typeIjLj4EES7_SF_ZZZNS5_IS7_EEvS9_mlSA_ENKSB_clEvENKSC_clEvEUljE_EEvS9_T2_RKT3_T4_EUlijE0_EEvlNS_15PhiloxCudaStateET1_SK_,"axG",@progbits,_ZN2at6native12_GLOBAL__N_143distribution_elementwise_grid_stride_kernelIjLi4EZZZNS0_9templates4cuda21random_from_to_kernelIPNS_17CUDAGeneratorImplEEEvRNS_18TensorIteratorBaseEmlT_ENKUlvE_clEvENKUlvE1_clEvEUlP25hiprandStatePhilox4_32_10E0_ZNS1_27distribution_nullary_kernelIij15HIP_vector_typeIjLj4EES7_SF_ZZZNS5_IS7_EEvS9_mlSA_ENKSB_clEvENKSC_clEvEUljE_EEvS9_T2_RKT3_T4_EUlijE0_EEvlNS_15PhiloxCudaStateET1_SK_,comdat
	.globl	_ZN2at6native12_GLOBAL__N_143distribution_elementwise_grid_stride_kernelIjLi4EZZZNS0_9templates4cuda21random_from_to_kernelIPNS_17CUDAGeneratorImplEEEvRNS_18TensorIteratorBaseEmlT_ENKUlvE_clEvENKUlvE1_clEvEUlP25hiprandStatePhilox4_32_10E0_ZNS1_27distribution_nullary_kernelIij15HIP_vector_typeIjLj4EES7_SF_ZZZNS5_IS7_EEvS9_mlSA_ENKSB_clEvENKSC_clEvEUljE_EEvS9_T2_RKT3_T4_EUlijE0_EEvlNS_15PhiloxCudaStateET1_SK_ ; -- Begin function _ZN2at6native12_GLOBAL__N_143distribution_elementwise_grid_stride_kernelIjLi4EZZZNS0_9templates4cuda21random_from_to_kernelIPNS_17CUDAGeneratorImplEEEvRNS_18TensorIteratorBaseEmlT_ENKUlvE_clEvENKUlvE1_clEvEUlP25hiprandStatePhilox4_32_10E0_ZNS1_27distribution_nullary_kernelIij15HIP_vector_typeIjLj4EES7_SF_ZZZNS5_IS7_EEvS9_mlSA_ENKSB_clEvENKSC_clEvEUljE_EEvS9_T2_RKT3_T4_EUlijE0_EEvlNS_15PhiloxCudaStateET1_SK_
	.p2align	8
	.type	_ZN2at6native12_GLOBAL__N_143distribution_elementwise_grid_stride_kernelIjLi4EZZZNS0_9templates4cuda21random_from_to_kernelIPNS_17CUDAGeneratorImplEEEvRNS_18TensorIteratorBaseEmlT_ENKUlvE_clEvENKUlvE1_clEvEUlP25hiprandStatePhilox4_32_10E0_ZNS1_27distribution_nullary_kernelIij15HIP_vector_typeIjLj4EES7_SF_ZZZNS5_IS7_EEvS9_mlSA_ENKSB_clEvENKSC_clEvEUljE_EEvS9_T2_RKT3_T4_EUlijE0_EEvlNS_15PhiloxCudaStateET1_SK_,@function
_ZN2at6native12_GLOBAL__N_143distribution_elementwise_grid_stride_kernelIjLi4EZZZNS0_9templates4cuda21random_from_to_kernelIPNS_17CUDAGeneratorImplEEEvRNS_18TensorIteratorBaseEmlT_ENKUlvE_clEvENKUlvE1_clEvEUlP25hiprandStatePhilox4_32_10E0_ZNS1_27distribution_nullary_kernelIij15HIP_vector_typeIjLj4EES7_SF_ZZZNS5_IS7_EEvS9_mlSA_ENKSB_clEvENKSC_clEvEUljE_EEvS9_T2_RKT3_T4_EUlijE0_EEvlNS_15PhiloxCudaStateET1_SK_: ; @_ZN2at6native12_GLOBAL__N_143distribution_elementwise_grid_stride_kernelIjLi4EZZZNS0_9templates4cuda21random_from_to_kernelIPNS_17CUDAGeneratorImplEEEvRNS_18TensorIteratorBaseEmlT_ENKUlvE_clEvENKUlvE1_clEvEUlP25hiprandStatePhilox4_32_10E0_ZNS1_27distribution_nullary_kernelIij15HIP_vector_typeIjLj4EES7_SF_ZZZNS5_IS7_EEvS9_mlSA_ENKSB_clEvENKSC_clEvEUljE_EEvS9_T2_RKT3_T4_EUlijE0_EEvlNS_15PhiloxCudaStateET1_SK_
; %bb.0:
	s_load_dword s2, s[4:5], 0x20
	s_load_dwordx2 s[0:1], s[4:5], 0x10
	s_load_dwordx4 s[24:27], s[4:5], 0x0
	s_waitcnt lgkmcnt(0)
	s_bitcmp0_b32 s2, 0
	s_mov_b32 s2, 0
	v_pk_mov_b32 v[2:3], s[0:1], s[0:1] op_sel:[0,1]
	v_pk_mov_b32 v[14:15], s[26:27], s[26:27] op_sel:[0,1]
	s_cbranch_scc1 .LBB11_2
; %bb.1:
	v_pk_mov_b32 v[2:3], s[0:1], s[0:1] op_sel:[0,1]
	flat_load_dwordx2 v[2:3], v[2:3]
	v_pk_mov_b32 v[4:5], s[26:27], s[26:27] op_sel:[0,1]
	flat_load_dwordx2 v[14:15], v[4:5]
	s_load_dwordx2 s[0:1], s[4:5], 0x18
	s_waitcnt lgkmcnt(0)
	v_mov_b32_e32 v1, s1
	s_waitcnt vmcnt(0)
	v_add_co_u32_e32 v2, vcc, s0, v2
	v_addc_co_u32_e32 v3, vcc, v3, v1, vcc
.LBB11_2:
	s_load_dword s0, s[4:5], 0x15c
	s_load_dword s7, s[4:5], 0x150
	s_waitcnt lgkmcnt(0)
	s_and_b32 s8, s0, 0xffff
	s_add_u32 s9, s24, -1
	s_mul_i32 s33, s7, s8
	s_addc_u32 s3, s25, -1
	s_lshl_b32 s62, s33, 2
	s_cmp_lg_u64 s[2:3], 0
	s_mov_b64 s[0:1], -1
	s_cbranch_scc0 .LBB11_91
; %bb.3:
	v_cvt_f32_u32_e32 v1, s62
	v_cvt_f32_ubyte0_e32 v4, 0
	s_sub_u32 s2, 0, s62
	s_subb_u32 s10, 0, 0
	v_madmk_f32 v1, v4, 0x4f800000, v1
	v_rcp_f32_e32 v1, v1
	v_mul_f32_e32 v1, 0x5f7ffffc, v1
	v_mul_f32_e32 v4, 0x2f800000, v1
	v_trunc_f32_e32 v4, v4
	v_madmk_f32 v1, v4, 0xcf800000, v1
	v_cvt_u32_f32_e32 v4, v4
	v_cvt_u32_f32_e32 v1, v1
	v_readfirstlane_b32 s11, v4
	v_readfirstlane_b32 s12, v1
	s_mul_i32 s13, s2, s11
	s_mul_hi_u32 s15, s2, s12
	s_mul_i32 s14, s10, s12
	s_add_i32 s13, s15, s13
	s_add_i32 s13, s13, s14
	s_mul_i32 s16, s2, s12
	s_mul_hi_u32 s14, s12, s13
	s_mul_i32 s15, s12, s13
	s_mul_hi_u32 s12, s12, s16
	s_add_u32 s12, s12, s15
	s_addc_u32 s14, 0, s14
	s_mul_hi_u32 s17, s11, s16
	s_mul_i32 s16, s11, s16
	s_add_u32 s12, s12, s16
	s_mul_hi_u32 s15, s11, s13
	s_addc_u32 s12, s14, s17
	s_addc_u32 s14, s15, 0
	s_mul_i32 s13, s11, s13
	s_add_u32 s12, s12, s13
	s_addc_u32 s13, 0, s14
	v_add_co_u32_e32 v1, vcc, s12, v1
	s_cmp_lg_u64 vcc, 0
	s_addc_u32 s11, s11, s13
	v_readfirstlane_b32 s13, v1
	s_mul_i32 s12, s2, s11
	s_mul_hi_u32 s14, s2, s13
	s_add_i32 s12, s14, s12
	s_mul_i32 s10, s10, s13
	s_add_i32 s12, s12, s10
	s_mul_i32 s2, s2, s13
	s_mul_hi_u32 s14, s11, s2
	s_mul_i32 s15, s11, s2
	s_mul_i32 s17, s13, s12
	s_mul_hi_u32 s2, s13, s2
	s_mul_hi_u32 s16, s13, s12
	s_add_u32 s2, s2, s17
	s_addc_u32 s13, 0, s16
	s_add_u32 s2, s2, s15
	s_mul_hi_u32 s10, s11, s12
	s_addc_u32 s2, s13, s14
	s_addc_u32 s10, s10, 0
	s_mul_i32 s12, s11, s12
	s_add_u32 s2, s2, s12
	s_addc_u32 s10, 0, s10
	v_add_co_u32_e32 v1, vcc, s2, v1
	s_cmp_lg_u64 vcc, 0
	s_addc_u32 s12, s11, s10
	s_ashr_i32 s10, s3, 31
	s_add_u32 s2, s9, s10
	s_mov_b32 s11, s10
	s_addc_u32 s3, s3, s10
	s_xor_b64 s[2:3], s[2:3], s[10:11]
	v_readfirstlane_b32 s15, v1
	s_mul_i32 s14, s2, s12
	s_mul_hi_u32 s16, s2, s15
	s_mul_hi_u32 s13, s2, s12
	s_add_u32 s14, s16, s14
	s_addc_u32 s13, 0, s13
	s_mul_hi_u32 s17, s3, s15
	s_mul_i32 s15, s3, s15
	s_add_u32 s14, s14, s15
	s_mul_hi_u32 s16, s3, s12
	s_addc_u32 s13, s13, s17
	s_addc_u32 s14, s16, 0
	s_mul_i32 s12, s3, s12
	s_add_u32 s12, s13, s12
	s_addc_u32 s13, 0, s14
	s_add_u32 s14, s12, 1
	s_addc_u32 s15, s13, 0
	s_add_u32 s16, s12, 2
	s_mul_i32 s18, s62, s13
	s_mul_hi_u32 s19, s62, s12
	s_addc_u32 s17, s13, 0
	s_add_i32 s19, s19, s18
	s_mul_i32 s18, s62, s12
	v_mov_b32_e32 v1, s18
	v_sub_co_u32_e32 v1, vcc, s2, v1
	s_cmp_lg_u64 vcc, 0
	s_subb_u32 s2, s3, s19
	v_subrev_co_u32_e32 v4, vcc, s62, v1
	s_cmp_lg_u64 vcc, 0
	s_subb_u32 s3, s2, 0
	v_readfirstlane_b32 s18, v4
	s_cmp_ge_u32 s18, s62
	s_cselect_b32 s18, -1, 0
	s_cmp_eq_u32 s3, 0
	s_cselect_b32 s3, s18, -1
	s_cmp_lg_u32 s3, 0
	s_cselect_b32 s3, s17, s15
	v_readfirstlane_b32 s15, v1
	s_cselect_b32 s14, s16, s14
	s_cmp_ge_u32 s15, s62
	s_cselect_b32 s15, -1, 0
	s_cmp_eq_u32 s2, 0
	s_cselect_b32 s2, s15, -1
	s_cmp_lg_u32 s2, 0
	s_cselect_b32 s3, s3, s13
	s_cselect_b32 s2, s14, s12
	s_xor_b64 s[2:3], s[2:3], s[10:11]
	s_sub_u32 s2, s2, s10
	s_subb_u32 s3, s3, s10
	s_cbranch_execnz .LBB11_5
.LBB11_4:
	v_cvt_f32_u32_e32 v1, s62
	s_sub_i32 s0, 0, s62
	s_mov_b32 s3, 0
	v_rcp_iflag_f32_e32 v1, v1
	v_mul_f32_e32 v1, 0x4f7ffffe, v1
	v_cvt_u32_f32_e32 v1, v1
	v_readfirstlane_b32 s1, v1
	s_mul_i32 s0, s0, s1
	s_mul_hi_u32 s0, s1, s0
	s_add_i32 s1, s1, s0
	s_mul_hi_u32 s0, s9, s1
	s_mul_i32 s2, s0, s62
	s_sub_i32 s2, s9, s2
	s_add_i32 s1, s0, 1
	s_sub_i32 s9, s2, s62
	s_cmp_ge_u32 s2, s62
	s_cselect_b32 s0, s1, s0
	s_cselect_b32 s2, s9, s2
	s_add_i32 s1, s0, 1
	s_cmp_ge_u32 s2, s62
	s_cselect_b32 s2, s1, s0
.LBB11_5:
	v_mov_b32_e32 v1, 0
	v_mov_b32_e32 v4, s6
	v_mad_u64_u32 v[16:17], s[0:1], s8, v4, v[0:1]
	s_add_u32 s0, s2, 1
	s_addc_u32 s1, s3, 0
	s_mul_hi_u32 s2, s7, s8
	s_mul_i32 s1, s33, s1
	s_mul_hi_u32 s3, s33, s0
	s_add_i32 s1, s3, s1
	s_mul_i32 s2, s2, s0
	s_add_i32 s1, s1, s2
	s_mul_i32 s0, s33, s0
	s_lshl_b64 s[26:27], s[0:1], 2
	v_cmp_gt_i64_e32 vcc, s[26:27], v[16:17]
	s_and_saveexec_b64 s[0:1], vcc
	s_cbranch_execz .LBB11_90
; %bb.6:
	s_mov_b32 s0, 0x5384540f
	v_mov_b32_e32 v0, v15
	v_add_co_u32_e32 v24, vcc, s0, v14
	s_mov_b32 s0, 0x646e171e
	v_add_co_u32_e32 v25, vcc, s0, v0
	s_mov_b32 s0, 0x1715609d
	;; [unrolled: 2-line block ×6, first 2 shown]
	v_alignbit_b32 v31, v3, v2, 2
	s_mov_b32 s64, 0xd2511f53
	v_add_co_u32_e32 v30, vcc, s0, v14
	v_mad_u64_u32 v[4:5], s[0:1], v31, s64, 0
	v_and_b32_e32 v20, 3, v2
	v_xor_b32_e32 v2, v5, v15
	v_xor_b32_e32 v2, v2, v17
	s_mov_b32 s65, 0xcd9e8d57
	v_mad_u64_u32 v[6:7], s[0:1], v2, s65, 0
	v_xor_b32_e32 v2, v30, v7
	v_mad_u64_u32 v[8:9], s[0:1], v16, s65, 0
	v_xor_b32_e32 v2, v2, v8
	;; [unrolled: 2-line block ×3, first 2 shown]
	v_lshrrev_b32_e32 v32, 2, v3
	v_xor_b32_e32 v2, v2, v32
	v_xor_b32_e32 v5, v29, v11
	v_mad_u64_u32 v[2:3], s[0:1], v2, s64, 0
	v_xor_b32_e32 v2, v5, v2
	v_mad_u64_u32 v[8:9], s[0:1], v2, s65, 0
	s_mov_b32 s0, 0xbb67ae85
	v_add_co_u32_e32 v33, vcc, s0, v0
	v_xor_b32_e32 v2, v33, v3
	v_xor_b32_e32 v2, v2, v4
	v_xor_b32_e32 v5, v28, v9
	v_mad_u64_u32 v[2:3], s[0:1], v2, s65, 0
	v_xor_b32_e32 v2, v5, v2
	v_mad_u64_u32 v[4:5], s[0:1], v2, s64, 0
	s_mov_b32 s0, 0x3c6ef372
	v_add_co_u32_e32 v34, vcc, s0, v14
	v_xor_b32_e32 v2, v34, v3
	;; [unrolled: 8-line block ×6, first 2 shown]
	v_add_co_u32_e32 v23, vcc, 0xdb3d7428, v0
	v_xor_b32_e32 v2, v2, v6
	v_xor_b32_e32 v5, v23, v5
	v_mad_u64_u32 v[2:3], s[0:1], v2, s64, 0
	v_xor_b32_e32 v2, v5, v2
	v_mad_u64_u32 v[6:7], s[0:1], v2, s65, 0
	s_mov_b32 s0, 0x1fd5c5a3
	v_add_co_u32_e32 v39, vcc, s0, v0
	v_xor_b32_e32 v0, v39, v3
	v_xor_b32_e32 v0, v0, v10
	v_mad_u64_u32 v[2:3], s[0:1], v0, s65, 0
	s_mov_b32 s0, 0xf1bbcdc8
	s_load_dwordx8 s[8:15], s[4:5], 0x30
	v_add_u32_e32 v21, 0x8ff34781, v14
	v_xor_b32_e32 v0, v7, v2
	v_add_co_u32_e32 v40, vcc, s0, v14
	v_xor_b32_e32 v2, v21, v0
	v_xor_b32_e32 v0, v40, v3
	;; [unrolled: 1-line block ×3, first 2 shown]
	s_add_u32 s34, s4, 48
	v_mad_u64_u32 v[8:9], s[0:1], v0, s64, 0
	s_addc_u32 s35, s5, 0
	s_waitcnt lgkmcnt(0)
	s_add_i32 s0, s8, -1
	s_cmp_gt_u32 s0, 1
	s_cselect_b64 s[40:41], -1, 0
	s_cmp_lg_u32 s8, 0
	s_cselect_b64 s[42:43], -1, 0
	s_add_u32 s44, s4, 0xf4
	s_addc_u32 s45, s5, 0
	s_min_u32 s1, s0, 15
	s_cmp_gt_u32 s8, 1
	s_cselect_b64 s[46:47], -1, 0
	s_load_dwordx2 s[48:49], s[4:5], 0x148
	s_load_dwordx2 s[50:51], s[4:5], 0xf4
	s_load_dwordx4 s[28:31], s[4:5], 0x138
	s_add_i32 s1, s1, 1
	s_mov_b32 s8, s13
	s_lshl_b32 s13, s33, 1
	s_and_b32 s67, s1, 3
	s_cmp_lg_u32 s0, 2
	s_cselect_b64 s[52:53], -1, 0
	s_and_b32 s68, s1, 28
	s_mov_b32 s63, 0
	v_add_u32_e32 v22, 0x96a522ad, v15
	v_xor_b32_e32 v0, v9, v4
	s_cmp_lg_u32 s67, 0
	v_xor_b32_e32 v4, v22, v0
	v_mov_b32_e32 v3, v6
	v_mov_b32_e32 v5, v8
	s_mov_b32 s15, s63
	s_waitcnt lgkmcnt(0)
	s_mul_i32 s49, s33, 3
	s_mov_b32 s66, s63
	s_mov_b64 s[54:55], 0
	s_cselect_b64 s[56:57], -1, 0
	v_mov_b32_e32 v41, v16
	v_mov_b32_e32 v42, v17
	s_branch .LBB11_9
.LBB11_7:                               ;   in Loop: Header=BB11_9 Depth=1
	s_or_b64 exec, exec, s[0:1]
	v_add_u32_e32 v0, s48, v0
	global_store_dword v2, v0, s[28:29]
.LBB11_8:                               ;   in Loop: Header=BB11_9 Depth=1
	s_or_b64 exec, exec, s[36:37]
	v_add_co_u32_e32 v16, vcc, s62, v16
	v_addc_co_u32_e32 v17, vcc, 0, v17, vcc
	v_mov_b32_e32 v9, v18
	v_cmp_le_i64_e32 vcc, s[26:27], v[16:17]
	v_pk_mov_b32 v[2:3], v[6:7], v[6:7] op_sel:[0,1]
	s_or_b64 s[54:55], vcc, s[54:55]
	v_pk_mov_b32 v[4:5], v[8:9], v[8:9] op_sel:[0,1]
	s_barrier
	s_andn2_b64 exec, exec, s[54:55]
	s_cbranch_execz .LBB11_90
.LBB11_9:                               ; =>This Loop Header: Depth=1
                                        ;     Child Loop BB11_24 Depth 2
                                        ;     Child Loop BB11_30 Depth 2
	;; [unrolled: 1-line block ×8, first 2 shown]
	v_add_co_u32_e32 v31, vcc, 1, v31
	v_cndmask_b32_e64 v0, 0, 1, vcc
	v_addc_co_u32_e32 v32, vcc, 0, v32, vcc
	v_cmp_eq_u32_e32 vcc, 0, v32
	v_cndmask_b32_e32 v0, 0, v0, vcc
	v_add_u32_e32 v41, v0, v41
	v_cmp_eq_u32_e32 vcc, 0, v41
	v_cndmask_b32_e32 v0, 0, v0, vcc
	v_mad_u64_u32 v[6:7], s[0:1], v31, s64, 0
	v_mad_u64_u32 v[8:9], s[0:1], v41, s65, 0
	v_add_u32_e32 v42, v0, v42
	v_xor_b32_e32 v0, v9, v14
	v_xor_b32_e32 v7, v7, v15
	v_xor_b32_e32 v0, v32, v0
	v_xor_b32_e32 v7, v42, v7
	v_mad_u64_u32 v[10:11], s[0:1], v0, s64, 0
	v_mad_u64_u32 v[12:13], s[0:1], v7, s65, 0
	v_xor_b32_e32 v0, v30, v13
	v_xor_b32_e32 v7, v33, v11
	v_xor_b32_e32 v0, v0, v8
	v_xor_b32_e32 v8, v7, v6
	v_mad_u64_u32 v[6:7], s[0:1], v0, s64, 0
	v_mad_u64_u32 v[8:9], s[0:1], v8, s65, 0
	;; [unrolled: 6-line block ×9, first 2 shown]
	v_xor_b32_e32 v0, v13, v6
	v_xor_b32_e32 v6, v21, v0
	;; [unrolled: 1-line block ×4, first 2 shown]
	v_mov_b32_e32 v7, v12
	v_mov_b32_e32 v8, v13
	v_cmp_lt_i32_e32 vcc, 1, v20
	s_and_saveexec_b64 s[0:1], vcc
	s_xor_b64 s[0:1], exec, s[0:1]
	s_cbranch_execz .LBB11_15
; %bb.10:                               ;   in Loop: Header=BB11_9 Depth=1
	v_cmp_lt_i32_e32 vcc, 2, v20
	s_and_saveexec_b64 s[2:3], vcc
	s_xor_b64 s[2:3], exec, s[2:3]
; %bb.11:                               ;   in Loop: Header=BB11_9 Depth=1
	v_mov_b32_e32 v10, v5
	v_mov_b32_e32 v11, v6
	v_pk_mov_b32 v[2:3], v[10:11], v[10:11] op_sel:[0,1]
	v_pk_mov_b32 v[4:5], v[12:13], v[12:13] op_sel:[0,1]
                                        ; implicit-def: $vgpr12_vgpr13
; %bb.12:                               ;   in Loop: Header=BB11_9 Depth=1
	s_andn2_saveexec_b64 s[2:3], s[2:3]
; %bb.13:                               ;   in Loop: Header=BB11_9 Depth=1
	v_mov_b32_e32 v2, v4
	v_mov_b32_e32 v3, v5
	v_mov_b32_e32 v4, v6
	v_mov_b32_e32 v5, v12
; %bb.14:                               ;   in Loop: Header=BB11_9 Depth=1
	s_or_b64 exec, exec, s[2:3]
.LBB11_15:                              ;   in Loop: Header=BB11_9 Depth=1
	s_andn2_saveexec_b64 s[0:1], s[0:1]
	s_cbranch_execz .LBB11_19
; %bb.16:                               ;   in Loop: Header=BB11_9 Depth=1
	v_cmp_eq_u32_e32 vcc, 1, v20
	s_and_saveexec_b64 s[2:3], vcc
; %bb.17:                               ;   in Loop: Header=BB11_9 Depth=1
	v_mov_b32_e32 v2, v3
	v_mov_b32_e32 v3, v4
	;; [unrolled: 1-line block ×4, first 2 shown]
; %bb.18:                               ;   in Loop: Header=BB11_9 Depth=1
	s_or_b64 exec, exec, s[2:3]
.LBB11_19:                              ;   in Loop: Header=BB11_9 Depth=1
	s_or_b64 exec, exec, s[0:1]
	v_cndmask_b32_e64 v0, 0, 1, s[40:41]
	v_cmp_gt_i64_e32 vcc, s[24:25], v[16:17]
	v_cmp_ne_u32_e64 s[0:1], 1, v0
	s_and_saveexec_b64 s[2:3], vcc
	s_cbranch_execz .LBB11_37
; %bb.20:                               ;   in Loop: Header=BB11_9 Depth=1
	s_and_b64 vcc, exec, s[0:1]
	s_cbranch_vccnz .LBB11_26
; %bb.21:                               ;   in Loop: Header=BB11_9 Depth=1
	s_andn2_b64 vcc, exec, s[42:43]
	s_cbranch_vccnz .LBB11_27
; %bb.22:                               ;   in Loop: Header=BB11_9 Depth=1
	s_mov_b32 s6, 0
	s_andn2_b64 vcc, exec, s[52:53]
	v_mov_b32_e32 v10, 0
	s_cbranch_vccnz .LBB11_28
; %bb.23:                               ;   in Loop: Header=BB11_9 Depth=1
	s_mov_b32 s69, 0
	v_mov_b32_e32 v10, 0
	s_mov_b64 s[58:59], s[34:35]
	s_mov_b64 s[60:61], s[44:45]
	v_mov_b32_e32 v0, v16
.LBB11_24:                              ;   Parent Loop BB11_9 Depth=1
                                        ; =>  This Inner Loop Header: Depth=2
	s_load_dwordx8 s[16:23], s[58:59], 0x4
	s_load_dwordx4 s[4:7], s[58:59], 0x24
	s_load_dwordx4 s[36:39], s[60:61], 0x0
	s_add_u32 s58, s58, 48
	s_addc_u32 s59, s59, 0
	s_waitcnt lgkmcnt(0)
	v_mul_hi_u32 v9, s17, v0
	v_add_u32_e32 v9, v0, v9
	v_lshrrev_b32_e32 v9, s18, v9
	v_mul_lo_u32 v11, v9, s16
	v_mul_hi_u32 v12, s20, v9
	v_sub_u32_e32 v0, v0, v11
	v_add_u32_e32 v11, v9, v12
	v_lshrrev_b32_e32 v11, s21, v11
	v_mul_lo_u32 v12, v11, s19
	v_mul_hi_u32 v13, s23, v11
	v_sub_u32_e32 v9, v9, v12
	v_add_u32_e32 v12, v11, v13
	v_mul_lo_u32 v0, v0, s36
	v_mul_lo_u32 v9, v9, s37
	v_lshrrev_b32_e32 v12, s4, v12
	v_add3_u32 v9, v0, v10, v9
	v_mul_lo_u32 v0, v12, s22
	v_mul_hi_u32 v10, s6, v12
	v_sub_u32_e32 v0, v11, v0
	v_add_u32_e32 v10, v12, v10
	v_mul_lo_u32 v11, v0, s38
	v_lshrrev_b32_e32 v0, s7, v10
	s_add_i32 s69, s69, 4
	v_mul_lo_u32 v10, v0, s5
	s_add_u32 s60, s60, 16
	v_sub_u32_e32 v10, v12, v10
	s_addc_u32 s61, s61, 0
	v_mul_lo_u32 v10, v10, s39
	s_cmp_lg_u32 s68, s69
	v_add3_u32 v10, v11, v9, v10
	s_cbranch_scc1 .LBB11_24
; %bb.25:                               ;   in Loop: Header=BB11_9 Depth=1
	s_mov_b32 s6, s68
	s_andn2_b64 vcc, exec, s[56:57]
	s_cbranch_vccz .LBB11_29
	s_branch .LBB11_31
.LBB11_26:                              ;   in Loop: Header=BB11_9 Depth=1
                                        ; implicit-def: $vgpr10
	s_branch .LBB11_32
.LBB11_27:                              ;   in Loop: Header=BB11_9 Depth=1
	v_mov_b32_e32 v10, 0
	s_branch .LBB11_31
.LBB11_28:                              ;   in Loop: Header=BB11_9 Depth=1
	v_mov_b32_e32 v0, v16
	s_andn2_b64 vcc, exec, s[56:57]
	s_cbranch_vccnz .LBB11_31
.LBB11_29:                              ;   in Loop: Header=BB11_9 Depth=1
	s_lshl_b32 s4, s6, 2
	s_add_u32 s4, s44, s4
	s_addc_u32 s5, s45, 0
	s_mul_i32 s6, s6, 12
	s_add_u32 s6, s34, s6
	s_addc_u32 s7, s35, 0
	s_mov_b32 s16, s67
.LBB11_30:                              ;   Parent Loop BB11_9 Depth=1
                                        ; =>  This Inner Loop Header: Depth=2
	s_load_dwordx2 s[18:19], s[6:7], 0x4
	s_load_dword s17, s[6:7], 0xc
	s_load_dword s20, s[4:5], 0x0
	s_add_u32 s6, s6, 12
	s_addc_u32 s7, s7, 0
	s_waitcnt lgkmcnt(0)
	v_mul_hi_u32 v9, s19, v0
	v_add_u32_e32 v9, v0, v9
	v_lshrrev_b32_e32 v9, s17, v9
	s_add_u32 s4, s4, 4
	v_mul_lo_u32 v11, v9, s18
	s_addc_u32 s5, s5, 0
	s_add_i32 s16, s16, -1
	v_sub_u32_e32 v11, v0, v11
	s_cmp_lg_u32 s16, 0
	v_mov_b32_e32 v0, v9
	v_mad_u64_u32 v[10:11], s[18:19], v11, s20, v[10:11]
	s_cbranch_scc1 .LBB11_30
.LBB11_31:                              ;   in Loop: Header=BB11_9 Depth=1
	s_cbranch_execnz .LBB11_34
.LBB11_32:                              ;   in Loop: Header=BB11_9 Depth=1
	v_mul_hi_u32 v0, v16, s10
	v_add_u32_e32 v0, v0, v16
	v_lshrrev_b32_e32 v0, s11, v0
	v_mul_lo_u32 v9, v0, s9
	v_sub_u32_e32 v9, v16, v9
	s_andn2_b64 vcc, exec, s[46:47]
	v_mul_lo_u32 v10, v9, s50
	s_cbranch_vccnz .LBB11_34
; %bb.33:                               ;   in Loop: Header=BB11_9 Depth=1
	v_mul_hi_u32 v9, s8, v0
	v_add_u32_e32 v9, v0, v9
	v_lshrrev_b32_e32 v9, s14, v9
	v_mul_lo_u32 v9, v9, s12
	v_sub_u32_e32 v0, v0, v9
	v_mad_u64_u32 v[10:11], s[4:5], v0, s51, v[10:11]
.LBB11_34:                              ;   in Loop: Header=BB11_9 Depth=1
	v_mov_b32_e32 v0, v2
	v_cmp_le_u64_e32 vcc, s[30:31], v[0:1]
	s_and_saveexec_b64 s[4:5], vcc
	s_cbranch_execz .LBB11_36
; %bb.35:                               ;   in Loop: Header=BB11_9 Depth=1
	v_cvt_f32_u32_e32 v2, s30
	s_sub_i32 s6, 0, s30
	v_rcp_iflag_f32_e32 v2, v2
	v_mul_f32_e32 v2, 0x4f7ffffe, v2
	v_cvt_u32_f32_e32 v2, v2
	v_mul_lo_u32 v9, s6, v2
	v_mul_hi_u32 v9, v2, v9
	v_add_u32_e32 v2, v2, v9
	v_mul_hi_u32 v2, v0, v2
	v_mul_lo_u32 v2, v2, s30
	v_sub_u32_e32 v0, v0, v2
	v_subrev_u32_e32 v2, s30, v0
	v_cmp_le_u32_e32 vcc, s30, v0
	v_cndmask_b32_e32 v0, v0, v2, vcc
	v_subrev_u32_e32 v2, s30, v0
	v_cmp_le_u32_e32 vcc, s30, v0
	v_cndmask_b32_e32 v0, v0, v2, vcc
.LBB11_36:                              ;   in Loop: Header=BB11_9 Depth=1
	s_or_b64 exec, exec, s[4:5]
	v_add_u32_e32 v0, s48, v0
	global_store_dword v10, v0, s[28:29]
.LBB11_37:                              ;   in Loop: Header=BB11_9 Depth=1
	s_or_b64 exec, exec, s[2:3]
	v_mov_b32_e32 v0, s63
	v_add_co_u32_e32 v12, vcc, s33, v16
	v_addc_co_u32_e32 v13, vcc, v17, v0, vcc
	v_cmp_gt_i64_e32 vcc, s[24:25], v[12:13]
	s_and_saveexec_b64 s[2:3], vcc
	s_cbranch_execz .LBB11_55
; %bb.38:                               ;   in Loop: Header=BB11_9 Depth=1
	s_and_b64 vcc, exec, s[0:1]
	s_cbranch_vccnz .LBB11_44
; %bb.39:                               ;   in Loop: Header=BB11_9 Depth=1
	s_andn2_b64 vcc, exec, s[42:43]
	s_cbranch_vccnz .LBB11_45
; %bb.40:                               ;   in Loop: Header=BB11_9 Depth=1
	s_mov_b32 s6, 0
	s_andn2_b64 vcc, exec, s[52:53]
	v_mov_b32_e32 v10, 0
	s_cbranch_vccnz .LBB11_46
; %bb.41:                               ;   in Loop: Header=BB11_9 Depth=1
	s_mov_b32 s69, 0
	v_mov_b32_e32 v10, 0
	s_mov_b64 s[58:59], s[34:35]
	s_mov_b64 s[60:61], s[44:45]
	v_mov_b32_e32 v0, v12
.LBB11_42:                              ;   Parent Loop BB11_9 Depth=1
                                        ; =>  This Inner Loop Header: Depth=2
	s_load_dwordx8 s[16:23], s[58:59], 0x4
	s_load_dwordx4 s[4:7], s[58:59], 0x24
	s_load_dwordx4 s[36:39], s[60:61], 0x0
	s_add_u32 s58, s58, 48
	s_addc_u32 s59, s59, 0
	s_waitcnt lgkmcnt(0)
	v_mul_hi_u32 v2, s17, v0
	v_add_u32_e32 v2, v0, v2
	v_lshrrev_b32_e32 v2, s18, v2
	v_mul_lo_u32 v9, v2, s16
	v_mul_hi_u32 v11, s20, v2
	v_sub_u32_e32 v0, v0, v9
	v_add_u32_e32 v9, v2, v11
	v_lshrrev_b32_e32 v9, s21, v9
	v_mul_lo_u32 v11, v9, s19
	v_mul_hi_u32 v13, s23, v9
	v_sub_u32_e32 v2, v2, v11
	v_add_u32_e32 v11, v9, v13
	v_mul_lo_u32 v0, v0, s36
	v_mul_lo_u32 v2, v2, s37
	v_lshrrev_b32_e32 v11, s4, v11
	v_add3_u32 v2, v0, v10, v2
	v_mul_lo_u32 v0, v11, s22
	v_mul_hi_u32 v10, s6, v11
	v_sub_u32_e32 v0, v9, v0
	v_add_u32_e32 v9, v11, v10
	v_mul_lo_u32 v10, v0, s38
	v_lshrrev_b32_e32 v0, s7, v9
	s_add_i32 s69, s69, 4
	v_mul_lo_u32 v9, v0, s5
	s_add_u32 s60, s60, 16
	v_sub_u32_e32 v9, v11, v9
	s_addc_u32 s61, s61, 0
	v_mul_lo_u32 v9, v9, s39
	s_cmp_eq_u32 s68, s69
	v_add3_u32 v10, v10, v2, v9
	s_cbranch_scc0 .LBB11_42
; %bb.43:                               ;   in Loop: Header=BB11_9 Depth=1
	s_mov_b32 s6, s68
	s_andn2_b64 vcc, exec, s[56:57]
	s_cbranch_vccz .LBB11_47
	s_branch .LBB11_49
.LBB11_44:                              ;   in Loop: Header=BB11_9 Depth=1
                                        ; implicit-def: $vgpr10
	s_branch .LBB11_50
.LBB11_45:                              ;   in Loop: Header=BB11_9 Depth=1
	v_mov_b32_e32 v10, 0
	s_branch .LBB11_49
.LBB11_46:                              ;   in Loop: Header=BB11_9 Depth=1
	v_mov_b32_e32 v0, v12
	s_andn2_b64 vcc, exec, s[56:57]
	s_cbranch_vccnz .LBB11_49
.LBB11_47:                              ;   in Loop: Header=BB11_9 Depth=1
	s_lshl_b32 s4, s6, 2
	s_add_u32 s4, s44, s4
	s_addc_u32 s5, s45, 0
	s_mul_i32 s6, s6, 12
	s_add_u32 s6, s34, s6
	s_addc_u32 s7, s35, 0
	s_mov_b32 s16, s67
.LBB11_48:                              ;   Parent Loop BB11_9 Depth=1
                                        ; =>  This Inner Loop Header: Depth=2
	s_load_dwordx2 s[18:19], s[6:7], 0x4
	s_load_dword s17, s[6:7], 0xc
	s_load_dword s20, s[4:5], 0x0
	s_add_u32 s6, s6, 12
	s_addc_u32 s7, s7, 0
	s_waitcnt lgkmcnt(0)
	v_mul_hi_u32 v2, s19, v0
	v_add_u32_e32 v2, v0, v2
	v_lshrrev_b32_e32 v2, s17, v2
	s_add_u32 s4, s4, 4
	v_mul_lo_u32 v9, v2, s18
	s_addc_u32 s5, s5, 0
	s_add_i32 s16, s16, -1
	v_sub_u32_e32 v9, v0, v9
	s_cmp_lg_u32 s16, 0
	v_mov_b32_e32 v0, v2
	v_mad_u64_u32 v[10:11], s[18:19], v9, s20, v[10:11]
	s_cbranch_scc1 .LBB11_48
.LBB11_49:                              ;   in Loop: Header=BB11_9 Depth=1
	s_cbranch_execnz .LBB11_52
.LBB11_50:                              ;   in Loop: Header=BB11_9 Depth=1
	v_mul_hi_u32 v0, v12, s10
	v_add_u32_e32 v0, v0, v12
	v_lshrrev_b32_e32 v0, s11, v0
	v_mul_lo_u32 v2, v0, s9
	v_sub_u32_e32 v2, v12, v2
	s_andn2_b64 vcc, exec, s[46:47]
	v_mul_lo_u32 v10, v2, s50
	s_cbranch_vccnz .LBB11_52
; %bb.51:                               ;   in Loop: Header=BB11_9 Depth=1
	v_mul_hi_u32 v2, s8, v0
	v_add_u32_e32 v2, v0, v2
	v_lshrrev_b32_e32 v2, s14, v2
	v_mul_lo_u32 v2, v2, s12
	v_sub_u32_e32 v0, v0, v2
	v_mad_u64_u32 v[10:11], s[4:5], v0, s51, v[10:11]
.LBB11_52:                              ;   in Loop: Header=BB11_9 Depth=1
	v_mov_b32_e32 v0, v3
	v_cmp_le_u64_e32 vcc, s[30:31], v[0:1]
	s_and_saveexec_b64 s[4:5], vcc
	s_cbranch_execz .LBB11_54
; %bb.53:                               ;   in Loop: Header=BB11_9 Depth=1
	v_cvt_f32_u32_e32 v2, s30
	s_sub_i32 s6, 0, s30
	v_rcp_iflag_f32_e32 v2, v2
	v_mul_f32_e32 v2, 0x4f7ffffe, v2
	v_cvt_u32_f32_e32 v2, v2
	v_mul_lo_u32 v3, s6, v2
	v_mul_hi_u32 v3, v2, v3
	v_add_u32_e32 v2, v2, v3
	v_mul_hi_u32 v2, v0, v2
	v_mul_lo_u32 v2, v2, s30
	v_sub_u32_e32 v0, v0, v2
	v_subrev_u32_e32 v2, s30, v0
	v_cmp_le_u32_e32 vcc, s30, v0
	v_cndmask_b32_e32 v0, v0, v2, vcc
	v_subrev_u32_e32 v2, s30, v0
	v_cmp_le_u32_e32 vcc, s30, v0
	v_cndmask_b32_e32 v0, v0, v2, vcc
.LBB11_54:                              ;   in Loop: Header=BB11_9 Depth=1
	s_or_b64 exec, exec, s[4:5]
	v_add_u32_e32 v0, s48, v0
	global_store_dword v10, v0, s[28:29]
.LBB11_55:                              ;   in Loop: Header=BB11_9 Depth=1
	s_or_b64 exec, exec, s[2:3]
	v_mov_b32_e32 v0, s15
	v_add_co_u32_e32 v10, vcc, s13, v16
	v_addc_co_u32_e32 v11, vcc, v17, v0, vcc
	v_cmp_gt_i64_e32 vcc, s[24:25], v[10:11]
	s_and_saveexec_b64 s[2:3], vcc
	s_cbranch_execz .LBB11_73
; %bb.56:                               ;   in Loop: Header=BB11_9 Depth=1
	s_and_b64 vcc, exec, s[0:1]
	s_cbranch_vccnz .LBB11_62
; %bb.57:                               ;   in Loop: Header=BB11_9 Depth=1
	s_andn2_b64 vcc, exec, s[42:43]
	s_cbranch_vccnz .LBB11_63
; %bb.58:                               ;   in Loop: Header=BB11_9 Depth=1
	s_mov_b32 s6, 0
	s_andn2_b64 vcc, exec, s[52:53]
	v_mov_b32_e32 v2, 0
	s_cbranch_vccnz .LBB11_64
; %bb.59:                               ;   in Loop: Header=BB11_9 Depth=1
	s_mov_b32 s69, 0
	v_mov_b32_e32 v2, 0
	s_mov_b64 s[58:59], s[34:35]
	s_mov_b64 s[60:61], s[44:45]
	v_mov_b32_e32 v0, v10
.LBB11_60:                              ;   Parent Loop BB11_9 Depth=1
                                        ; =>  This Inner Loop Header: Depth=2
	s_load_dwordx8 s[16:23], s[58:59], 0x4
	s_load_dwordx4 s[4:7], s[58:59], 0x24
	s_load_dwordx4 s[36:39], s[60:61], 0x0
	s_add_u32 s58, s58, 48
	s_addc_u32 s59, s59, 0
	s_waitcnt lgkmcnt(0)
	v_mul_hi_u32 v3, s17, v0
	v_add_u32_e32 v3, v0, v3
	v_lshrrev_b32_e32 v3, s18, v3
	v_mul_lo_u32 v9, v3, s16
	v_mul_hi_u32 v11, s20, v3
	v_sub_u32_e32 v0, v0, v9
	v_add_u32_e32 v9, v3, v11
	v_lshrrev_b32_e32 v9, s21, v9
	v_mul_lo_u32 v11, v9, s19
	v_mul_hi_u32 v12, s23, v9
	v_sub_u32_e32 v3, v3, v11
	v_add_u32_e32 v11, v9, v12
	v_mul_lo_u32 v0, v0, s36
	v_mul_lo_u32 v3, v3, s37
	v_lshrrev_b32_e32 v11, s4, v11
	v_add3_u32 v2, v0, v2, v3
	v_mul_lo_u32 v0, v11, s22
	v_mul_hi_u32 v3, s6, v11
	v_sub_u32_e32 v0, v9, v0
	v_add_u32_e32 v3, v11, v3
	v_mul_lo_u32 v9, v0, s38
	v_lshrrev_b32_e32 v0, s7, v3
	s_add_i32 s69, s69, 4
	v_mul_lo_u32 v3, v0, s5
	s_add_u32 s60, s60, 16
	v_sub_u32_e32 v3, v11, v3
	s_addc_u32 s61, s61, 0
	v_mul_lo_u32 v3, v3, s39
	s_cmp_eq_u32 s68, s69
	v_add3_u32 v2, v9, v2, v3
	s_cbranch_scc0 .LBB11_60
; %bb.61:                               ;   in Loop: Header=BB11_9 Depth=1
	s_mov_b32 s6, s68
	s_andn2_b64 vcc, exec, s[56:57]
	s_cbranch_vccz .LBB11_65
	s_branch .LBB11_67
.LBB11_62:                              ;   in Loop: Header=BB11_9 Depth=1
                                        ; implicit-def: $vgpr2
	s_branch .LBB11_68
.LBB11_63:                              ;   in Loop: Header=BB11_9 Depth=1
	v_mov_b32_e32 v2, 0
	s_branch .LBB11_67
.LBB11_64:                              ;   in Loop: Header=BB11_9 Depth=1
	v_mov_b32_e32 v0, v10
	s_andn2_b64 vcc, exec, s[56:57]
	s_cbranch_vccnz .LBB11_67
.LBB11_65:                              ;   in Loop: Header=BB11_9 Depth=1
	s_lshl_b32 s4, s6, 2
	s_add_u32 s4, s44, s4
	s_addc_u32 s5, s45, 0
	s_mul_i32 s6, s6, 12
	s_add_u32 s6, s34, s6
	s_addc_u32 s7, s35, 0
	s_mov_b32 s16, s67
.LBB11_66:                              ;   Parent Loop BB11_9 Depth=1
                                        ; =>  This Inner Loop Header: Depth=2
	s_load_dwordx2 s[18:19], s[6:7], 0x4
	s_load_dword s17, s[6:7], 0xc
	s_load_dword s20, s[4:5], 0x0
	s_add_u32 s6, s6, 12
	s_addc_u32 s7, s7, 0
	s_waitcnt lgkmcnt(0)
	v_mul_hi_u32 v3, s19, v0
	v_add_u32_e32 v3, v0, v3
	v_lshrrev_b32_e32 v3, s17, v3
	s_add_u32 s4, s4, 4
	v_mul_lo_u32 v9, v3, s18
	s_addc_u32 s5, s5, 0
	s_add_i32 s16, s16, -1
	v_sub_u32_e32 v9, v0, v9
	s_cmp_lg_u32 s16, 0
	v_mov_b32_e32 v0, v3
	v_mad_u64_u32 v[2:3], s[18:19], v9, s20, v[2:3]
	s_cbranch_scc1 .LBB11_66
.LBB11_67:                              ;   in Loop: Header=BB11_9 Depth=1
	s_cbranch_execnz .LBB11_70
.LBB11_68:                              ;   in Loop: Header=BB11_9 Depth=1
	v_mul_hi_u32 v0, v10, s10
	v_add_u32_e32 v0, v0, v10
	v_lshrrev_b32_e32 v0, s11, v0
	v_mul_lo_u32 v2, v0, s9
	v_sub_u32_e32 v2, v10, v2
	s_andn2_b64 vcc, exec, s[46:47]
	v_mul_lo_u32 v2, v2, s50
	s_cbranch_vccnz .LBB11_70
; %bb.69:                               ;   in Loop: Header=BB11_9 Depth=1
	v_mul_hi_u32 v3, s8, v0
	v_add_u32_e32 v3, v0, v3
	v_lshrrev_b32_e32 v3, s14, v3
	v_mul_lo_u32 v3, v3, s12
	v_sub_u32_e32 v0, v0, v3
	v_mad_u64_u32 v[2:3], s[4:5], v0, s51, v[2:3]
.LBB11_70:                              ;   in Loop: Header=BB11_9 Depth=1
	v_mov_b32_e32 v0, v4
	v_cmp_le_u64_e32 vcc, s[30:31], v[0:1]
	s_and_saveexec_b64 s[4:5], vcc
	s_cbranch_execz .LBB11_72
; %bb.71:                               ;   in Loop: Header=BB11_9 Depth=1
	v_cvt_f32_u32_e32 v3, s30
	s_sub_i32 s6, 0, s30
	v_rcp_iflag_f32_e32 v3, v3
	v_mul_f32_e32 v3, 0x4f7ffffe, v3
	v_cvt_u32_f32_e32 v3, v3
	v_mul_lo_u32 v4, s6, v3
	v_mul_hi_u32 v4, v3, v4
	v_add_u32_e32 v3, v3, v4
	v_mul_hi_u32 v3, v0, v3
	v_mul_lo_u32 v3, v3, s30
	v_sub_u32_e32 v0, v0, v3
	v_subrev_u32_e32 v3, s30, v0
	v_cmp_le_u32_e32 vcc, s30, v0
	v_cndmask_b32_e32 v0, v0, v3, vcc
	v_subrev_u32_e32 v3, s30, v0
	v_cmp_le_u32_e32 vcc, s30, v0
	v_cndmask_b32_e32 v0, v0, v3, vcc
.LBB11_72:                              ;   in Loop: Header=BB11_9 Depth=1
	s_or_b64 exec, exec, s[4:5]
	v_add_u32_e32 v0, s48, v0
	global_store_dword v2, v0, s[28:29]
.LBB11_73:                              ;   in Loop: Header=BB11_9 Depth=1
	s_or_b64 exec, exec, s[2:3]
	v_mov_b32_e32 v0, s66
	v_add_co_u32_e32 v10, vcc, s49, v16
	v_addc_co_u32_e32 v11, vcc, v17, v0, vcc
	v_cmp_gt_i64_e32 vcc, s[24:25], v[10:11]
	s_and_saveexec_b64 s[36:37], vcc
	s_cbranch_execz .LBB11_8
; %bb.74:                               ;   in Loop: Header=BB11_9 Depth=1
	s_and_b64 vcc, exec, s[0:1]
	s_cbranch_vccnz .LBB11_80
; %bb.75:                               ;   in Loop: Header=BB11_9 Depth=1
	s_andn2_b64 vcc, exec, s[42:43]
	s_cbranch_vccnz .LBB11_81
; %bb.76:                               ;   in Loop: Header=BB11_9 Depth=1
	s_mov_b32 s2, 0
	s_andn2_b64 vcc, exec, s[52:53]
	v_mov_b32_e32 v2, 0
	s_cbranch_vccnz .LBB11_82
; %bb.77:                               ;   in Loop: Header=BB11_9 Depth=1
	s_mov_b32 s60, 0
	v_mov_b32_e32 v2, 0
	s_mov_b64 s[38:39], s[34:35]
	s_mov_b64 s[58:59], s[44:45]
	v_mov_b32_e32 v0, v10
.LBB11_78:                              ;   Parent Loop BB11_9 Depth=1
                                        ; =>  This Inner Loop Header: Depth=2
	s_load_dwordx8 s[0:7], s[38:39], 0x4
	s_load_dwordx4 s[16:19], s[38:39], 0x24
	s_load_dwordx4 s[20:23], s[58:59], 0x0
	s_add_u32 s38, s38, 48
	s_addc_u32 s39, s39, 0
	s_waitcnt lgkmcnt(0)
	v_mul_hi_u32 v3, s1, v0
	v_add_u32_e32 v3, v0, v3
	v_lshrrev_b32_e32 v3, s2, v3
	v_mul_lo_u32 v4, v3, s0
	v_mul_hi_u32 v9, s4, v3
	v_sub_u32_e32 v0, v0, v4
	v_add_u32_e32 v4, v3, v9
	v_lshrrev_b32_e32 v4, s5, v4
	v_mul_lo_u32 v9, v4, s3
	v_mul_hi_u32 v11, s7, v4
	v_sub_u32_e32 v3, v3, v9
	v_add_u32_e32 v9, v4, v11
	v_mul_lo_u32 v0, v0, s20
	v_mul_lo_u32 v3, v3, s21
	v_lshrrev_b32_e32 v9, s16, v9
	v_add3_u32 v2, v0, v2, v3
	v_mul_lo_u32 v0, v9, s6
	v_mul_hi_u32 v3, s18, v9
	v_sub_u32_e32 v0, v4, v0
	v_add_u32_e32 v3, v9, v3
	v_mul_lo_u32 v4, v0, s22
	v_lshrrev_b32_e32 v0, s19, v3
	s_add_i32 s60, s60, 4
	v_mul_lo_u32 v3, v0, s17
	s_add_u32 s58, s58, 16
	v_sub_u32_e32 v3, v9, v3
	s_addc_u32 s59, s59, 0
	v_mul_lo_u32 v3, v3, s23
	s_cmp_eq_u32 s68, s60
	v_add3_u32 v2, v4, v2, v3
	s_cbranch_scc0 .LBB11_78
; %bb.79:                               ;   in Loop: Header=BB11_9 Depth=1
	s_mov_b32 s2, s68
	s_andn2_b64 vcc, exec, s[56:57]
	s_cbranch_vccz .LBB11_83
	s_branch .LBB11_85
.LBB11_80:                              ;   in Loop: Header=BB11_9 Depth=1
                                        ; implicit-def: $vgpr2
	s_branch .LBB11_86
.LBB11_81:                              ;   in Loop: Header=BB11_9 Depth=1
	v_mov_b32_e32 v2, 0
	s_branch .LBB11_85
.LBB11_82:                              ;   in Loop: Header=BB11_9 Depth=1
	v_mov_b32_e32 v0, v10
	s_andn2_b64 vcc, exec, s[56:57]
	s_cbranch_vccnz .LBB11_85
.LBB11_83:                              ;   in Loop: Header=BB11_9 Depth=1
	s_lshl_b32 s0, s2, 2
	s_add_u32 s0, s44, s0
	s_addc_u32 s1, s45, 0
	s_mul_i32 s2, s2, 12
	s_add_u32 s2, s34, s2
	s_addc_u32 s3, s35, 0
	s_mov_b32 s4, s67
.LBB11_84:                              ;   Parent Loop BB11_9 Depth=1
                                        ; =>  This Inner Loop Header: Depth=2
	s_load_dwordx2 s[6:7], s[2:3], 0x4
	s_load_dword s5, s[2:3], 0xc
	s_load_dword s16, s[0:1], 0x0
	s_add_u32 s2, s2, 12
	s_addc_u32 s3, s3, 0
	s_waitcnt lgkmcnt(0)
	v_mul_hi_u32 v3, s7, v0
	v_add_u32_e32 v3, v0, v3
	v_lshrrev_b32_e32 v3, s5, v3
	s_add_u32 s0, s0, 4
	v_mul_lo_u32 v4, v3, s6
	s_addc_u32 s1, s1, 0
	s_add_i32 s4, s4, -1
	v_sub_u32_e32 v4, v0, v4
	s_cmp_lg_u32 s4, 0
	v_mov_b32_e32 v0, v3
	v_mad_u64_u32 v[2:3], s[6:7], v4, s16, v[2:3]
	s_cbranch_scc1 .LBB11_84
.LBB11_85:                              ;   in Loop: Header=BB11_9 Depth=1
	s_cbranch_execnz .LBB11_88
.LBB11_86:                              ;   in Loop: Header=BB11_9 Depth=1
	v_mul_hi_u32 v0, v10, s10
	v_add_u32_e32 v0, v0, v10
	v_lshrrev_b32_e32 v0, s11, v0
	v_mul_lo_u32 v2, v0, s9
	v_sub_u32_e32 v2, v10, v2
	s_andn2_b64 vcc, exec, s[46:47]
	v_mul_lo_u32 v2, v2, s50
	s_cbranch_vccnz .LBB11_88
; %bb.87:                               ;   in Loop: Header=BB11_9 Depth=1
	v_mul_hi_u32 v3, s8, v0
	v_add_u32_e32 v3, v0, v3
	v_lshrrev_b32_e32 v3, s14, v3
	v_mul_lo_u32 v3, v3, s12
	v_sub_u32_e32 v0, v0, v3
	v_mad_u64_u32 v[2:3], s[0:1], v0, s51, v[2:3]
.LBB11_88:                              ;   in Loop: Header=BB11_9 Depth=1
	v_mov_b32_e32 v0, v5
	v_cmp_le_u64_e32 vcc, s[30:31], v[0:1]
	s_and_saveexec_b64 s[0:1], vcc
	s_cbranch_execz .LBB11_7
; %bb.89:                               ;   in Loop: Header=BB11_9 Depth=1
	v_cvt_f32_u32_e32 v3, s30
	s_sub_i32 s2, 0, s30
	v_rcp_iflag_f32_e32 v3, v3
	v_mul_f32_e32 v3, 0x4f7ffffe, v3
	v_cvt_u32_f32_e32 v3, v3
	v_mul_lo_u32 v4, s2, v3
	v_mul_hi_u32 v4, v3, v4
	v_add_u32_e32 v3, v3, v4
	v_mul_hi_u32 v3, v0, v3
	v_mul_lo_u32 v3, v3, s30
	v_sub_u32_e32 v0, v0, v3
	v_subrev_u32_e32 v3, s30, v0
	v_cmp_le_u32_e32 vcc, s30, v0
	v_cndmask_b32_e32 v0, v0, v3, vcc
	v_subrev_u32_e32 v3, s30, v0
	v_cmp_le_u32_e32 vcc, s30, v0
	v_cndmask_b32_e32 v0, v0, v3, vcc
	s_branch .LBB11_7
.LBB11_90:
	s_endpgm
.LBB11_91:
                                        ; implicit-def: $sgpr2_sgpr3
	s_andn2_b64 vcc, exec, s[0:1]
	s_cbranch_vccz .LBB11_4
	s_branch .LBB11_5
	.section	.rodata,"a",@progbits
	.p2align	6, 0x0
	.amdhsa_kernel _ZN2at6native12_GLOBAL__N_143distribution_elementwise_grid_stride_kernelIjLi4EZZZNS0_9templates4cuda21random_from_to_kernelIPNS_17CUDAGeneratorImplEEEvRNS_18TensorIteratorBaseEmlT_ENKUlvE_clEvENKUlvE1_clEvEUlP25hiprandStatePhilox4_32_10E0_ZNS1_27distribution_nullary_kernelIij15HIP_vector_typeIjLj4EES7_SF_ZZZNS5_IS7_EEvS9_mlSA_ENKSB_clEvENKSC_clEvEUljE_EEvS9_T2_RKT3_T4_EUlijE0_EEvlNS_15PhiloxCudaStateET1_SK_
		.amdhsa_group_segment_fixed_size 0
		.amdhsa_private_segment_fixed_size 0
		.amdhsa_kernarg_size 592
		.amdhsa_user_sgpr_count 6
		.amdhsa_user_sgpr_private_segment_buffer 1
		.amdhsa_user_sgpr_dispatch_ptr 0
		.amdhsa_user_sgpr_queue_ptr 0
		.amdhsa_user_sgpr_kernarg_segment_ptr 1
		.amdhsa_user_sgpr_dispatch_id 0
		.amdhsa_user_sgpr_flat_scratch_init 0
		.amdhsa_user_sgpr_kernarg_preload_length 0
		.amdhsa_user_sgpr_kernarg_preload_offset 0
		.amdhsa_user_sgpr_private_segment_size 0
		.amdhsa_uses_dynamic_stack 0
		.amdhsa_system_sgpr_private_segment_wavefront_offset 0
		.amdhsa_system_sgpr_workgroup_id_x 1
		.amdhsa_system_sgpr_workgroup_id_y 0
		.amdhsa_system_sgpr_workgroup_id_z 0
		.amdhsa_system_sgpr_workgroup_info 0
		.amdhsa_system_vgpr_workitem_id 0
		.amdhsa_next_free_vgpr 43
		.amdhsa_next_free_sgpr 70
		.amdhsa_accum_offset 44
		.amdhsa_reserve_vcc 1
		.amdhsa_reserve_flat_scratch 0
		.amdhsa_float_round_mode_32 0
		.amdhsa_float_round_mode_16_64 0
		.amdhsa_float_denorm_mode_32 3
		.amdhsa_float_denorm_mode_16_64 3
		.amdhsa_dx10_clamp 1
		.amdhsa_ieee_mode 1
		.amdhsa_fp16_overflow 0
		.amdhsa_tg_split 0
		.amdhsa_exception_fp_ieee_invalid_op 0
		.amdhsa_exception_fp_denorm_src 0
		.amdhsa_exception_fp_ieee_div_zero 0
		.amdhsa_exception_fp_ieee_overflow 0
		.amdhsa_exception_fp_ieee_underflow 0
		.amdhsa_exception_fp_ieee_inexact 0
		.amdhsa_exception_int_div_zero 0
	.end_amdhsa_kernel
	.section	.text._ZN2at6native12_GLOBAL__N_143distribution_elementwise_grid_stride_kernelIjLi4EZZZNS0_9templates4cuda21random_from_to_kernelIPNS_17CUDAGeneratorImplEEEvRNS_18TensorIteratorBaseEmlT_ENKUlvE_clEvENKUlvE1_clEvEUlP25hiprandStatePhilox4_32_10E0_ZNS1_27distribution_nullary_kernelIij15HIP_vector_typeIjLj4EES7_SF_ZZZNS5_IS7_EEvS9_mlSA_ENKSB_clEvENKSC_clEvEUljE_EEvS9_T2_RKT3_T4_EUlijE0_EEvlNS_15PhiloxCudaStateET1_SK_,"axG",@progbits,_ZN2at6native12_GLOBAL__N_143distribution_elementwise_grid_stride_kernelIjLi4EZZZNS0_9templates4cuda21random_from_to_kernelIPNS_17CUDAGeneratorImplEEEvRNS_18TensorIteratorBaseEmlT_ENKUlvE_clEvENKUlvE1_clEvEUlP25hiprandStatePhilox4_32_10E0_ZNS1_27distribution_nullary_kernelIij15HIP_vector_typeIjLj4EES7_SF_ZZZNS5_IS7_EEvS9_mlSA_ENKSB_clEvENKSC_clEvEUljE_EEvS9_T2_RKT3_T4_EUlijE0_EEvlNS_15PhiloxCudaStateET1_SK_,comdat
.Lfunc_end11:
	.size	_ZN2at6native12_GLOBAL__N_143distribution_elementwise_grid_stride_kernelIjLi4EZZZNS0_9templates4cuda21random_from_to_kernelIPNS_17CUDAGeneratorImplEEEvRNS_18TensorIteratorBaseEmlT_ENKUlvE_clEvENKUlvE1_clEvEUlP25hiprandStatePhilox4_32_10E0_ZNS1_27distribution_nullary_kernelIij15HIP_vector_typeIjLj4EES7_SF_ZZZNS5_IS7_EEvS9_mlSA_ENKSB_clEvENKSC_clEvEUljE_EEvS9_T2_RKT3_T4_EUlijE0_EEvlNS_15PhiloxCudaStateET1_SK_, .Lfunc_end11-_ZN2at6native12_GLOBAL__N_143distribution_elementwise_grid_stride_kernelIjLi4EZZZNS0_9templates4cuda21random_from_to_kernelIPNS_17CUDAGeneratorImplEEEvRNS_18TensorIteratorBaseEmlT_ENKUlvE_clEvENKUlvE1_clEvEUlP25hiprandStatePhilox4_32_10E0_ZNS1_27distribution_nullary_kernelIij15HIP_vector_typeIjLj4EES7_SF_ZZZNS5_IS7_EEvS9_mlSA_ENKSB_clEvENKSC_clEvEUljE_EEvS9_T2_RKT3_T4_EUlijE0_EEvlNS_15PhiloxCudaStateET1_SK_
                                        ; -- End function
	.section	.AMDGPU.csdata,"",@progbits
; Kernel info:
; codeLenInByte = 4756
; NumSgprs: 74
; NumVgprs: 43
; NumAgprs: 0
; TotalNumVgprs: 43
; ScratchSize: 0
; MemoryBound: 0
; FloatMode: 240
; IeeeMode: 1
; LDSByteSize: 0 bytes/workgroup (compile time only)
; SGPRBlocks: 9
; VGPRBlocks: 5
; NumSGPRsForWavesPerEU: 74
; NumVGPRsForWavesPerEU: 43
; AccumOffset: 44
; Occupancy: 8
; WaveLimiterHint : 1
; COMPUTE_PGM_RSRC2:SCRATCH_EN: 0
; COMPUTE_PGM_RSRC2:USER_SGPR: 6
; COMPUTE_PGM_RSRC2:TRAP_HANDLER: 0
; COMPUTE_PGM_RSRC2:TGID_X_EN: 1
; COMPUTE_PGM_RSRC2:TGID_Y_EN: 0
; COMPUTE_PGM_RSRC2:TGID_Z_EN: 0
; COMPUTE_PGM_RSRC2:TIDIG_COMP_CNT: 0
; COMPUTE_PGM_RSRC3_GFX90A:ACCUM_OFFSET: 10
; COMPUTE_PGM_RSRC3_GFX90A:TG_SPLIT: 0
	.section	.text._ZN2at6native12_GLOBAL__N_143distribution_elementwise_grid_stride_kernelImLi2EZZZNS0_9templates4cuda21random_from_to_kernelIPNS_17CUDAGeneratorImplEEEvRNS_18TensorIteratorBaseEmlT_ENKUlvE_clEvENKUlvE2_clEvEUlP25hiprandStatePhilox4_32_10E_ZNS1_27distribution_nullary_kernelIlm15HIP_vector_typeIyLj2EES7_SF_ZZZNS5_IS7_EEvS9_mlSA_ENKSB_clEvENKSC_clEvEUlmE_EEvS9_T2_RKT3_T4_EUlimE_EEvlNS_15PhiloxCudaStateET1_SK_,"axG",@progbits,_ZN2at6native12_GLOBAL__N_143distribution_elementwise_grid_stride_kernelImLi2EZZZNS0_9templates4cuda21random_from_to_kernelIPNS_17CUDAGeneratorImplEEEvRNS_18TensorIteratorBaseEmlT_ENKUlvE_clEvENKUlvE2_clEvEUlP25hiprandStatePhilox4_32_10E_ZNS1_27distribution_nullary_kernelIlm15HIP_vector_typeIyLj2EES7_SF_ZZZNS5_IS7_EEvS9_mlSA_ENKSB_clEvENKSC_clEvEUlmE_EEvS9_T2_RKT3_T4_EUlimE_EEvlNS_15PhiloxCudaStateET1_SK_,comdat
	.globl	_ZN2at6native12_GLOBAL__N_143distribution_elementwise_grid_stride_kernelImLi2EZZZNS0_9templates4cuda21random_from_to_kernelIPNS_17CUDAGeneratorImplEEEvRNS_18TensorIteratorBaseEmlT_ENKUlvE_clEvENKUlvE2_clEvEUlP25hiprandStatePhilox4_32_10E_ZNS1_27distribution_nullary_kernelIlm15HIP_vector_typeIyLj2EES7_SF_ZZZNS5_IS7_EEvS9_mlSA_ENKSB_clEvENKSC_clEvEUlmE_EEvS9_T2_RKT3_T4_EUlimE_EEvlNS_15PhiloxCudaStateET1_SK_ ; -- Begin function _ZN2at6native12_GLOBAL__N_143distribution_elementwise_grid_stride_kernelImLi2EZZZNS0_9templates4cuda21random_from_to_kernelIPNS_17CUDAGeneratorImplEEEvRNS_18TensorIteratorBaseEmlT_ENKUlvE_clEvENKUlvE2_clEvEUlP25hiprandStatePhilox4_32_10E_ZNS1_27distribution_nullary_kernelIlm15HIP_vector_typeIyLj2EES7_SF_ZZZNS5_IS7_EEvS9_mlSA_ENKSB_clEvENKSC_clEvEUlmE_EEvS9_T2_RKT3_T4_EUlimE_EEvlNS_15PhiloxCudaStateET1_SK_
	.p2align	8
	.type	_ZN2at6native12_GLOBAL__N_143distribution_elementwise_grid_stride_kernelImLi2EZZZNS0_9templates4cuda21random_from_to_kernelIPNS_17CUDAGeneratorImplEEEvRNS_18TensorIteratorBaseEmlT_ENKUlvE_clEvENKUlvE2_clEvEUlP25hiprandStatePhilox4_32_10E_ZNS1_27distribution_nullary_kernelIlm15HIP_vector_typeIyLj2EES7_SF_ZZZNS5_IS7_EEvS9_mlSA_ENKSB_clEvENKSC_clEvEUlmE_EEvS9_T2_RKT3_T4_EUlimE_EEvlNS_15PhiloxCudaStateET1_SK_,@function
_ZN2at6native12_GLOBAL__N_143distribution_elementwise_grid_stride_kernelImLi2EZZZNS0_9templates4cuda21random_from_to_kernelIPNS_17CUDAGeneratorImplEEEvRNS_18TensorIteratorBaseEmlT_ENKUlvE_clEvENKUlvE2_clEvEUlP25hiprandStatePhilox4_32_10E_ZNS1_27distribution_nullary_kernelIlm15HIP_vector_typeIyLj2EES7_SF_ZZZNS5_IS7_EEvS9_mlSA_ENKSB_clEvENKSC_clEvEUlmE_EEvS9_T2_RKT3_T4_EUlimE_EEvlNS_15PhiloxCudaStateET1_SK_: ; @_ZN2at6native12_GLOBAL__N_143distribution_elementwise_grid_stride_kernelImLi2EZZZNS0_9templates4cuda21random_from_to_kernelIPNS_17CUDAGeneratorImplEEEvRNS_18TensorIteratorBaseEmlT_ENKUlvE_clEvENKUlvE2_clEvEUlP25hiprandStatePhilox4_32_10E_ZNS1_27distribution_nullary_kernelIlm15HIP_vector_typeIyLj2EES7_SF_ZZZNS5_IS7_EEvS9_mlSA_ENKSB_clEvENKSC_clEvEUlmE_EEvS9_T2_RKT3_T4_EUlimE_EEvlNS_15PhiloxCudaStateET1_SK_
; %bb.0:
	s_load_dword s2, s[4:5], 0x20
	s_load_dwordx2 s[0:1], s[4:5], 0x10
	s_load_dwordx4 s[8:11], s[4:5], 0x0
	s_waitcnt lgkmcnt(0)
	s_bitcmp0_b32 s2, 0
	s_mov_b32 s2, 0
	v_pk_mov_b32 v[2:3], s[0:1], s[0:1] op_sel:[0,1]
	v_pk_mov_b32 v[14:15], s[10:11], s[10:11] op_sel:[0,1]
	s_cbranch_scc1 .LBB12_2
; %bb.1:
	v_pk_mov_b32 v[2:3], s[0:1], s[0:1] op_sel:[0,1]
	flat_load_dwordx2 v[2:3], v[2:3]
	v_pk_mov_b32 v[4:5], s[10:11], s[10:11] op_sel:[0,1]
	flat_load_dwordx2 v[14:15], v[4:5]
	s_load_dwordx2 s[0:1], s[4:5], 0x18
	s_waitcnt lgkmcnt(0)
	v_mov_b32_e32 v1, s1
	s_waitcnt vmcnt(0)
	v_add_co_u32_e32 v2, vcc, s0, v2
	v_addc_co_u32_e32 v3, vcc, v3, v1, vcc
.LBB12_2:
	s_load_dword s0, s[4:5], 0x5c
	s_load_dword s18, s[4:5], 0x50
	s_waitcnt lgkmcnt(0)
	s_and_b32 s7, s0, 0xffff
	s_add_u32 s10, s8, -1
	s_mul_i32 s20, s18, s7
	s_addc_u32 s3, s9, -1
	s_lshl_b32 s21, s20, 1
	s_cmp_lg_u64 s[2:3], 0
	s_mov_b64 s[0:1], -1
	s_cbranch_scc0 .LBB12_31
; %bb.3:
	v_cvt_f32_u32_e32 v1, s21
	v_cvt_f32_ubyte0_e32 v4, 0
	s_sub_u32 s2, 0, s21
	s_subb_u32 s11, 0, 0
	v_madmk_f32 v1, v4, 0x4f800000, v1
	v_rcp_f32_e32 v1, v1
	v_mul_f32_e32 v1, 0x5f7ffffc, v1
	v_mul_f32_e32 v4, 0x2f800000, v1
	v_trunc_f32_e32 v4, v4
	v_madmk_f32 v1, v4, 0xcf800000, v1
	v_cvt_u32_f32_e32 v4, v4
	v_cvt_u32_f32_e32 v1, v1
	v_readfirstlane_b32 s12, v4
	v_readfirstlane_b32 s13, v1
	s_mul_i32 s14, s2, s12
	s_mul_hi_u32 s16, s2, s13
	s_mul_i32 s15, s11, s13
	s_add_i32 s14, s16, s14
	s_add_i32 s14, s14, s15
	s_mul_i32 s17, s2, s13
	s_mul_hi_u32 s15, s13, s14
	s_mul_i32 s16, s13, s14
	s_mul_hi_u32 s13, s13, s17
	s_add_u32 s13, s13, s16
	s_addc_u32 s15, 0, s15
	s_mul_hi_u32 s19, s12, s17
	s_mul_i32 s17, s12, s17
	s_add_u32 s13, s13, s17
	s_mul_hi_u32 s16, s12, s14
	s_addc_u32 s13, s15, s19
	s_addc_u32 s15, s16, 0
	s_mul_i32 s14, s12, s14
	s_add_u32 s13, s13, s14
	s_addc_u32 s14, 0, s15
	v_add_co_u32_e32 v1, vcc, s13, v1
	s_cmp_lg_u64 vcc, 0
	s_addc_u32 s12, s12, s14
	v_readfirstlane_b32 s14, v1
	s_mul_i32 s13, s2, s12
	s_mul_hi_u32 s15, s2, s14
	s_add_i32 s13, s15, s13
	s_mul_i32 s11, s11, s14
	s_add_i32 s13, s13, s11
	s_mul_i32 s2, s2, s14
	s_mul_hi_u32 s15, s12, s2
	s_mul_i32 s16, s12, s2
	s_mul_i32 s19, s14, s13
	s_mul_hi_u32 s2, s14, s2
	s_mul_hi_u32 s17, s14, s13
	s_add_u32 s2, s2, s19
	s_addc_u32 s14, 0, s17
	s_add_u32 s2, s2, s16
	s_mul_hi_u32 s11, s12, s13
	s_addc_u32 s2, s14, s15
	s_addc_u32 s11, s11, 0
	s_mul_i32 s13, s12, s13
	s_add_u32 s2, s2, s13
	s_addc_u32 s11, 0, s11
	v_add_co_u32_e32 v1, vcc, s2, v1
	s_cmp_lg_u64 vcc, 0
	s_addc_u32 s11, s12, s11
	s_ashr_i32 s12, s3, 31
	s_add_u32 s2, s10, s12
	s_mov_b32 s13, s12
	s_addc_u32 s3, s3, s12
	s_xor_b64 s[2:3], s[2:3], s[12:13]
	v_readfirstlane_b32 s16, v1
	s_mul_i32 s15, s2, s11
	s_mul_hi_u32 s17, s2, s16
	s_mul_hi_u32 s14, s2, s11
	s_add_u32 s15, s17, s15
	s_addc_u32 s14, 0, s14
	s_mul_hi_u32 s19, s3, s16
	s_mul_i32 s16, s3, s16
	s_add_u32 s15, s15, s16
	s_mul_hi_u32 s17, s3, s11
	s_addc_u32 s14, s14, s19
	s_addc_u32 s15, s17, 0
	s_mul_i32 s11, s3, s11
	s_add_u32 s11, s14, s11
	s_addc_u32 s14, 0, s15
	s_add_u32 s15, s11, 1
	s_addc_u32 s16, s14, 0
	s_add_u32 s17, s11, 2
	s_mul_i32 s22, s21, s14
	s_mul_hi_u32 s23, s21, s11
	s_addc_u32 s19, s14, 0
	s_add_i32 s23, s23, s22
	s_mul_i32 s22, s21, s11
	v_mov_b32_e32 v1, s22
	v_sub_co_u32_e32 v1, vcc, s2, v1
	s_cmp_lg_u64 vcc, 0
	s_subb_u32 s2, s3, s23
	v_subrev_co_u32_e32 v4, vcc, s21, v1
	s_cmp_lg_u64 vcc, 0
	s_subb_u32 s3, s2, 0
	v_readfirstlane_b32 s22, v4
	s_cmp_ge_u32 s22, s21
	s_cselect_b32 s22, -1, 0
	s_cmp_eq_u32 s3, 0
	s_cselect_b32 s3, s22, -1
	s_cmp_lg_u32 s3, 0
	s_cselect_b32 s3, s19, s16
	v_readfirstlane_b32 s16, v1
	s_cselect_b32 s15, s17, s15
	s_cmp_ge_u32 s16, s21
	s_cselect_b32 s16, -1, 0
	s_cmp_eq_u32 s2, 0
	s_cselect_b32 s2, s16, -1
	s_cmp_lg_u32 s2, 0
	s_cselect_b32 s3, s3, s14
	s_cselect_b32 s2, s15, s11
	s_xor_b64 s[2:3], s[2:3], s[12:13]
	s_sub_u32 s2, s2, s12
	s_subb_u32 s3, s3, s12
	s_cbranch_execnz .LBB12_5
.LBB12_4:
	v_cvt_f32_u32_e32 v1, s21
	s_sub_i32 s0, 0, s21
	s_mov_b32 s3, 0
	v_rcp_iflag_f32_e32 v1, v1
	v_mul_f32_e32 v1, 0x4f7ffffe, v1
	v_cvt_u32_f32_e32 v1, v1
	v_readfirstlane_b32 s1, v1
	s_mul_i32 s0, s0, s1
	s_mul_hi_u32 s0, s1, s0
	s_add_i32 s1, s1, s0
	s_mul_hi_u32 s0, s10, s1
	s_mul_i32 s2, s0, s21
	s_sub_i32 s2, s10, s2
	s_add_i32 s1, s0, 1
	s_sub_i32 s10, s2, s21
	s_cmp_ge_u32 s2, s21
	s_cselect_b32 s0, s1, s0
	s_cselect_b32 s2, s10, s2
	s_add_i32 s1, s0, 1
	s_cmp_ge_u32 s2, s21
	s_cselect_b32 s2, s1, s0
.LBB12_5:
	v_mov_b32_e32 v16, 0
	v_mov_b32_e32 v1, v16
	;; [unrolled: 1-line block ×3, first 2 shown]
	v_mad_u64_u32 v[18:19], s[0:1], s7, v4, v[0:1]
	s_add_u32 s0, s2, 1
	s_addc_u32 s1, s3, 0
	s_mul_hi_u32 s2, s18, s7
	s_mul_i32 s1, s20, s1
	s_mul_hi_u32 s3, s20, s0
	s_add_i32 s1, s3, s1
	s_mul_i32 s2, s2, s0
	s_add_i32 s1, s1, s2
	s_mul_i32 s0, s20, s0
	s_lshl_b64 s[10:11], s[0:1], 1
	v_cmp_gt_i64_e32 vcc, s[10:11], v[18:19]
	s_and_saveexec_b64 s[0:1], vcc
	s_cbranch_execz .LBB12_30
; %bb.6:
	v_mov_b32_e32 v4, v15
	s_mov_b32 s0, 0xdb3d7428
	v_add_co_u32_e32 v23, vcc, s0, v4
	s_mov_b32 s0, 0x5384540f
	v_add_co_u32_e32 v24, vcc, s0, v14
	s_mov_b32 s0, 0x646e171e
	v_add_co_u32_e32 v25, vcc, s0, v4
	s_mov_b32 s0, 0x1715609d
	v_add_co_u32_e32 v26, vcc, s0, v14
	s_mov_b32 s0, 0xed9eba14
	v_add_co_u32_e32 v27, vcc, s0, v4
	s_mov_b32 s0, 0xdaa66d2b
	v_add_co_u32_e32 v28, vcc, s0, v14
	s_mov_b32 s0, 0x76cf5d0a
	v_add_co_u32_e32 v29, vcc, s0, v4
	s_mov_b32 s0, 0x9e3779b9
	v_alignbit_b32 v31, v3, v2, 2
	s_mov_b32 s23, 0xd2511f53
	v_add_co_u32_e32 v30, vcc, s0, v14
	v_mad_u64_u32 v[6:7], s[0:1], v31, s23, 0
	v_xor_b32_e32 v1, v7, v15
	v_xor_b32_e32 v1, v1, v19
	s_mov_b32 s24, 0xcd9e8d57
	v_mad_u64_u32 v[8:9], s[0:1], v1, s24, 0
	v_xor_b32_e32 v1, v30, v9
	v_mad_u64_u32 v[10:11], s[0:1], v18, s24, 0
	v_and_b32_e32 v20, 3, v2
	v_xor_b32_e32 v1, v1, v10
	v_xor_b32_e32 v2, v14, v11
	v_lshrrev_b32_e32 v32, 2, v3
	v_mad_u64_u32 v[12:13], s[0:1], v1, s23, 0
	v_xor_b32_e32 v2, v2, v32
	v_xor_b32_e32 v1, v29, v13
	v_mad_u64_u32 v[2:3], s[0:1], v2, s23, 0
	v_xor_b32_e32 v1, v1, v2
	v_mad_u64_u32 v[10:11], s[0:1], v1, s24, 0
	s_mov_b32 s0, 0xbb67ae85
	v_add_co_u32_e32 v33, vcc, s0, v4
	v_xor_b32_e32 v2, v33, v3
	v_xor_b32_e32 v2, v2, v6
	v_xor_b32_e32 v1, v28, v11
	v_mad_u64_u32 v[2:3], s[0:1], v2, s24, 0
	v_xor_b32_e32 v1, v1, v2
	v_mad_u64_u32 v[6:7], s[0:1], v1, s23, 0
	s_mov_b32 s0, 0x3c6ef372
	v_add_co_u32_e32 v34, vcc, s0, v14
	v_xor_b32_e32 v2, v34, v3
	;; [unrolled: 8-line block ×7, first 2 shown]
	v_xor_b32_e32 v1, v1, v12
	v_mad_u64_u32 v[2:3], s[0:1], v1, s24, 0
	s_mov_b32 s0, 0xf1bbcdc8
	v_add_u32_e32 v21, 0x8ff34781, v14
	v_xor_b32_e32 v1, v9, v2
	v_add_co_u32_e32 v40, vcc, s0, v14
	s_load_dwordx2 s[16:17], s[4:5], 0x30
	s_load_dword s2, s[4:5], 0x38
	s_load_dwordx4 s[12:15], s[4:5], 0x40
	v_xor_b32_e32 v2, v21, v1
	v_xor_b32_e32 v1, v40, v3
	;; [unrolled: 1-line block ×3, first 2 shown]
	v_mad_u64_u32 v[10:11], s[0:1], v1, s23, 0
	v_add_u32_e32 v22, 0x96a522ad, v15
	v_xor_b32_e32 v1, v11, v6
	s_mul_i32 s0, s6, s7
	v_xor_b32_e32 v4, v22, v1
	v_add_u32_e32 v1, s0, v0
	s_waitcnt lgkmcnt(0)
	s_mul_i32 s0, s18, s2
	s_mul_i32 s0, s0, s7
	s_lshl_b32 s25, s0, 1
	s_add_i32 s0, s6, s18
	s_mul_i32 s0, s0, s7
	s_mov_b32 s22, 0
	v_add_u32_e32 v0, s0, v0
	v_mov_b32_e32 v3, v8
	v_mov_b32_e32 v5, v10
	v_mul_lo_u32 v41, s2, v1
	v_mul_lo_u32 v42, s2, v0
	s_mov_b64 s[4:5], 0
	s_mov_b32 s26, s22
	v_mov_b32_e32 v43, v18
	v_mov_b32_e32 v44, v19
	s_branch .LBB12_9
.LBB12_7:                               ;   in Loop: Header=BB12_9 Depth=1
	s_or_b64 exec, exec, s[0:1]
	v_add_u32_e32 v1, s26, v42
	v_ashrrev_i32_e32 v3, 31, v1
	v_mov_b32_e32 v4, s17
	v_add_co_u32_e32 v2, vcc, s16, v1
	v_addc_co_u32_e32 v3, vcc, v4, v3, vcc
	v_mov_b32_e32 v1, s15
	v_add_co_u32_e32 v4, vcc, s14, v10
	v_addc_co_u32_e32 v5, vcc, v11, v1, vcc
	global_store_dwordx2 v[2:3], v[4:5], off
.LBB12_8:                               ;   in Loop: Header=BB12_9 Depth=1
	s_or_b64 exec, exec, s[6:7]
	v_add_co_u32_e32 v18, vcc, s21, v18
	v_addc_co_u32_e32 v19, vcc, 0, v19, vcc
	v_mov_b32_e32 v9, v0
	s_add_i32 s26, s26, s25
	v_cmp_le_i64_e32 vcc, s[10:11], v[18:19]
	v_pk_mov_b32 v[2:3], v[6:7], v[6:7] op_sel:[0,1]
	s_or_b64 s[4:5], vcc, s[4:5]
	v_pk_mov_b32 v[4:5], v[8:9], v[8:9] op_sel:[0,1]
	s_barrier
	s_andn2_b64 exec, exec, s[4:5]
	s_cbranch_execz .LBB12_30
.LBB12_9:                               ; =>This Inner Loop Header: Depth=1
	v_add_co_u32_e32 v31, vcc, 1, v31
	v_cndmask_b32_e64 v0, 0, 1, vcc
	v_addc_co_u32_e32 v32, vcc, 0, v32, vcc
	v_cmp_eq_u32_e32 vcc, 0, v32
	v_cndmask_b32_e32 v0, 0, v0, vcc
	v_add_u32_e32 v43, v0, v43
	v_cmp_eq_u32_e32 vcc, 0, v43
	v_cndmask_b32_e32 v0, 0, v0, vcc
	v_add_u32_e32 v44, v0, v44
	v_mad_u64_u32 v[0:1], s[0:1], v31, s23, 0
	v_mad_u64_u32 v[6:7], s[0:1], v43, s24, 0
	v_xor_b32_e32 v1, v1, v15
	v_xor_b32_e32 v7, v7, v14
	v_xor_b32_e32 v1, v44, v1
	v_xor_b32_e32 v7, v32, v7
	v_mad_u64_u32 v[10:11], s[0:1], v1, s24, 0
	v_mad_u64_u32 v[8:9], s[0:1], v7, s23, 0
	v_xor_b32_e32 v1, v30, v11
	v_xor_b32_e32 v1, v1, v6
	v_xor_b32_e32 v6, v33, v9
	v_xor_b32_e32 v6, v6, v0
	;; [unrolled: 6-line block ×10, first 2 shown]
	v_mov_b32_e32 v7, v12
	v_mov_b32_e32 v8, v13
	v_cmp_lt_i32_e32 vcc, 1, v20
	s_and_saveexec_b64 s[0:1], vcc
	s_xor_b64 s[0:1], exec, s[0:1]
	s_cbranch_execnz .LBB12_12
; %bb.10:                               ;   in Loop: Header=BB12_9 Depth=1
	s_andn2_saveexec_b64 s[0:1], s[0:1]
	s_cbranch_execnz .LBB12_17
.LBB12_11:                              ;   in Loop: Header=BB12_9 Depth=1
	s_or_b64 exec, exec, s[0:1]
	v_cmp_gt_i64_e32 vcc, s[8:9], v[18:19]
	s_and_saveexec_b64 s[6:7], vcc
	s_cbranch_execnz .LBB12_20
	s_branch .LBB12_25
.LBB12_12:                              ;   in Loop: Header=BB12_9 Depth=1
	v_cmp_lt_i32_e32 vcc, 2, v20
	s_and_saveexec_b64 s[2:3], vcc
	s_xor_b64 s[2:3], exec, s[2:3]
; %bb.13:                               ;   in Loop: Header=BB12_9 Depth=1
	v_mov_b32_e32 v10, v5
	v_mov_b32_e32 v11, v6
	v_pk_mov_b32 v[2:3], v[10:11], v[10:11] op_sel:[0,1]
	v_pk_mov_b32 v[4:5], v[12:13], v[12:13] op_sel:[0,1]
                                        ; implicit-def: $vgpr12_vgpr13
; %bb.14:                               ;   in Loop: Header=BB12_9 Depth=1
	s_andn2_saveexec_b64 s[2:3], s[2:3]
; %bb.15:                               ;   in Loop: Header=BB12_9 Depth=1
	v_mov_b32_e32 v2, v4
	v_mov_b32_e32 v3, v5
	;; [unrolled: 1-line block ×4, first 2 shown]
; %bb.16:                               ;   in Loop: Header=BB12_9 Depth=1
	s_or_b64 exec, exec, s[2:3]
	s_andn2_saveexec_b64 s[0:1], s[0:1]
	s_cbranch_execz .LBB12_11
.LBB12_17:                              ;   in Loop: Header=BB12_9 Depth=1
	v_cmp_eq_u32_e32 vcc, 1, v20
	s_and_saveexec_b64 s[2:3], vcc
; %bb.18:                               ;   in Loop: Header=BB12_9 Depth=1
	v_mov_b32_e32 v2, v3
	v_mov_b32_e32 v3, v4
	;; [unrolled: 1-line block ×4, first 2 shown]
; %bb.19:                               ;   in Loop: Header=BB12_9 Depth=1
	s_or_b64 exec, exec, s[2:3]
	s_or_b64 exec, exec, s[0:1]
	v_cmp_gt_i64_e32 vcc, s[8:9], v[18:19]
	s_and_saveexec_b64 s[6:7], vcc
	s_cbranch_execz .LBB12_25
.LBB12_20:                              ;   in Loop: Header=BB12_9 Depth=1
	v_or_b32_e32 v17, s13, v2
	v_cmp_ne_u64_e32 vcc, 0, v[16:17]
                                        ; implicit-def: $vgpr10_vgpr11
	s_and_saveexec_b64 s[0:1], vcc
	s_xor_b64 s[18:19], exec, s[0:1]
	s_cbranch_execz .LBB12_22
; %bb.21:                               ;   in Loop: Header=BB12_9 Depth=1
	v_cvt_f32_u32_e32 v1, s12
	v_cvt_f32_u32_e32 v9, s13
	s_sub_u32 s0, 0, s12
	s_subb_u32 s1, 0, s13
	v_mac_f32_e32 v1, 0x4f800000, v9
	v_rcp_f32_e32 v1, v1
	v_mul_f32_e32 v1, 0x5f7ffffc, v1
	v_mul_f32_e32 v9, 0x2f800000, v1
	v_trunc_f32_e32 v9, v9
	v_mac_f32_e32 v1, 0xcf800000, v9
	v_cvt_u32_f32_e32 v9, v9
	v_cvt_u32_f32_e32 v1, v1
	v_mul_lo_u32 v10, s0, v9
	v_mul_hi_u32 v12, s0, v1
	v_mul_lo_u32 v11, s1, v1
	v_add_u32_e32 v10, v12, v10
	v_mul_lo_u32 v13, s0, v1
	v_add_u32_e32 v10, v10, v11
	v_mul_hi_u32 v12, v1, v13
	v_mul_lo_u32 v17, v1, v10
	v_mul_hi_u32 v11, v1, v10
	v_add_co_u32_e32 v12, vcc, v12, v17
	v_addc_co_u32_e32 v11, vcc, 0, v11, vcc
	v_mul_hi_u32 v45, v9, v13
	v_mul_lo_u32 v13, v9, v13
	v_add_co_u32_e32 v12, vcc, v12, v13
	v_mul_hi_u32 v17, v9, v10
	v_addc_co_u32_e32 v11, vcc, v11, v45, vcc
	v_addc_co_u32_e32 v12, vcc, 0, v17, vcc
	v_mul_lo_u32 v10, v9, v10
	v_add_co_u32_e32 v10, vcc, v11, v10
	v_addc_co_u32_e32 v11, vcc, 0, v12, vcc
	v_add_co_u32_e32 v1, vcc, v1, v10
	v_addc_co_u32_e32 v9, vcc, v9, v11, vcc
	v_mul_lo_u32 v10, s0, v9
	v_mul_hi_u32 v11, s0, v1
	v_add_u32_e32 v10, v11, v10
	v_mul_lo_u32 v11, s1, v1
	v_add_u32_e32 v10, v10, v11
	v_mul_lo_u32 v12, s0, v1
	v_mul_hi_u32 v13, v9, v12
	v_mul_lo_u32 v17, v9, v12
	v_mul_lo_u32 v46, v1, v10
	v_mul_hi_u32 v12, v1, v12
	v_mul_hi_u32 v45, v1, v10
	v_add_co_u32_e32 v12, vcc, v12, v46
	v_addc_co_u32_e32 v45, vcc, 0, v45, vcc
	v_add_co_u32_e32 v12, vcc, v12, v17
	v_mul_hi_u32 v11, v9, v10
	v_addc_co_u32_e32 v12, vcc, v45, v13, vcc
	v_addc_co_u32_e32 v11, vcc, 0, v11, vcc
	v_mul_lo_u32 v10, v9, v10
	v_add_co_u32_e32 v10, vcc, v12, v10
	v_addc_co_u32_e32 v11, vcc, 0, v11, vcc
	v_add_co_u32_e32 v1, vcc, v1, v10
	v_addc_co_u32_e32 v9, vcc, v9, v11, vcc
	v_mad_u64_u32 v[10:11], s[0:1], v3, v9, 0
	v_mul_hi_u32 v12, v3, v1
	v_add_co_u32_e32 v17, vcc, v12, v10
	v_addc_co_u32_e32 v45, vcc, 0, v11, vcc
	v_mad_u64_u32 v[12:13], s[0:1], v2, v1, 0
	v_add_co_u32_e32 v1, vcc, v17, v12
	v_mad_u64_u32 v[10:11], s[0:1], v2, v9, 0
	v_addc_co_u32_e32 v1, vcc, v45, v13, vcc
	v_addc_co_u32_e32 v9, vcc, 0, v11, vcc
	v_add_co_u32_e32 v1, vcc, v1, v10
	v_addc_co_u32_e32 v9, vcc, 0, v9, vcc
	v_mul_lo_u32 v12, s13, v1
	v_mul_lo_u32 v9, s12, v9
	v_mad_u64_u32 v[10:11], s[0:1], s12, v1, 0
	v_add3_u32 v1, v11, v9, v12
	v_sub_u32_e32 v9, v2, v1
	v_mov_b32_e32 v11, s13
	v_sub_co_u32_e32 v10, vcc, v3, v10
	v_subb_co_u32_e64 v9, s[0:1], v9, v11, vcc
	v_subrev_co_u32_e64 v12, s[0:1], s12, v10
	v_subbrev_co_u32_e64 v13, s[2:3], 0, v9, s[0:1]
	v_cmp_le_u32_e64 s[2:3], s13, v13
	v_cndmask_b32_e64 v17, 0, -1, s[2:3]
	v_cmp_le_u32_e64 s[2:3], s12, v12
	v_subb_co_u32_e32 v1, vcc, v2, v1, vcc
	v_cndmask_b32_e64 v45, 0, -1, s[2:3]
	v_cmp_eq_u32_e64 s[2:3], s13, v13
	v_subb_co_u32_e64 v9, s[0:1], v9, v11, s[0:1]
	v_cmp_le_u32_e32 vcc, s13, v1
	v_cndmask_b32_e64 v17, v17, v45, s[2:3]
	v_subrev_co_u32_e64 v45, s[0:1], s12, v12
	v_cndmask_b32_e64 v2, 0, -1, vcc
	v_cmp_le_u32_e32 vcc, s12, v10
	v_subbrev_co_u32_e64 v9, s[0:1], 0, v9, s[0:1]
	v_cndmask_b32_e64 v11, 0, -1, vcc
	v_cmp_eq_u32_e32 vcc, s13, v1
	v_cmp_ne_u32_e64 s[0:1], 0, v17
	v_cndmask_b32_e32 v2, v2, v11, vcc
	v_cndmask_b32_e64 v9, v13, v9, s[0:1]
	v_cmp_ne_u32_e32 vcc, 0, v2
	v_cndmask_b32_e32 v11, v1, v9, vcc
	v_cndmask_b32_e64 v1, v12, v45, s[0:1]
	v_cndmask_b32_e32 v10, v10, v1, vcc
.LBB12_22:                              ;   in Loop: Header=BB12_9 Depth=1
	s_andn2_saveexec_b64 s[0:1], s[18:19]
	s_cbranch_execz .LBB12_24
; %bb.23:                               ;   in Loop: Header=BB12_9 Depth=1
	v_cvt_f32_u32_e32 v1, s12
	s_sub_i32 s2, 0, s12
	v_mov_b32_e32 v11, v16
	v_rcp_iflag_f32_e32 v1, v1
	v_mul_f32_e32 v1, 0x4f7ffffe, v1
	v_cvt_u32_f32_e32 v1, v1
	v_mul_lo_u32 v2, s2, v1
	v_mul_hi_u32 v2, v1, v2
	v_add_u32_e32 v1, v1, v2
	v_mul_hi_u32 v1, v3, v1
	v_mul_lo_u32 v1, v1, s12
	v_sub_u32_e32 v1, v3, v1
	v_subrev_u32_e32 v2, s12, v1
	v_cmp_le_u32_e32 vcc, s12, v1
	v_cndmask_b32_e32 v1, v1, v2, vcc
	v_subrev_u32_e32 v2, s12, v1
	v_cmp_le_u32_e32 vcc, s12, v1
	v_cndmask_b32_e32 v10, v1, v2, vcc
.LBB12_24:                              ;   in Loop: Header=BB12_9 Depth=1
	s_or_b64 exec, exec, s[0:1]
	v_add_u32_e32 v1, s26, v41
	v_ashrrev_i32_e32 v3, 31, v1
	v_mov_b32_e32 v9, s17
	v_add_co_u32_e32 v2, vcc, s16, v1
	v_addc_co_u32_e32 v3, vcc, v9, v3, vcc
	v_mov_b32_e32 v1, s15
	v_add_co_u32_e32 v10, vcc, s14, v10
	v_addc_co_u32_e32 v11, vcc, v11, v1, vcc
	global_store_dwordx2 v[2:3], v[10:11], off
.LBB12_25:                              ;   in Loop: Header=BB12_9 Depth=1
	s_or_b64 exec, exec, s[6:7]
	v_mov_b32_e32 v1, s22
	v_add_co_u32_e32 v2, vcc, s20, v18
	v_addc_co_u32_e32 v3, vcc, v1, v19, vcc
	v_cmp_gt_i64_e32 vcc, s[8:9], v[2:3]
	s_and_saveexec_b64 s[6:7], vcc
	s_cbranch_execz .LBB12_8
; %bb.26:                               ;   in Loop: Header=BB12_9 Depth=1
	v_or_b32_e32 v17, s13, v4
	v_cmp_ne_u64_e32 vcc, 0, v[16:17]
                                        ; implicit-def: $vgpr10_vgpr11
	s_and_saveexec_b64 s[0:1], vcc
	s_xor_b64 s[18:19], exec, s[0:1]
	s_cbranch_execz .LBB12_28
; %bb.27:                               ;   in Loop: Header=BB12_9 Depth=1
	v_cvt_f32_u32_e32 v1, s12
	v_cvt_f32_u32_e32 v2, s13
	s_sub_u32 s0, 0, s12
	s_subb_u32 s1, 0, s13
	v_mac_f32_e32 v1, 0x4f800000, v2
	v_rcp_f32_e32 v1, v1
	v_mul_f32_e32 v1, 0x5f7ffffc, v1
	v_mul_f32_e32 v2, 0x2f800000, v1
	v_trunc_f32_e32 v2, v2
	v_mac_f32_e32 v1, 0xcf800000, v2
	v_cvt_u32_f32_e32 v2, v2
	v_cvt_u32_f32_e32 v1, v1
	v_mul_lo_u32 v3, s0, v2
	v_mul_hi_u32 v10, s0, v1
	v_mul_lo_u32 v9, s1, v1
	v_add_u32_e32 v3, v10, v3
	v_mul_lo_u32 v11, s0, v1
	v_add_u32_e32 v3, v3, v9
	v_mul_hi_u32 v10, v1, v11
	v_mul_lo_u32 v12, v1, v3
	v_mul_hi_u32 v9, v1, v3
	v_add_co_u32_e32 v10, vcc, v10, v12
	v_addc_co_u32_e32 v9, vcc, 0, v9, vcc
	v_mul_hi_u32 v13, v2, v11
	v_mul_lo_u32 v11, v2, v11
	v_add_co_u32_e32 v10, vcc, v10, v11
	v_mul_hi_u32 v12, v2, v3
	v_addc_co_u32_e32 v9, vcc, v9, v13, vcc
	v_addc_co_u32_e32 v10, vcc, 0, v12, vcc
	v_mul_lo_u32 v3, v2, v3
	v_add_co_u32_e32 v3, vcc, v9, v3
	v_addc_co_u32_e32 v9, vcc, 0, v10, vcc
	v_add_co_u32_e32 v1, vcc, v1, v3
	v_addc_co_u32_e32 v2, vcc, v2, v9, vcc
	v_mul_lo_u32 v3, s0, v2
	v_mul_hi_u32 v9, s0, v1
	v_add_u32_e32 v3, v9, v3
	v_mul_lo_u32 v9, s1, v1
	v_add_u32_e32 v3, v3, v9
	v_mul_lo_u32 v10, s0, v1
	v_mul_hi_u32 v11, v2, v10
	v_mul_lo_u32 v12, v2, v10
	v_mul_lo_u32 v17, v1, v3
	v_mul_hi_u32 v10, v1, v10
	v_mul_hi_u32 v13, v1, v3
	v_add_co_u32_e32 v10, vcc, v10, v17
	v_addc_co_u32_e32 v13, vcc, 0, v13, vcc
	v_add_co_u32_e32 v10, vcc, v10, v12
	v_mul_hi_u32 v9, v2, v3
	v_addc_co_u32_e32 v10, vcc, v13, v11, vcc
	v_addc_co_u32_e32 v9, vcc, 0, v9, vcc
	v_mul_lo_u32 v3, v2, v3
	v_add_co_u32_e32 v3, vcc, v10, v3
	v_addc_co_u32_e32 v9, vcc, 0, v9, vcc
	v_add_co_u32_e32 v1, vcc, v1, v3
	v_addc_co_u32_e32 v9, vcc, v2, v9, vcc
	v_mad_u64_u32 v[2:3], s[0:1], v5, v9, 0
	v_mul_hi_u32 v10, v5, v1
	v_add_co_u32_e32 v12, vcc, v10, v2
	v_addc_co_u32_e32 v13, vcc, 0, v3, vcc
	v_mad_u64_u32 v[10:11], s[0:1], v4, v1, 0
	v_add_co_u32_e32 v1, vcc, v12, v10
	v_mad_u64_u32 v[2:3], s[0:1], v4, v9, 0
	v_addc_co_u32_e32 v1, vcc, v13, v11, vcc
	v_addc_co_u32_e32 v3, vcc, 0, v3, vcc
	v_add_co_u32_e32 v1, vcc, v1, v2
	v_addc_co_u32_e32 v2, vcc, 0, v3, vcc
	v_mul_lo_u32 v9, s13, v1
	v_mul_lo_u32 v10, s12, v2
	v_mad_u64_u32 v[2:3], s[0:1], s12, v1, 0
	v_add3_u32 v1, v3, v10, v9
	v_sub_u32_e32 v3, v4, v1
	v_mov_b32_e32 v9, s13
	v_sub_co_u32_e32 v2, vcc, v5, v2
	v_subb_co_u32_e64 v3, s[0:1], v3, v9, vcc
	v_subrev_co_u32_e64 v5, s[0:1], s12, v2
	v_subbrev_co_u32_e64 v10, s[2:3], 0, v3, s[0:1]
	v_cmp_le_u32_e64 s[2:3], s13, v10
	v_cndmask_b32_e64 v11, 0, -1, s[2:3]
	v_cmp_le_u32_e64 s[2:3], s12, v5
	v_subb_co_u32_e64 v3, s[0:1], v3, v9, s[0:1]
	v_cndmask_b32_e64 v12, 0, -1, s[2:3]
	v_cmp_eq_u32_e64 s[2:3], s13, v10
	v_subrev_co_u32_e64 v9, s[0:1], s12, v5
	v_subb_co_u32_e32 v1, vcc, v4, v1, vcc
	v_cndmask_b32_e64 v11, v11, v12, s[2:3]
	v_subbrev_co_u32_e64 v3, s[0:1], 0, v3, s[0:1]
	v_cmp_le_u32_e32 vcc, s13, v1
	v_cmp_ne_u32_e64 s[0:1], 0, v11
	v_cndmask_b32_e64 v4, 0, -1, vcc
	v_cmp_le_u32_e32 vcc, s12, v2
	v_cndmask_b32_e64 v3, v10, v3, s[0:1]
	v_cndmask_b32_e64 v10, 0, -1, vcc
	v_cmp_eq_u32_e32 vcc, s13, v1
	v_cndmask_b32_e32 v4, v4, v10, vcc
	v_cmp_ne_u32_e32 vcc, 0, v4
	v_cndmask_b32_e32 v11, v1, v3, vcc
	v_cndmask_b32_e64 v1, v5, v9, s[0:1]
	v_cndmask_b32_e32 v10, v2, v1, vcc
                                        ; implicit-def: $vgpr2_vgpr3_vgpr4_vgpr5
.LBB12_28:                              ;   in Loop: Header=BB12_9 Depth=1
	s_andn2_saveexec_b64 s[0:1], s[18:19]
	s_cbranch_execz .LBB12_7
; %bb.29:                               ;   in Loop: Header=BB12_9 Depth=1
	v_cvt_f32_u32_e32 v1, s12
	s_sub_i32 s2, 0, s12
	v_mov_b32_e32 v11, v16
	v_rcp_iflag_f32_e32 v1, v1
	v_mul_f32_e32 v1, 0x4f7ffffe, v1
	v_cvt_u32_f32_e32 v1, v1
	v_mul_lo_u32 v2, s2, v1
	v_mul_hi_u32 v2, v1, v2
	v_add_u32_e32 v1, v1, v2
	v_mul_hi_u32 v1, v5, v1
	v_mul_lo_u32 v1, v1, s12
	v_sub_u32_e32 v1, v5, v1
	v_subrev_u32_e32 v2, s12, v1
	v_cmp_le_u32_e32 vcc, s12, v1
	v_cndmask_b32_e32 v1, v1, v2, vcc
	v_subrev_u32_e32 v2, s12, v1
	v_cmp_le_u32_e32 vcc, s12, v1
	v_cndmask_b32_e32 v10, v1, v2, vcc
	s_branch .LBB12_7
.LBB12_30:
	s_endpgm
.LBB12_31:
                                        ; implicit-def: $sgpr2_sgpr3
	s_andn2_b64 vcc, exec, s[0:1]
	s_cbranch_vccz .LBB12_4
	s_branch .LBB12_5
	.section	.rodata,"a",@progbits
	.p2align	6, 0x0
	.amdhsa_kernel _ZN2at6native12_GLOBAL__N_143distribution_elementwise_grid_stride_kernelImLi2EZZZNS0_9templates4cuda21random_from_to_kernelIPNS_17CUDAGeneratorImplEEEvRNS_18TensorIteratorBaseEmlT_ENKUlvE_clEvENKUlvE2_clEvEUlP25hiprandStatePhilox4_32_10E_ZNS1_27distribution_nullary_kernelIlm15HIP_vector_typeIyLj2EES7_SF_ZZZNS5_IS7_EEvS9_mlSA_ENKSB_clEvENKSC_clEvEUlmE_EEvS9_T2_RKT3_T4_EUlimE_EEvlNS_15PhiloxCudaStateET1_SK_
		.amdhsa_group_segment_fixed_size 0
		.amdhsa_private_segment_fixed_size 0
		.amdhsa_kernarg_size 336
		.amdhsa_user_sgpr_count 6
		.amdhsa_user_sgpr_private_segment_buffer 1
		.amdhsa_user_sgpr_dispatch_ptr 0
		.amdhsa_user_sgpr_queue_ptr 0
		.amdhsa_user_sgpr_kernarg_segment_ptr 1
		.amdhsa_user_sgpr_dispatch_id 0
		.amdhsa_user_sgpr_flat_scratch_init 0
		.amdhsa_user_sgpr_kernarg_preload_length 0
		.amdhsa_user_sgpr_kernarg_preload_offset 0
		.amdhsa_user_sgpr_private_segment_size 0
		.amdhsa_uses_dynamic_stack 0
		.amdhsa_system_sgpr_private_segment_wavefront_offset 0
		.amdhsa_system_sgpr_workgroup_id_x 1
		.amdhsa_system_sgpr_workgroup_id_y 0
		.amdhsa_system_sgpr_workgroup_id_z 0
		.amdhsa_system_sgpr_workgroup_info 0
		.amdhsa_system_vgpr_workitem_id 0
		.amdhsa_next_free_vgpr 48
		.amdhsa_next_free_sgpr 27
		.amdhsa_accum_offset 48
		.amdhsa_reserve_vcc 1
		.amdhsa_reserve_flat_scratch 0
		.amdhsa_float_round_mode_32 0
		.amdhsa_float_round_mode_16_64 0
		.amdhsa_float_denorm_mode_32 3
		.amdhsa_float_denorm_mode_16_64 3
		.amdhsa_dx10_clamp 1
		.amdhsa_ieee_mode 1
		.amdhsa_fp16_overflow 0
		.amdhsa_tg_split 0
		.amdhsa_exception_fp_ieee_invalid_op 0
		.amdhsa_exception_fp_denorm_src 0
		.amdhsa_exception_fp_ieee_div_zero 0
		.amdhsa_exception_fp_ieee_overflow 0
		.amdhsa_exception_fp_ieee_underflow 0
		.amdhsa_exception_fp_ieee_inexact 0
		.amdhsa_exception_int_div_zero 0
	.end_amdhsa_kernel
	.section	.text._ZN2at6native12_GLOBAL__N_143distribution_elementwise_grid_stride_kernelImLi2EZZZNS0_9templates4cuda21random_from_to_kernelIPNS_17CUDAGeneratorImplEEEvRNS_18TensorIteratorBaseEmlT_ENKUlvE_clEvENKUlvE2_clEvEUlP25hiprandStatePhilox4_32_10E_ZNS1_27distribution_nullary_kernelIlm15HIP_vector_typeIyLj2EES7_SF_ZZZNS5_IS7_EEvS9_mlSA_ENKSB_clEvENKSC_clEvEUlmE_EEvS9_T2_RKT3_T4_EUlimE_EEvlNS_15PhiloxCudaStateET1_SK_,"axG",@progbits,_ZN2at6native12_GLOBAL__N_143distribution_elementwise_grid_stride_kernelImLi2EZZZNS0_9templates4cuda21random_from_to_kernelIPNS_17CUDAGeneratorImplEEEvRNS_18TensorIteratorBaseEmlT_ENKUlvE_clEvENKUlvE2_clEvEUlP25hiprandStatePhilox4_32_10E_ZNS1_27distribution_nullary_kernelIlm15HIP_vector_typeIyLj2EES7_SF_ZZZNS5_IS7_EEvS9_mlSA_ENKSB_clEvENKSC_clEvEUlmE_EEvS9_T2_RKT3_T4_EUlimE_EEvlNS_15PhiloxCudaStateET1_SK_,comdat
.Lfunc_end12:
	.size	_ZN2at6native12_GLOBAL__N_143distribution_elementwise_grid_stride_kernelImLi2EZZZNS0_9templates4cuda21random_from_to_kernelIPNS_17CUDAGeneratorImplEEEvRNS_18TensorIteratorBaseEmlT_ENKUlvE_clEvENKUlvE2_clEvEUlP25hiprandStatePhilox4_32_10E_ZNS1_27distribution_nullary_kernelIlm15HIP_vector_typeIyLj2EES7_SF_ZZZNS5_IS7_EEvS9_mlSA_ENKSB_clEvENKSC_clEvEUlmE_EEvS9_T2_RKT3_T4_EUlimE_EEvlNS_15PhiloxCudaStateET1_SK_, .Lfunc_end12-_ZN2at6native12_GLOBAL__N_143distribution_elementwise_grid_stride_kernelImLi2EZZZNS0_9templates4cuda21random_from_to_kernelIPNS_17CUDAGeneratorImplEEEvRNS_18TensorIteratorBaseEmlT_ENKUlvE_clEvENKUlvE2_clEvEUlP25hiprandStatePhilox4_32_10E_ZNS1_27distribution_nullary_kernelIlm15HIP_vector_typeIyLj2EES7_SF_ZZZNS5_IS7_EEvS9_mlSA_ENKSB_clEvENKSC_clEvEUlmE_EEvS9_T2_RKT3_T4_EUlimE_EEvlNS_15PhiloxCudaStateET1_SK_
                                        ; -- End function
	.section	.AMDGPU.csdata,"",@progbits
; Kernel info:
; codeLenInByte = 3648
; NumSgprs: 31
; NumVgprs: 48
; NumAgprs: 0
; TotalNumVgprs: 48
; ScratchSize: 0
; MemoryBound: 0
; FloatMode: 240
; IeeeMode: 1
; LDSByteSize: 0 bytes/workgroup (compile time only)
; SGPRBlocks: 3
; VGPRBlocks: 5
; NumSGPRsForWavesPerEU: 31
; NumVGPRsForWavesPerEU: 48
; AccumOffset: 48
; Occupancy: 8
; WaveLimiterHint : 0
; COMPUTE_PGM_RSRC2:SCRATCH_EN: 0
; COMPUTE_PGM_RSRC2:USER_SGPR: 6
; COMPUTE_PGM_RSRC2:TRAP_HANDLER: 0
; COMPUTE_PGM_RSRC2:TGID_X_EN: 1
; COMPUTE_PGM_RSRC2:TGID_Y_EN: 0
; COMPUTE_PGM_RSRC2:TGID_Z_EN: 0
; COMPUTE_PGM_RSRC2:TIDIG_COMP_CNT: 0
; COMPUTE_PGM_RSRC3_GFX90A:ACCUM_OFFSET: 11
; COMPUTE_PGM_RSRC3_GFX90A:TG_SPLIT: 0
	.section	.text._ZN2at6native12_GLOBAL__N_143distribution_elementwise_grid_stride_kernelImLi2EZZZNS0_9templates4cuda21random_from_to_kernelIPNS_17CUDAGeneratorImplEEEvRNS_18TensorIteratorBaseEmlT_ENKUlvE_clEvENKUlvE2_clEvEUlP25hiprandStatePhilox4_32_10E_ZNS1_27distribution_nullary_kernelIlm15HIP_vector_typeIyLj2EES7_SF_ZZZNS5_IS7_EEvS9_mlSA_ENKSB_clEvENKSC_clEvEUlmE_EEvS9_T2_RKT3_T4_EUlimE0_EEvlNS_15PhiloxCudaStateET1_SK_,"axG",@progbits,_ZN2at6native12_GLOBAL__N_143distribution_elementwise_grid_stride_kernelImLi2EZZZNS0_9templates4cuda21random_from_to_kernelIPNS_17CUDAGeneratorImplEEEvRNS_18TensorIteratorBaseEmlT_ENKUlvE_clEvENKUlvE2_clEvEUlP25hiprandStatePhilox4_32_10E_ZNS1_27distribution_nullary_kernelIlm15HIP_vector_typeIyLj2EES7_SF_ZZZNS5_IS7_EEvS9_mlSA_ENKSB_clEvENKSC_clEvEUlmE_EEvS9_T2_RKT3_T4_EUlimE0_EEvlNS_15PhiloxCudaStateET1_SK_,comdat
	.globl	_ZN2at6native12_GLOBAL__N_143distribution_elementwise_grid_stride_kernelImLi2EZZZNS0_9templates4cuda21random_from_to_kernelIPNS_17CUDAGeneratorImplEEEvRNS_18TensorIteratorBaseEmlT_ENKUlvE_clEvENKUlvE2_clEvEUlP25hiprandStatePhilox4_32_10E_ZNS1_27distribution_nullary_kernelIlm15HIP_vector_typeIyLj2EES7_SF_ZZZNS5_IS7_EEvS9_mlSA_ENKSB_clEvENKSC_clEvEUlmE_EEvS9_T2_RKT3_T4_EUlimE0_EEvlNS_15PhiloxCudaStateET1_SK_ ; -- Begin function _ZN2at6native12_GLOBAL__N_143distribution_elementwise_grid_stride_kernelImLi2EZZZNS0_9templates4cuda21random_from_to_kernelIPNS_17CUDAGeneratorImplEEEvRNS_18TensorIteratorBaseEmlT_ENKUlvE_clEvENKUlvE2_clEvEUlP25hiprandStatePhilox4_32_10E_ZNS1_27distribution_nullary_kernelIlm15HIP_vector_typeIyLj2EES7_SF_ZZZNS5_IS7_EEvS9_mlSA_ENKSB_clEvENKSC_clEvEUlmE_EEvS9_T2_RKT3_T4_EUlimE0_EEvlNS_15PhiloxCudaStateET1_SK_
	.p2align	8
	.type	_ZN2at6native12_GLOBAL__N_143distribution_elementwise_grid_stride_kernelImLi2EZZZNS0_9templates4cuda21random_from_to_kernelIPNS_17CUDAGeneratorImplEEEvRNS_18TensorIteratorBaseEmlT_ENKUlvE_clEvENKUlvE2_clEvEUlP25hiprandStatePhilox4_32_10E_ZNS1_27distribution_nullary_kernelIlm15HIP_vector_typeIyLj2EES7_SF_ZZZNS5_IS7_EEvS9_mlSA_ENKSB_clEvENKSC_clEvEUlmE_EEvS9_T2_RKT3_T4_EUlimE0_EEvlNS_15PhiloxCudaStateET1_SK_,@function
_ZN2at6native12_GLOBAL__N_143distribution_elementwise_grid_stride_kernelImLi2EZZZNS0_9templates4cuda21random_from_to_kernelIPNS_17CUDAGeneratorImplEEEvRNS_18TensorIteratorBaseEmlT_ENKUlvE_clEvENKUlvE2_clEvEUlP25hiprandStatePhilox4_32_10E_ZNS1_27distribution_nullary_kernelIlm15HIP_vector_typeIyLj2EES7_SF_ZZZNS5_IS7_EEvS9_mlSA_ENKSB_clEvENKSC_clEvEUlmE_EEvS9_T2_RKT3_T4_EUlimE0_EEvlNS_15PhiloxCudaStateET1_SK_: ; @_ZN2at6native12_GLOBAL__N_143distribution_elementwise_grid_stride_kernelImLi2EZZZNS0_9templates4cuda21random_from_to_kernelIPNS_17CUDAGeneratorImplEEEvRNS_18TensorIteratorBaseEmlT_ENKUlvE_clEvENKUlvE2_clEvEUlP25hiprandStatePhilox4_32_10E_ZNS1_27distribution_nullary_kernelIlm15HIP_vector_typeIyLj2EES7_SF_ZZZNS5_IS7_EEvS9_mlSA_ENKSB_clEvENKSC_clEvEUlmE_EEvS9_T2_RKT3_T4_EUlimE0_EEvlNS_15PhiloxCudaStateET1_SK_
; %bb.0:
	s_load_dword s2, s[4:5], 0x20
	s_load_dwordx2 s[0:1], s[4:5], 0x10
	s_load_dwordx4 s[24:27], s[4:5], 0x0
	s_waitcnt lgkmcnt(0)
	s_bitcmp0_b32 s2, 0
	s_mov_b32 s2, 0
	v_pk_mov_b32 v[2:3], s[0:1], s[0:1] op_sel:[0,1]
	v_pk_mov_b32 v[12:13], s[26:27], s[26:27] op_sel:[0,1]
	s_cbranch_scc1 .LBB13_2
; %bb.1:
	v_pk_mov_b32 v[2:3], s[0:1], s[0:1] op_sel:[0,1]
	flat_load_dwordx2 v[2:3], v[2:3]
	v_pk_mov_b32 v[4:5], s[26:27], s[26:27] op_sel:[0,1]
	flat_load_dwordx2 v[12:13], v[4:5]
	s_load_dwordx2 s[0:1], s[4:5], 0x18
	s_waitcnt lgkmcnt(0)
	v_mov_b32_e32 v1, s1
	s_waitcnt vmcnt(0)
	v_add_co_u32_e32 v2, vcc, s0, v2
	v_addc_co_u32_e32 v3, vcc, v3, v1, vcc
.LBB13_2:
	s_load_dword s0, s[4:5], 0x15c
	s_load_dword s7, s[4:5], 0x150
	s_waitcnt lgkmcnt(0)
	s_and_b32 s8, s0, 0xffff
	s_add_u32 s9, s24, -1
	s_mul_i32 s33, s7, s8
	s_addc_u32 s3, s25, -1
	s_lshl_b32 s62, s33, 1
	s_cmp_lg_u64 s[2:3], 0
	s_mov_b64 s[0:1], -1
	s_cbranch_scc0 .LBB13_59
; %bb.3:
	v_cvt_f32_u32_e32 v1, s62
	v_cvt_f32_ubyte0_e32 v4, 0
	s_sub_u32 s2, 0, s62
	s_subb_u32 s10, 0, 0
	v_madmk_f32 v1, v4, 0x4f800000, v1
	v_rcp_f32_e32 v1, v1
	v_mul_f32_e32 v1, 0x5f7ffffc, v1
	v_mul_f32_e32 v4, 0x2f800000, v1
	v_trunc_f32_e32 v4, v4
	v_madmk_f32 v1, v4, 0xcf800000, v1
	v_cvt_u32_f32_e32 v4, v4
	v_cvt_u32_f32_e32 v1, v1
	v_readfirstlane_b32 s11, v4
	v_readfirstlane_b32 s12, v1
	s_mul_i32 s13, s2, s11
	s_mul_hi_u32 s15, s2, s12
	s_mul_i32 s14, s10, s12
	s_add_i32 s13, s15, s13
	s_add_i32 s13, s13, s14
	s_mul_i32 s16, s2, s12
	s_mul_hi_u32 s14, s12, s13
	s_mul_i32 s15, s12, s13
	s_mul_hi_u32 s12, s12, s16
	s_add_u32 s12, s12, s15
	s_addc_u32 s14, 0, s14
	s_mul_hi_u32 s17, s11, s16
	s_mul_i32 s16, s11, s16
	s_add_u32 s12, s12, s16
	s_mul_hi_u32 s15, s11, s13
	s_addc_u32 s12, s14, s17
	s_addc_u32 s14, s15, 0
	s_mul_i32 s13, s11, s13
	s_add_u32 s12, s12, s13
	s_addc_u32 s13, 0, s14
	v_add_co_u32_e32 v1, vcc, s12, v1
	s_cmp_lg_u64 vcc, 0
	s_addc_u32 s11, s11, s13
	v_readfirstlane_b32 s13, v1
	s_mul_i32 s12, s2, s11
	s_mul_hi_u32 s14, s2, s13
	s_add_i32 s12, s14, s12
	s_mul_i32 s10, s10, s13
	s_add_i32 s12, s12, s10
	s_mul_i32 s2, s2, s13
	s_mul_hi_u32 s14, s11, s2
	s_mul_i32 s15, s11, s2
	s_mul_i32 s17, s13, s12
	s_mul_hi_u32 s2, s13, s2
	s_mul_hi_u32 s16, s13, s12
	s_add_u32 s2, s2, s17
	s_addc_u32 s13, 0, s16
	s_add_u32 s2, s2, s15
	s_mul_hi_u32 s10, s11, s12
	s_addc_u32 s2, s13, s14
	s_addc_u32 s10, s10, 0
	s_mul_i32 s12, s11, s12
	s_add_u32 s2, s2, s12
	s_addc_u32 s10, 0, s10
	v_add_co_u32_e32 v1, vcc, s2, v1
	s_cmp_lg_u64 vcc, 0
	s_addc_u32 s12, s11, s10
	s_ashr_i32 s10, s3, 31
	s_add_u32 s2, s9, s10
	s_mov_b32 s11, s10
	s_addc_u32 s3, s3, s10
	s_xor_b64 s[2:3], s[2:3], s[10:11]
	v_readfirstlane_b32 s15, v1
	s_mul_i32 s14, s2, s12
	s_mul_hi_u32 s16, s2, s15
	s_mul_hi_u32 s13, s2, s12
	s_add_u32 s14, s16, s14
	s_addc_u32 s13, 0, s13
	s_mul_hi_u32 s17, s3, s15
	s_mul_i32 s15, s3, s15
	s_add_u32 s14, s14, s15
	s_mul_hi_u32 s16, s3, s12
	s_addc_u32 s13, s13, s17
	s_addc_u32 s14, s16, 0
	s_mul_i32 s12, s3, s12
	s_add_u32 s12, s13, s12
	s_addc_u32 s13, 0, s14
	s_add_u32 s14, s12, 1
	s_addc_u32 s15, s13, 0
	s_add_u32 s16, s12, 2
	s_mul_i32 s18, s62, s13
	s_mul_hi_u32 s19, s62, s12
	s_addc_u32 s17, s13, 0
	s_add_i32 s19, s19, s18
	s_mul_i32 s18, s62, s12
	v_mov_b32_e32 v1, s18
	v_sub_co_u32_e32 v1, vcc, s2, v1
	s_cmp_lg_u64 vcc, 0
	s_subb_u32 s2, s3, s19
	v_subrev_co_u32_e32 v4, vcc, s62, v1
	s_cmp_lg_u64 vcc, 0
	s_subb_u32 s3, s2, 0
	v_readfirstlane_b32 s18, v4
	s_cmp_ge_u32 s18, s62
	s_cselect_b32 s18, -1, 0
	s_cmp_eq_u32 s3, 0
	s_cselect_b32 s3, s18, -1
	s_cmp_lg_u32 s3, 0
	s_cselect_b32 s3, s17, s15
	v_readfirstlane_b32 s15, v1
	s_cselect_b32 s14, s16, s14
	s_cmp_ge_u32 s15, s62
	s_cselect_b32 s15, -1, 0
	s_cmp_eq_u32 s2, 0
	s_cselect_b32 s2, s15, -1
	s_cmp_lg_u32 s2, 0
	s_cselect_b32 s3, s3, s13
	s_cselect_b32 s2, s14, s12
	s_xor_b64 s[2:3], s[2:3], s[10:11]
	s_sub_u32 s2, s2, s10
	s_subb_u32 s3, s3, s10
	s_cbranch_execnz .LBB13_5
.LBB13_4:
	v_cvt_f32_u32_e32 v1, s62
	s_sub_i32 s0, 0, s62
	s_mov_b32 s3, 0
	v_rcp_iflag_f32_e32 v1, v1
	v_mul_f32_e32 v1, 0x4f7ffffe, v1
	v_cvt_u32_f32_e32 v1, v1
	v_readfirstlane_b32 s1, v1
	s_mul_i32 s0, s0, s1
	s_mul_hi_u32 s0, s1, s0
	s_add_i32 s1, s1, s0
	s_mul_hi_u32 s0, s9, s1
	s_mul_i32 s2, s0, s62
	s_sub_i32 s2, s9, s2
	s_add_i32 s1, s0, 1
	s_sub_i32 s9, s2, s62
	s_cmp_ge_u32 s2, s62
	s_cselect_b32 s0, s1, s0
	s_cselect_b32 s2, s9, s2
	s_add_i32 s1, s0, 1
	s_cmp_ge_u32 s2, s62
	s_cselect_b32 s2, s1, s0
.LBB13_5:
	v_mov_b32_e32 v14, 0
	v_mov_b32_e32 v1, v14
	;; [unrolled: 1-line block ×3, first 2 shown]
	v_mad_u64_u32 v[16:17], s[0:1], s8, v4, v[0:1]
	s_add_u32 s0, s2, 1
	s_addc_u32 s1, s3, 0
	s_mul_hi_u32 s2, s7, s8
	s_mul_i32 s1, s33, s1
	s_mul_hi_u32 s3, s33, s0
	s_add_i32 s1, s3, s1
	s_mul_i32 s2, s2, s0
	s_add_i32 s1, s1, s2
	s_mul_i32 s0, s33, s0
	s_lshl_b64 s[26:27], s[0:1], 1
	v_cmp_gt_i64_e32 vcc, s[26:27], v[16:17]
	s_and_saveexec_b64 s[0:1], vcc
	s_cbranch_execz .LBB13_58
; %bb.6:
	s_mov_b32 s0, 0x5384540f
	v_mov_b32_e32 v0, v13
	v_add_co_u32_e32 v24, vcc, s0, v12
	s_mov_b32 s0, 0x646e171e
	v_add_co_u32_e32 v25, vcc, s0, v0
	s_mov_b32 s0, 0x1715609d
	;; [unrolled: 2-line block ×6, first 2 shown]
	v_alignbit_b32 v31, v3, v2, 2
	s_mov_b32 s64, 0xd2511f53
	v_add_co_u32_e32 v30, vcc, s0, v12
	v_mad_u64_u32 v[4:5], s[0:1], v31, s64, 0
	v_xor_b32_e32 v1, v5, v13
	v_xor_b32_e32 v1, v1, v17
	s_mov_b32 s65, 0xcd9e8d57
	v_mad_u64_u32 v[6:7], s[0:1], v1, s65, 0
	v_xor_b32_e32 v1, v30, v7
	v_mad_u64_u32 v[8:9], s[0:1], v16, s65, 0
	v_and_b32_e32 v20, 3, v2
	v_xor_b32_e32 v1, v1, v8
	v_xor_b32_e32 v2, v12, v9
	v_lshrrev_b32_e32 v32, 2, v3
	v_mad_u64_u32 v[10:11], s[0:1], v1, s64, 0
	v_xor_b32_e32 v2, v2, v32
	v_xor_b32_e32 v1, v29, v11
	v_mad_u64_u32 v[2:3], s[0:1], v2, s64, 0
	v_xor_b32_e32 v1, v1, v2
	v_mad_u64_u32 v[8:9], s[0:1], v1, s65, 0
	s_mov_b32 s0, 0xbb67ae85
	v_add_co_u32_e32 v33, vcc, s0, v0
	v_xor_b32_e32 v2, v33, v3
	v_xor_b32_e32 v2, v2, v4
	v_xor_b32_e32 v1, v28, v9
	v_mad_u64_u32 v[2:3], s[0:1], v2, s65, 0
	v_xor_b32_e32 v1, v1, v2
	v_mad_u64_u32 v[4:5], s[0:1], v1, s64, 0
	s_mov_b32 s0, 0x3c6ef372
	v_add_co_u32_e32 v34, vcc, s0, v12
	v_xor_b32_e32 v2, v34, v3
	;; [unrolled: 8-line block ×6, first 2 shown]
	v_add_co_u32_e32 v23, vcc, 0xdb3d7428, v0
	v_xor_b32_e32 v2, v2, v6
	v_xor_b32_e32 v1, v23, v5
	v_mad_u64_u32 v[2:3], s[0:1], v2, s64, 0
	v_xor_b32_e32 v1, v1, v2
	v_mad_u64_u32 v[6:7], s[0:1], v1, s65, 0
	s_mov_b32 s0, 0x1fd5c5a3
	v_add_co_u32_e32 v39, vcc, s0, v0
	v_xor_b32_e32 v0, v39, v3
	v_xor_b32_e32 v0, v0, v10
	v_mad_u64_u32 v[0:1], s[0:1], v0, s65, 0
	s_mov_b32 s0, 0xf1bbcdc8
	s_load_dwordx8 s[8:15], s[4:5], 0x30
	v_add_co_u32_e32 v40, vcc, s0, v12
	v_xor_b32_e32 v1, v40, v1
	v_xor_b32_e32 v1, v1, v8
	s_add_u32 s34, s4, 48
	v_mad_u64_u32 v[8:9], s[0:1], v1, s64, 0
	s_addc_u32 s35, s5, 0
	s_waitcnt lgkmcnt(0)
	s_add_i32 s0, s8, -1
	s_cmp_gt_u32 s0, 1
	s_cselect_b64 s[40:41], -1, 0
	s_cmp_lg_u32 s8, 0
	s_cselect_b64 s[42:43], -1, 0
	s_add_u32 s44, s4, 0xf4
	s_addc_u32 s45, s5, 0
	s_min_u32 s1, s0, 15
	s_cmp_gt_u32 s8, 1
	s_cselect_b64 s[46:47], -1, 0
	s_load_dwordx2 s[48:49], s[4:5], 0x148
	s_load_dwordx2 s[50:51], s[4:5], 0xf4
	s_load_dwordx4 s[28:31], s[4:5], 0x138
	s_add_i32 s1, s1, 1
	s_mov_b32 s8, s13
	s_and_b32 s13, s1, 3
	s_cmp_lg_u32 s0, 2
	s_cselect_b64 s[52:53], -1, 0
	s_and_b32 s15, s1, 28
	v_add_u32_e32 v21, 0x8ff34781, v12
	v_add_u32_e32 v22, 0x96a522ad, v13
	v_xor_b32_e32 v0, v7, v0
	v_xor_b32_e32 v1, v9, v4
	s_cmp_lg_u32 s13, 0
	s_mov_b32 s63, 0
	v_xor_b32_e32 v0, v21, v0
	v_xor_b32_e32 v2, v22, v1
	v_mov_b32_e32 v1, v6
	v_mov_b32_e32 v3, v8
	s_mov_b64 s[54:55], 0
	s_cselect_b64 s[56:57], -1, 0
	v_mov_b32_e32 v41, v16
	v_mov_b32_e32 v42, v17
	s_branch .LBB13_9
.LBB13_7:                               ;   in Loop: Header=BB13_9 Depth=1
	s_or_b64 exec, exec, s[0:1]
	v_mov_b32_e32 v1, s49
	v_add_co_u32_e32 v0, vcc, s48, v10
	v_addc_co_u32_e32 v1, vcc, v11, v1, vcc
	global_store_dwordx2 v8, v[0:1], s[28:29]
.LBB13_8:                               ;   in Loop: Header=BB13_9 Depth=1
	s_or_b64 exec, exec, s[36:37]
	v_add_co_u32_e32 v16, vcc, s62, v16
	v_addc_co_u32_e32 v17, vcc, 0, v17, vcc
	v_mov_b32_e32 v7, v18
	v_cmp_le_i64_e32 vcc, s[26:27], v[16:17]
	v_pk_mov_b32 v[0:1], v[4:5], v[4:5] op_sel:[0,1]
	s_or_b64 s[54:55], vcc, s[54:55]
	v_pk_mov_b32 v[2:3], v[6:7], v[6:7] op_sel:[0,1]
	s_waitcnt lgkmcnt(0)
	s_barrier
	s_andn2_b64 exec, exec, s[54:55]
	s_cbranch_execz .LBB13_58
.LBB13_9:                               ; =>This Loop Header: Depth=1
                                        ;     Child Loop BB13_24 Depth 2
                                        ;     Child Loop BB13_30 Depth 2
	;; [unrolled: 1-line block ×4, first 2 shown]
	v_add_co_u32_e32 v31, vcc, 1, v31
	v_cndmask_b32_e64 v4, 0, 1, vcc
	v_addc_co_u32_e32 v32, vcc, 0, v32, vcc
	v_cmp_eq_u32_e32 vcc, 0, v32
	v_cndmask_b32_e32 v4, 0, v4, vcc
	v_add_u32_e32 v41, v4, v41
	v_cmp_eq_u32_e32 vcc, 0, v41
	v_cndmask_b32_e32 v4, 0, v4, vcc
	v_add_u32_e32 v42, v4, v42
	v_mad_u64_u32 v[4:5], s[0:1], v31, s64, 0
	v_mad_u64_u32 v[6:7], s[0:1], v41, s65, 0
	v_xor_b32_e32 v5, v5, v13
	v_xor_b32_e32 v7, v7, v12
	v_xor_b32_e32 v5, v42, v5
	v_xor_b32_e32 v7, v32, v7
	v_mad_u64_u32 v[10:11], s[0:1], v5, s65, 0
	v_mad_u64_u32 v[8:9], s[0:1], v7, s64, 0
	v_xor_b32_e32 v5, v30, v11
	v_xor_b32_e32 v5, v5, v6
	v_xor_b32_e32 v6, v33, v9
	v_xor_b32_e32 v6, v6, v4
	;; [unrolled: 6-line block ×10, first 2 shown]
	v_mov_b32_e32 v5, v10
	v_mov_b32_e32 v6, v11
	v_cmp_lt_i32_e32 vcc, 1, v20
	s_and_saveexec_b64 s[0:1], vcc
	s_xor_b64 s[0:1], exec, s[0:1]
	s_cbranch_execz .LBB13_15
; %bb.10:                               ;   in Loop: Header=BB13_9 Depth=1
	v_cmp_lt_i32_e32 vcc, 2, v20
	s_and_saveexec_b64 s[2:3], vcc
	s_xor_b64 s[2:3], exec, s[2:3]
; %bb.11:                               ;   in Loop: Header=BB13_9 Depth=1
	v_mov_b32_e32 v8, v3
	v_mov_b32_e32 v9, v4
	v_pk_mov_b32 v[0:1], v[8:9], v[8:9] op_sel:[0,1]
	v_pk_mov_b32 v[2:3], v[10:11], v[10:11] op_sel:[0,1]
                                        ; implicit-def: $vgpr10_vgpr11
; %bb.12:                               ;   in Loop: Header=BB13_9 Depth=1
	s_andn2_saveexec_b64 s[2:3], s[2:3]
; %bb.13:                               ;   in Loop: Header=BB13_9 Depth=1
	v_mov_b32_e32 v0, v2
	v_mov_b32_e32 v1, v3
	;; [unrolled: 1-line block ×4, first 2 shown]
; %bb.14:                               ;   in Loop: Header=BB13_9 Depth=1
	s_or_b64 exec, exec, s[2:3]
.LBB13_15:                              ;   in Loop: Header=BB13_9 Depth=1
	s_andn2_saveexec_b64 s[0:1], s[0:1]
	s_cbranch_execz .LBB13_19
; %bb.16:                               ;   in Loop: Header=BB13_9 Depth=1
	v_cmp_eq_u32_e32 vcc, 1, v20
	s_and_saveexec_b64 s[2:3], vcc
; %bb.17:                               ;   in Loop: Header=BB13_9 Depth=1
	v_mov_b32_e32 v0, v1
	v_mov_b32_e32 v1, v2
	;; [unrolled: 1-line block ×4, first 2 shown]
; %bb.18:                               ;   in Loop: Header=BB13_9 Depth=1
	s_or_b64 exec, exec, s[2:3]
.LBB13_19:                              ;   in Loop: Header=BB13_9 Depth=1
	s_or_b64 exec, exec, s[0:1]
	v_cndmask_b32_e64 v7, 0, 1, s[40:41]
	v_cmp_gt_i64_e32 vcc, s[24:25], v[16:17]
	v_cmp_ne_u32_e64 s[0:1], 1, v7
	s_and_saveexec_b64 s[58:59], vcc
	s_cbranch_execz .LBB13_39
; %bb.20:                               ;   in Loop: Header=BB13_9 Depth=1
	s_and_b64 vcc, exec, s[0:1]
	s_cbranch_vccnz .LBB13_26
; %bb.21:                               ;   in Loop: Header=BB13_9 Depth=1
	s_andn2_b64 vcc, exec, s[42:43]
	s_cbranch_vccnz .LBB13_27
; %bb.22:                               ;   in Loop: Header=BB13_9 Depth=1
	s_mov_b32 s4, 0
	s_andn2_b64 vcc, exec, s[52:53]
	v_mov_b32_e32 v8, 0
	s_cbranch_vccnz .LBB13_28
; %bb.23:                               ;   in Loop: Header=BB13_9 Depth=1
	s_mov_b32 s66, 0
	v_mov_b32_e32 v8, 0
	s_mov_b64 s[2:3], s[34:35]
	s_mov_b64 s[60:61], s[44:45]
	v_mov_b32_e32 v7, v16
.LBB13_24:                              ;   Parent Loop BB13_9 Depth=1
                                        ; =>  This Inner Loop Header: Depth=2
	s_load_dwordx8 s[16:23], s[2:3], 0x4
	s_load_dwordx4 s[4:7], s[2:3], 0x24
	s_load_dwordx4 s[36:39], s[60:61], 0x0
	s_add_u32 s2, s2, 48
	s_addc_u32 s3, s3, 0
	s_waitcnt lgkmcnt(0)
	v_mul_hi_u32 v9, s17, v7
	v_add_u32_e32 v9, v7, v9
	v_lshrrev_b32_e32 v9, s18, v9
	v_mul_lo_u32 v10, v9, s16
	v_mul_hi_u32 v11, s20, v9
	v_sub_u32_e32 v7, v7, v10
	v_add_u32_e32 v10, v9, v11
	v_lshrrev_b32_e32 v10, s21, v10
	v_mul_lo_u32 v11, v10, s19
	v_mul_hi_u32 v15, s23, v10
	v_sub_u32_e32 v9, v9, v11
	v_add_u32_e32 v11, v10, v15
	v_mul_lo_u32 v7, v7, s36
	v_mul_lo_u32 v9, v9, s37
	v_lshrrev_b32_e32 v11, s4, v11
	v_add3_u32 v8, v7, v8, v9
	v_mul_lo_u32 v7, v11, s22
	v_mul_hi_u32 v9, s6, v11
	v_sub_u32_e32 v7, v10, v7
	v_add_u32_e32 v9, v11, v9
	v_mul_lo_u32 v10, v7, s38
	v_lshrrev_b32_e32 v7, s7, v9
	s_add_i32 s66, s66, 4
	v_mul_lo_u32 v9, v7, s5
	s_add_u32 s60, s60, 16
	v_sub_u32_e32 v9, v11, v9
	s_addc_u32 s61, s61, 0
	v_mul_lo_u32 v9, v9, s39
	s_cmp_lg_u32 s15, s66
	v_add3_u32 v8, v10, v8, v9
	s_cbranch_scc1 .LBB13_24
; %bb.25:                               ;   in Loop: Header=BB13_9 Depth=1
	s_mov_b32 s4, s15
	s_andn2_b64 vcc, exec, s[56:57]
	s_cbranch_vccz .LBB13_29
	s_branch .LBB13_31
.LBB13_26:                              ;   in Loop: Header=BB13_9 Depth=1
                                        ; implicit-def: $vgpr8
	s_branch .LBB13_32
.LBB13_27:                              ;   in Loop: Header=BB13_9 Depth=1
	v_mov_b32_e32 v8, 0
	s_branch .LBB13_31
.LBB13_28:                              ;   in Loop: Header=BB13_9 Depth=1
	v_mov_b32_e32 v7, v16
	s_andn2_b64 vcc, exec, s[56:57]
	s_cbranch_vccnz .LBB13_31
.LBB13_29:                              ;   in Loop: Header=BB13_9 Depth=1
	s_lshl_b32 s2, s4, 2
	s_add_u32 s2, s44, s2
	s_addc_u32 s3, s45, 0
	s_mul_i32 s4, s4, 12
	s_add_u32 s4, s34, s4
	s_addc_u32 s5, s35, 0
	s_mov_b32 s6, s13
.LBB13_30:                              ;   Parent Loop BB13_9 Depth=1
                                        ; =>  This Inner Loop Header: Depth=2
	s_load_dwordx2 s[16:17], s[4:5], 0x4
	s_load_dword s7, s[4:5], 0xc
	s_load_dword s18, s[2:3], 0x0
	s_add_u32 s4, s4, 12
	s_addc_u32 s5, s5, 0
	s_waitcnt lgkmcnt(0)
	v_mul_hi_u32 v9, s17, v7
	v_add_u32_e32 v9, v7, v9
	v_lshrrev_b32_e32 v9, s7, v9
	s_add_u32 s2, s2, 4
	v_mul_lo_u32 v10, v9, s16
	s_addc_u32 s3, s3, 0
	s_add_i32 s6, s6, -1
	v_sub_u32_e32 v10, v7, v10
	s_cmp_lg_u32 s6, 0
	v_mov_b32_e32 v7, v9
	v_mad_u64_u32 v[8:9], s[16:17], v10, s18, v[8:9]
	s_cbranch_scc1 .LBB13_30
.LBB13_31:                              ;   in Loop: Header=BB13_9 Depth=1
	s_cbranch_execnz .LBB13_34
.LBB13_32:                              ;   in Loop: Header=BB13_9 Depth=1
	v_mul_hi_u32 v7, v16, s10
	v_add_u32_e32 v7, v7, v16
	v_lshrrev_b32_e32 v7, s11, v7
	v_mul_lo_u32 v8, v7, s9
	v_sub_u32_e32 v8, v16, v8
	s_andn2_b64 vcc, exec, s[46:47]
	s_waitcnt lgkmcnt(0)
	v_mul_lo_u32 v8, v8, s50
	s_cbranch_vccnz .LBB13_34
; %bb.33:                               ;   in Loop: Header=BB13_9 Depth=1
	v_mul_hi_u32 v9, s8, v7
	v_add_u32_e32 v9, v7, v9
	v_lshrrev_b32_e32 v9, s14, v9
	v_mul_lo_u32 v9, v9, s12
	v_sub_u32_e32 v7, v7, v9
	v_mad_u64_u32 v[8:9], s[2:3], v7, s51, v[8:9]
.LBB13_34:                              ;   in Loop: Header=BB13_9 Depth=1
	s_waitcnt lgkmcnt(0)
	v_or_b32_e32 v15, s31, v0
	v_cmp_ne_u64_e32 vcc, 0, v[14:15]
                                        ; implicit-def: $vgpr10_vgpr11
	s_and_saveexec_b64 s[2:3], vcc
	s_xor_b64 s[6:7], exec, s[2:3]
	s_cbranch_execz .LBB13_36
; %bb.35:                               ;   in Loop: Header=BB13_9 Depth=1
	v_cvt_f32_u32_e32 v7, s30
	v_cvt_f32_u32_e32 v9, s31
	s_sub_u32 s2, 0, s30
	s_subb_u32 s3, 0, s31
	v_mac_f32_e32 v7, 0x4f800000, v9
	v_rcp_f32_e32 v7, v7
	v_mul_f32_e32 v7, 0x5f7ffffc, v7
	v_mul_f32_e32 v9, 0x2f800000, v7
	v_trunc_f32_e32 v9, v9
	v_mac_f32_e32 v7, 0xcf800000, v9
	v_cvt_u32_f32_e32 v9, v9
	v_cvt_u32_f32_e32 v7, v7
	v_mul_lo_u32 v10, s2, v9
	v_mul_hi_u32 v15, s2, v7
	v_mul_lo_u32 v11, s3, v7
	v_add_u32_e32 v10, v15, v10
	v_mul_lo_u32 v19, s2, v7
	v_add_u32_e32 v10, v10, v11
	v_mul_hi_u32 v15, v7, v19
	v_mul_lo_u32 v43, v7, v10
	v_mul_hi_u32 v11, v7, v10
	v_add_co_u32_e32 v15, vcc, v15, v43
	v_addc_co_u32_e32 v11, vcc, 0, v11, vcc
	v_mul_hi_u32 v44, v9, v19
	v_mul_lo_u32 v19, v9, v19
	v_add_co_u32_e32 v15, vcc, v15, v19
	v_mul_hi_u32 v43, v9, v10
	v_addc_co_u32_e32 v11, vcc, v11, v44, vcc
	v_addc_co_u32_e32 v15, vcc, 0, v43, vcc
	v_mul_lo_u32 v10, v9, v10
	v_add_co_u32_e32 v10, vcc, v11, v10
	v_addc_co_u32_e32 v11, vcc, 0, v15, vcc
	v_add_co_u32_e32 v7, vcc, v7, v10
	v_addc_co_u32_e32 v9, vcc, v9, v11, vcc
	v_mul_lo_u32 v10, s2, v9
	v_mul_hi_u32 v11, s2, v7
	v_add_u32_e32 v10, v11, v10
	v_mul_lo_u32 v11, s3, v7
	v_add_u32_e32 v10, v10, v11
	v_mul_lo_u32 v15, s2, v7
	v_mul_hi_u32 v19, v9, v15
	v_mul_lo_u32 v43, v9, v15
	v_mul_lo_u32 v45, v7, v10
	v_mul_hi_u32 v15, v7, v15
	v_mul_hi_u32 v44, v7, v10
	v_add_co_u32_e32 v15, vcc, v15, v45
	v_addc_co_u32_e32 v44, vcc, 0, v44, vcc
	v_add_co_u32_e32 v15, vcc, v15, v43
	v_mul_hi_u32 v11, v9, v10
	v_addc_co_u32_e32 v15, vcc, v44, v19, vcc
	v_addc_co_u32_e32 v11, vcc, 0, v11, vcc
	v_mul_lo_u32 v10, v9, v10
	v_add_co_u32_e32 v10, vcc, v15, v10
	v_addc_co_u32_e32 v11, vcc, 0, v11, vcc
	v_add_co_u32_e32 v7, vcc, v7, v10
	v_addc_co_u32_e32 v9, vcc, v9, v11, vcc
	v_mad_u64_u32 v[10:11], s[2:3], v1, v9, 0
	v_mul_hi_u32 v15, v1, v7
	v_add_co_u32_e32 v15, vcc, v15, v10
	v_addc_co_u32_e32 v19, vcc, 0, v11, vcc
	v_mad_u64_u32 v[44:45], s[2:3], v0, v7, 0
	v_add_co_u32_e32 v7, vcc, v15, v44
	v_mad_u64_u32 v[10:11], s[2:3], v0, v9, 0
	v_addc_co_u32_e32 v7, vcc, v19, v45, vcc
	v_addc_co_u32_e32 v9, vcc, 0, v11, vcc
	v_add_co_u32_e32 v7, vcc, v7, v10
	v_addc_co_u32_e32 v9, vcc, 0, v9, vcc
	v_mul_lo_u32 v15, s31, v7
	v_mul_lo_u32 v9, s30, v9
	v_mad_u64_u32 v[10:11], s[2:3], s30, v7, 0
	v_add3_u32 v7, v11, v9, v15
	v_sub_u32_e32 v9, v0, v7
	v_mov_b32_e32 v11, s31
	v_sub_co_u32_e32 v10, vcc, v1, v10
	v_subb_co_u32_e64 v9, s[2:3], v9, v11, vcc
	v_subrev_co_u32_e64 v15, s[2:3], s30, v10
	v_subbrev_co_u32_e64 v19, s[4:5], 0, v9, s[2:3]
	v_cmp_le_u32_e64 s[4:5], s31, v19
	v_cndmask_b32_e64 v43, 0, -1, s[4:5]
	v_cmp_le_u32_e64 s[4:5], s30, v15
	v_subb_co_u32_e32 v0, vcc, v0, v7, vcc
	v_cndmask_b32_e64 v44, 0, -1, s[4:5]
	v_cmp_eq_u32_e64 s[4:5], s31, v19
	v_subb_co_u32_e64 v9, s[2:3], v9, v11, s[2:3]
	v_cmp_le_u32_e32 vcc, s31, v0
	v_cndmask_b32_e64 v43, v43, v44, s[4:5]
	v_subrev_co_u32_e64 v44, s[2:3], s30, v15
	v_cndmask_b32_e64 v7, 0, -1, vcc
	v_cmp_le_u32_e32 vcc, s30, v10
	v_subbrev_co_u32_e64 v9, s[2:3], 0, v9, s[2:3]
	v_cndmask_b32_e64 v11, 0, -1, vcc
	v_cmp_eq_u32_e32 vcc, s31, v0
	v_cmp_ne_u32_e64 s[2:3], 0, v43
	v_cndmask_b32_e32 v7, v7, v11, vcc
	v_cndmask_b32_e64 v9, v19, v9, s[2:3]
	v_cmp_ne_u32_e32 vcc, 0, v7
	v_cndmask_b32_e32 v11, v0, v9, vcc
	v_cndmask_b32_e64 v0, v15, v44, s[2:3]
	v_cndmask_b32_e32 v10, v10, v0, vcc
.LBB13_36:                              ;   in Loop: Header=BB13_9 Depth=1
	s_andn2_saveexec_b64 s[2:3], s[6:7]
	s_cbranch_execz .LBB13_38
; %bb.37:                               ;   in Loop: Header=BB13_9 Depth=1
	v_cvt_f32_u32_e32 v0, s30
	s_sub_i32 s4, 0, s30
	v_mov_b32_e32 v11, v14
	v_rcp_iflag_f32_e32 v0, v0
	v_mul_f32_e32 v0, 0x4f7ffffe, v0
	v_cvt_u32_f32_e32 v0, v0
	v_mul_lo_u32 v7, s4, v0
	v_mul_hi_u32 v7, v0, v7
	v_add_u32_e32 v0, v0, v7
	v_mul_hi_u32 v0, v1, v0
	v_mul_lo_u32 v0, v0, s30
	v_sub_u32_e32 v0, v1, v0
	v_subrev_u32_e32 v1, s30, v0
	v_cmp_le_u32_e32 vcc, s30, v0
	v_cndmask_b32_e32 v0, v0, v1, vcc
	v_subrev_u32_e32 v1, s30, v0
	v_cmp_le_u32_e32 vcc, s30, v0
	v_cndmask_b32_e32 v10, v0, v1, vcc
.LBB13_38:                              ;   in Loop: Header=BB13_9 Depth=1
	s_or_b64 exec, exec, s[2:3]
	v_mov_b32_e32 v1, s49
	v_add_co_u32_e32 v0, vcc, s48, v10
	v_addc_co_u32_e32 v1, vcc, v11, v1, vcc
	global_store_dwordx2 v8, v[0:1], s[28:29]
.LBB13_39:                              ;   in Loop: Header=BB13_9 Depth=1
	s_or_b64 exec, exec, s[58:59]
	v_mov_b32_e32 v1, s63
	v_add_co_u32_e32 v0, vcc, s33, v16
	v_addc_co_u32_e32 v1, vcc, v17, v1, vcc
	v_cmp_gt_i64_e32 vcc, s[24:25], v[0:1]
	s_and_saveexec_b64 s[36:37], vcc
	s_cbranch_execz .LBB13_8
; %bb.40:                               ;   in Loop: Header=BB13_9 Depth=1
	s_and_b64 vcc, exec, s[0:1]
	s_cbranch_vccnz .LBB13_46
; %bb.41:                               ;   in Loop: Header=BB13_9 Depth=1
	s_andn2_b64 vcc, exec, s[42:43]
	s_cbranch_vccnz .LBB13_47
; %bb.42:                               ;   in Loop: Header=BB13_9 Depth=1
	s_mov_b32 s2, 0
	s_andn2_b64 vcc, exec, s[52:53]
	v_mov_b32_e32 v8, 0
	s_cbranch_vccnz .LBB13_48
; %bb.43:                               ;   in Loop: Header=BB13_9 Depth=1
	s_mov_b32 s60, 0
	v_mov_b32_e32 v8, 0
	s_mov_b64 s[38:39], s[34:35]
	s_mov_b64 s[58:59], s[44:45]
	v_mov_b32_e32 v1, v0
.LBB13_44:                              ;   Parent Loop BB13_9 Depth=1
                                        ; =>  This Inner Loop Header: Depth=2
	s_load_dwordx8 s[0:7], s[38:39], 0x4
	s_load_dwordx4 s[16:19], s[38:39], 0x24
	s_load_dwordx4 s[20:23], s[58:59], 0x0
	s_add_u32 s38, s38, 48
	s_addc_u32 s39, s39, 0
	s_waitcnt lgkmcnt(0)
	v_mul_hi_u32 v7, s1, v1
	v_add_u32_e32 v7, v1, v7
	v_lshrrev_b32_e32 v7, s2, v7
	v_mul_lo_u32 v9, v7, s0
	v_mul_hi_u32 v10, s4, v7
	v_sub_u32_e32 v1, v1, v9
	v_add_u32_e32 v9, v7, v10
	v_lshrrev_b32_e32 v9, s5, v9
	v_mul_lo_u32 v10, v9, s3
	v_mul_hi_u32 v11, s7, v9
	v_sub_u32_e32 v7, v7, v10
	v_add_u32_e32 v10, v9, v11
	v_mul_lo_u32 v1, v1, s20
	v_mul_lo_u32 v7, v7, s21
	v_lshrrev_b32_e32 v10, s16, v10
	v_add3_u32 v7, v1, v8, v7
	v_mul_lo_u32 v1, v10, s6
	v_mul_hi_u32 v8, s18, v10
	v_sub_u32_e32 v1, v9, v1
	v_add_u32_e32 v8, v10, v8
	v_mul_lo_u32 v9, v1, s22
	v_lshrrev_b32_e32 v1, s19, v8
	s_add_i32 s60, s60, 4
	v_mul_lo_u32 v8, v1, s17
	s_add_u32 s58, s58, 16
	v_sub_u32_e32 v8, v10, v8
	s_addc_u32 s59, s59, 0
	v_mul_lo_u32 v8, v8, s23
	s_cmp_eq_u32 s15, s60
	v_add3_u32 v8, v9, v7, v8
	s_cbranch_scc0 .LBB13_44
; %bb.45:                               ;   in Loop: Header=BB13_9 Depth=1
	s_mov_b32 s2, s15
	s_andn2_b64 vcc, exec, s[56:57]
	s_cbranch_vccz .LBB13_49
	s_branch .LBB13_51
.LBB13_46:                              ;   in Loop: Header=BB13_9 Depth=1
                                        ; implicit-def: $vgpr8
	s_branch .LBB13_52
.LBB13_47:                              ;   in Loop: Header=BB13_9 Depth=1
	v_mov_b32_e32 v8, 0
	s_branch .LBB13_51
.LBB13_48:                              ;   in Loop: Header=BB13_9 Depth=1
	v_mov_b32_e32 v1, v0
	s_andn2_b64 vcc, exec, s[56:57]
	s_cbranch_vccnz .LBB13_51
.LBB13_49:                              ;   in Loop: Header=BB13_9 Depth=1
	s_lshl_b32 s0, s2, 2
	s_add_u32 s0, s44, s0
	s_addc_u32 s1, s45, 0
	s_mul_i32 s2, s2, 12
	s_add_u32 s2, s34, s2
	s_addc_u32 s3, s35, 0
	s_mov_b32 s4, s13
.LBB13_50:                              ;   Parent Loop BB13_9 Depth=1
                                        ; =>  This Inner Loop Header: Depth=2
	s_load_dwordx2 s[6:7], s[2:3], 0x4
	s_load_dword s5, s[2:3], 0xc
	s_load_dword s16, s[0:1], 0x0
	s_add_u32 s2, s2, 12
	s_addc_u32 s3, s3, 0
	s_waitcnt lgkmcnt(0)
	v_mul_hi_u32 v7, s7, v1
	v_add_u32_e32 v7, v1, v7
	v_lshrrev_b32_e32 v7, s5, v7
	s_add_u32 s0, s0, 4
	v_mul_lo_u32 v9, v7, s6
	s_addc_u32 s1, s1, 0
	s_add_i32 s4, s4, -1
	v_sub_u32_e32 v9, v1, v9
	s_cmp_lg_u32 s4, 0
	v_mov_b32_e32 v1, v7
	v_mad_u64_u32 v[8:9], s[6:7], v9, s16, v[8:9]
	s_cbranch_scc1 .LBB13_50
.LBB13_51:                              ;   in Loop: Header=BB13_9 Depth=1
	s_cbranch_execnz .LBB13_54
.LBB13_52:                              ;   in Loop: Header=BB13_9 Depth=1
	v_mul_hi_u32 v1, v0, s10
	v_add_u32_e32 v1, v1, v0
	v_lshrrev_b32_e32 v1, s11, v1
	v_mul_lo_u32 v7, v1, s9
	v_sub_u32_e32 v0, v0, v7
	s_andn2_b64 vcc, exec, s[46:47]
	s_waitcnt lgkmcnt(0)
	v_mul_lo_u32 v8, v0, s50
	s_cbranch_vccnz .LBB13_54
; %bb.53:                               ;   in Loop: Header=BB13_9 Depth=1
	v_mul_hi_u32 v0, s8, v1
	v_add_u32_e32 v0, v1, v0
	v_lshrrev_b32_e32 v0, s14, v0
	v_mul_lo_u32 v0, v0, s12
	v_sub_u32_e32 v0, v1, v0
	v_mad_u64_u32 v[8:9], s[0:1], v0, s51, v[8:9]
.LBB13_54:                              ;   in Loop: Header=BB13_9 Depth=1
	s_waitcnt lgkmcnt(0)
	v_or_b32_e32 v15, s31, v2
	v_cmp_ne_u64_e32 vcc, 0, v[14:15]
                                        ; implicit-def: $vgpr10_vgpr11
	s_and_saveexec_b64 s[0:1], vcc
	s_xor_b64 s[4:5], exec, s[0:1]
	s_cbranch_execz .LBB13_56
; %bb.55:                               ;   in Loop: Header=BB13_9 Depth=1
	v_cvt_f32_u32_e32 v0, s30
	v_cvt_f32_u32_e32 v1, s31
	s_sub_u32 s0, 0, s30
	s_subb_u32 s1, 0, s31
	v_mac_f32_e32 v0, 0x4f800000, v1
	v_rcp_f32_e32 v0, v0
	v_mul_f32_e32 v0, 0x5f7ffffc, v0
	v_mul_f32_e32 v1, 0x2f800000, v0
	v_trunc_f32_e32 v1, v1
	v_mac_f32_e32 v0, 0xcf800000, v1
	v_cvt_u32_f32_e32 v1, v1
	v_cvt_u32_f32_e32 v0, v0
	v_mul_lo_u32 v7, s0, v1
	v_mul_hi_u32 v10, s0, v0
	v_mul_lo_u32 v9, s1, v0
	v_add_u32_e32 v7, v10, v7
	v_mul_lo_u32 v11, s0, v0
	v_add_u32_e32 v7, v7, v9
	v_mul_hi_u32 v10, v0, v11
	v_mul_lo_u32 v15, v0, v7
	v_mul_hi_u32 v9, v0, v7
	v_add_co_u32_e32 v10, vcc, v10, v15
	v_addc_co_u32_e32 v9, vcc, 0, v9, vcc
	v_mul_hi_u32 v19, v1, v11
	v_mul_lo_u32 v11, v1, v11
	v_add_co_u32_e32 v10, vcc, v10, v11
	v_mul_hi_u32 v15, v1, v7
	v_addc_co_u32_e32 v9, vcc, v9, v19, vcc
	v_addc_co_u32_e32 v10, vcc, 0, v15, vcc
	v_mul_lo_u32 v7, v1, v7
	v_add_co_u32_e32 v7, vcc, v9, v7
	v_addc_co_u32_e32 v9, vcc, 0, v10, vcc
	v_add_co_u32_e32 v0, vcc, v0, v7
	v_addc_co_u32_e32 v1, vcc, v1, v9, vcc
	v_mul_lo_u32 v7, s0, v1
	v_mul_hi_u32 v9, s0, v0
	v_add_u32_e32 v7, v9, v7
	v_mul_lo_u32 v9, s1, v0
	v_add_u32_e32 v7, v7, v9
	v_mul_lo_u32 v10, s0, v0
	v_mul_hi_u32 v11, v1, v10
	v_mul_lo_u32 v15, v1, v10
	v_mul_lo_u32 v43, v0, v7
	v_mul_hi_u32 v10, v0, v10
	v_mul_hi_u32 v19, v0, v7
	v_add_co_u32_e32 v10, vcc, v10, v43
	v_addc_co_u32_e32 v19, vcc, 0, v19, vcc
	v_add_co_u32_e32 v10, vcc, v10, v15
	v_mul_hi_u32 v9, v1, v7
	v_addc_co_u32_e32 v10, vcc, v19, v11, vcc
	v_addc_co_u32_e32 v9, vcc, 0, v9, vcc
	v_mul_lo_u32 v7, v1, v7
	v_add_co_u32_e32 v7, vcc, v10, v7
	v_addc_co_u32_e32 v9, vcc, 0, v9, vcc
	v_add_co_u32_e32 v7, vcc, v0, v7
	v_addc_co_u32_e32 v9, vcc, v1, v9, vcc
	v_mad_u64_u32 v[0:1], s[0:1], v3, v9, 0
	v_mul_hi_u32 v10, v3, v7
	v_add_co_u32_e32 v15, vcc, v10, v0
	v_addc_co_u32_e32 v19, vcc, 0, v1, vcc
	v_mad_u64_u32 v[10:11], s[0:1], v2, v7, 0
	v_add_co_u32_e32 v7, vcc, v15, v10
	v_mad_u64_u32 v[0:1], s[0:1], v2, v9, 0
	v_addc_co_u32_e32 v7, vcc, v19, v11, vcc
	v_addc_co_u32_e32 v1, vcc, 0, v1, vcc
	v_add_co_u32_e32 v0, vcc, v7, v0
	v_addc_co_u32_e32 v1, vcc, 0, v1, vcc
	v_mul_lo_u32 v7, s31, v0
	v_mul_lo_u32 v9, s30, v1
	v_mad_u64_u32 v[0:1], s[0:1], s30, v0, 0
	v_add3_u32 v1, v1, v9, v7
	v_sub_u32_e32 v7, v2, v1
	v_mov_b32_e32 v9, s31
	v_sub_co_u32_e32 v0, vcc, v3, v0
	v_subb_co_u32_e64 v3, s[0:1], v7, v9, vcc
	v_subrev_co_u32_e64 v7, s[0:1], s30, v0
	v_subbrev_co_u32_e64 v10, s[2:3], 0, v3, s[0:1]
	v_cmp_le_u32_e64 s[2:3], s31, v10
	v_cndmask_b32_e64 v11, 0, -1, s[2:3]
	v_cmp_le_u32_e64 s[2:3], s30, v7
	v_subb_co_u32_e64 v3, s[0:1], v3, v9, s[0:1]
	v_cndmask_b32_e64 v15, 0, -1, s[2:3]
	v_cmp_eq_u32_e64 s[2:3], s31, v10
	v_subrev_co_u32_e64 v9, s[0:1], s30, v7
	v_subb_co_u32_e32 v1, vcc, v2, v1, vcc
	v_cndmask_b32_e64 v11, v11, v15, s[2:3]
	v_subbrev_co_u32_e64 v3, s[0:1], 0, v3, s[0:1]
	v_cmp_le_u32_e32 vcc, s31, v1
	v_cmp_ne_u32_e64 s[0:1], 0, v11
	v_cndmask_b32_e64 v2, 0, -1, vcc
	v_cmp_le_u32_e32 vcc, s30, v0
	v_cndmask_b32_e64 v3, v10, v3, s[0:1]
	v_cndmask_b32_e64 v10, 0, -1, vcc
	v_cmp_eq_u32_e32 vcc, s31, v1
	v_cndmask_b32_e32 v2, v2, v10, vcc
	v_cmp_ne_u32_e32 vcc, 0, v2
	v_cndmask_b32_e32 v11, v1, v3, vcc
	v_cndmask_b32_e64 v1, v7, v9, s[0:1]
	v_cndmask_b32_e32 v10, v0, v1, vcc
                                        ; implicit-def: $vgpr0_vgpr1_vgpr2_vgpr3
.LBB13_56:                              ;   in Loop: Header=BB13_9 Depth=1
	s_andn2_saveexec_b64 s[0:1], s[4:5]
	s_cbranch_execz .LBB13_7
; %bb.57:                               ;   in Loop: Header=BB13_9 Depth=1
	v_cvt_f32_u32_e32 v0, s30
	s_sub_i32 s2, 0, s30
	v_mov_b32_e32 v11, v14
	v_rcp_iflag_f32_e32 v0, v0
	v_mul_f32_e32 v0, 0x4f7ffffe, v0
	v_cvt_u32_f32_e32 v0, v0
	v_mul_lo_u32 v1, s2, v0
	v_mul_hi_u32 v1, v0, v1
	v_add_u32_e32 v0, v0, v1
	v_mul_hi_u32 v0, v3, v0
	v_mul_lo_u32 v0, v0, s30
	v_sub_u32_e32 v0, v3, v0
	v_subrev_u32_e32 v1, s30, v0
	v_cmp_le_u32_e32 vcc, s30, v0
	v_cndmask_b32_e32 v0, v0, v1, vcc
	v_subrev_u32_e32 v1, s30, v0
	v_cmp_le_u32_e32 vcc, s30, v0
	v_cndmask_b32_e32 v10, v0, v1, vcc
	s_branch .LBB13_7
.LBB13_58:
	s_endpgm
.LBB13_59:
                                        ; implicit-def: $sgpr2_sgpr3
	s_andn2_b64 vcc, exec, s[0:1]
	s_cbranch_vccz .LBB13_4
	s_branch .LBB13_5
	.section	.rodata,"a",@progbits
	.p2align	6, 0x0
	.amdhsa_kernel _ZN2at6native12_GLOBAL__N_143distribution_elementwise_grid_stride_kernelImLi2EZZZNS0_9templates4cuda21random_from_to_kernelIPNS_17CUDAGeneratorImplEEEvRNS_18TensorIteratorBaseEmlT_ENKUlvE_clEvENKUlvE2_clEvEUlP25hiprandStatePhilox4_32_10E_ZNS1_27distribution_nullary_kernelIlm15HIP_vector_typeIyLj2EES7_SF_ZZZNS5_IS7_EEvS9_mlSA_ENKSB_clEvENKSC_clEvEUlmE_EEvS9_T2_RKT3_T4_EUlimE0_EEvlNS_15PhiloxCudaStateET1_SK_
		.amdhsa_group_segment_fixed_size 0
		.amdhsa_private_segment_fixed_size 0
		.amdhsa_kernarg_size 592
		.amdhsa_user_sgpr_count 6
		.amdhsa_user_sgpr_private_segment_buffer 1
		.amdhsa_user_sgpr_dispatch_ptr 0
		.amdhsa_user_sgpr_queue_ptr 0
		.amdhsa_user_sgpr_kernarg_segment_ptr 1
		.amdhsa_user_sgpr_dispatch_id 0
		.amdhsa_user_sgpr_flat_scratch_init 0
		.amdhsa_user_sgpr_kernarg_preload_length 0
		.amdhsa_user_sgpr_kernarg_preload_offset 0
		.amdhsa_user_sgpr_private_segment_size 0
		.amdhsa_uses_dynamic_stack 0
		.amdhsa_system_sgpr_private_segment_wavefront_offset 0
		.amdhsa_system_sgpr_workgroup_id_x 1
		.amdhsa_system_sgpr_workgroup_id_y 0
		.amdhsa_system_sgpr_workgroup_id_z 0
		.amdhsa_system_sgpr_workgroup_info 0
		.amdhsa_system_vgpr_workitem_id 0
		.amdhsa_next_free_vgpr 46
		.amdhsa_next_free_sgpr 67
		.amdhsa_accum_offset 48
		.amdhsa_reserve_vcc 1
		.amdhsa_reserve_flat_scratch 0
		.amdhsa_float_round_mode_32 0
		.amdhsa_float_round_mode_16_64 0
		.amdhsa_float_denorm_mode_32 3
		.amdhsa_float_denorm_mode_16_64 3
		.amdhsa_dx10_clamp 1
		.amdhsa_ieee_mode 1
		.amdhsa_fp16_overflow 0
		.amdhsa_tg_split 0
		.amdhsa_exception_fp_ieee_invalid_op 0
		.amdhsa_exception_fp_denorm_src 0
		.amdhsa_exception_fp_ieee_div_zero 0
		.amdhsa_exception_fp_ieee_overflow 0
		.amdhsa_exception_fp_ieee_underflow 0
		.amdhsa_exception_fp_ieee_inexact 0
		.amdhsa_exception_int_div_zero 0
	.end_amdhsa_kernel
	.section	.text._ZN2at6native12_GLOBAL__N_143distribution_elementwise_grid_stride_kernelImLi2EZZZNS0_9templates4cuda21random_from_to_kernelIPNS_17CUDAGeneratorImplEEEvRNS_18TensorIteratorBaseEmlT_ENKUlvE_clEvENKUlvE2_clEvEUlP25hiprandStatePhilox4_32_10E_ZNS1_27distribution_nullary_kernelIlm15HIP_vector_typeIyLj2EES7_SF_ZZZNS5_IS7_EEvS9_mlSA_ENKSB_clEvENKSC_clEvEUlmE_EEvS9_T2_RKT3_T4_EUlimE0_EEvlNS_15PhiloxCudaStateET1_SK_,"axG",@progbits,_ZN2at6native12_GLOBAL__N_143distribution_elementwise_grid_stride_kernelImLi2EZZZNS0_9templates4cuda21random_from_to_kernelIPNS_17CUDAGeneratorImplEEEvRNS_18TensorIteratorBaseEmlT_ENKUlvE_clEvENKUlvE2_clEvEUlP25hiprandStatePhilox4_32_10E_ZNS1_27distribution_nullary_kernelIlm15HIP_vector_typeIyLj2EES7_SF_ZZZNS5_IS7_EEvS9_mlSA_ENKSB_clEvENKSC_clEvEUlmE_EEvS9_T2_RKT3_T4_EUlimE0_EEvlNS_15PhiloxCudaStateET1_SK_,comdat
.Lfunc_end13:
	.size	_ZN2at6native12_GLOBAL__N_143distribution_elementwise_grid_stride_kernelImLi2EZZZNS0_9templates4cuda21random_from_to_kernelIPNS_17CUDAGeneratorImplEEEvRNS_18TensorIteratorBaseEmlT_ENKUlvE_clEvENKUlvE2_clEvEUlP25hiprandStatePhilox4_32_10E_ZNS1_27distribution_nullary_kernelIlm15HIP_vector_typeIyLj2EES7_SF_ZZZNS5_IS7_EEvS9_mlSA_ENKSB_clEvENKSC_clEvEUlmE_EEvS9_T2_RKT3_T4_EUlimE0_EEvlNS_15PhiloxCudaStateET1_SK_, .Lfunc_end13-_ZN2at6native12_GLOBAL__N_143distribution_elementwise_grid_stride_kernelImLi2EZZZNS0_9templates4cuda21random_from_to_kernelIPNS_17CUDAGeneratorImplEEEvRNS_18TensorIteratorBaseEmlT_ENKUlvE_clEvENKUlvE2_clEvEUlP25hiprandStatePhilox4_32_10E_ZNS1_27distribution_nullary_kernelIlm15HIP_vector_typeIyLj2EES7_SF_ZZZNS5_IS7_EEvS9_mlSA_ENKSB_clEvENKSC_clEvEUlmE_EEvS9_T2_RKT3_T4_EUlimE0_EEvlNS_15PhiloxCudaStateET1_SK_
                                        ; -- End function
	.section	.AMDGPU.csdata,"",@progbits
; Kernel info:
; codeLenInByte = 4680
; NumSgprs: 71
; NumVgprs: 46
; NumAgprs: 0
; TotalNumVgprs: 46
; ScratchSize: 0
; MemoryBound: 0
; FloatMode: 240
; IeeeMode: 1
; LDSByteSize: 0 bytes/workgroup (compile time only)
; SGPRBlocks: 8
; VGPRBlocks: 5
; NumSGPRsForWavesPerEU: 71
; NumVGPRsForWavesPerEU: 46
; AccumOffset: 48
; Occupancy: 8
; WaveLimiterHint : 1
; COMPUTE_PGM_RSRC2:SCRATCH_EN: 0
; COMPUTE_PGM_RSRC2:USER_SGPR: 6
; COMPUTE_PGM_RSRC2:TRAP_HANDLER: 0
; COMPUTE_PGM_RSRC2:TGID_X_EN: 1
; COMPUTE_PGM_RSRC2:TGID_Y_EN: 0
; COMPUTE_PGM_RSRC2:TGID_Z_EN: 0
; COMPUTE_PGM_RSRC2:TIDIG_COMP_CNT: 0
; COMPUTE_PGM_RSRC3_GFX90A:ACCUM_OFFSET: 11
; COMPUTE_PGM_RSRC3_GFX90A:TG_SPLIT: 0
	.section	.text._ZN2at6native12_GLOBAL__N_143distribution_elementwise_grid_stride_kernelIjLi4EZZZNS0_9templates4cuda21random_from_to_kernelIPNS_17CUDAGeneratorImplEEEvRNS_18TensorIteratorBaseEmlT_ENKUlvE_clEvENKUlvE2_clEvEUlP25hiprandStatePhilox4_32_10E0_ZNS1_27distribution_nullary_kernelIlj15HIP_vector_typeIjLj4EES7_SF_ZZZNS5_IS7_EEvS9_mlSA_ENKSB_clEvENKSC_clEvEUljE_EEvS9_T2_RKT3_T4_EUlijE_EEvlNS_15PhiloxCudaStateET1_SK_,"axG",@progbits,_ZN2at6native12_GLOBAL__N_143distribution_elementwise_grid_stride_kernelIjLi4EZZZNS0_9templates4cuda21random_from_to_kernelIPNS_17CUDAGeneratorImplEEEvRNS_18TensorIteratorBaseEmlT_ENKUlvE_clEvENKUlvE2_clEvEUlP25hiprandStatePhilox4_32_10E0_ZNS1_27distribution_nullary_kernelIlj15HIP_vector_typeIjLj4EES7_SF_ZZZNS5_IS7_EEvS9_mlSA_ENKSB_clEvENKSC_clEvEUljE_EEvS9_T2_RKT3_T4_EUlijE_EEvlNS_15PhiloxCudaStateET1_SK_,comdat
	.globl	_ZN2at6native12_GLOBAL__N_143distribution_elementwise_grid_stride_kernelIjLi4EZZZNS0_9templates4cuda21random_from_to_kernelIPNS_17CUDAGeneratorImplEEEvRNS_18TensorIteratorBaseEmlT_ENKUlvE_clEvENKUlvE2_clEvEUlP25hiprandStatePhilox4_32_10E0_ZNS1_27distribution_nullary_kernelIlj15HIP_vector_typeIjLj4EES7_SF_ZZZNS5_IS7_EEvS9_mlSA_ENKSB_clEvENKSC_clEvEUljE_EEvS9_T2_RKT3_T4_EUlijE_EEvlNS_15PhiloxCudaStateET1_SK_ ; -- Begin function _ZN2at6native12_GLOBAL__N_143distribution_elementwise_grid_stride_kernelIjLi4EZZZNS0_9templates4cuda21random_from_to_kernelIPNS_17CUDAGeneratorImplEEEvRNS_18TensorIteratorBaseEmlT_ENKUlvE_clEvENKUlvE2_clEvEUlP25hiprandStatePhilox4_32_10E0_ZNS1_27distribution_nullary_kernelIlj15HIP_vector_typeIjLj4EES7_SF_ZZZNS5_IS7_EEvS9_mlSA_ENKSB_clEvENKSC_clEvEUljE_EEvS9_T2_RKT3_T4_EUlijE_EEvlNS_15PhiloxCudaStateET1_SK_
	.p2align	8
	.type	_ZN2at6native12_GLOBAL__N_143distribution_elementwise_grid_stride_kernelIjLi4EZZZNS0_9templates4cuda21random_from_to_kernelIPNS_17CUDAGeneratorImplEEEvRNS_18TensorIteratorBaseEmlT_ENKUlvE_clEvENKUlvE2_clEvEUlP25hiprandStatePhilox4_32_10E0_ZNS1_27distribution_nullary_kernelIlj15HIP_vector_typeIjLj4EES7_SF_ZZZNS5_IS7_EEvS9_mlSA_ENKSB_clEvENKSC_clEvEUljE_EEvS9_T2_RKT3_T4_EUlijE_EEvlNS_15PhiloxCudaStateET1_SK_,@function
_ZN2at6native12_GLOBAL__N_143distribution_elementwise_grid_stride_kernelIjLi4EZZZNS0_9templates4cuda21random_from_to_kernelIPNS_17CUDAGeneratorImplEEEvRNS_18TensorIteratorBaseEmlT_ENKUlvE_clEvENKUlvE2_clEvEUlP25hiprandStatePhilox4_32_10E0_ZNS1_27distribution_nullary_kernelIlj15HIP_vector_typeIjLj4EES7_SF_ZZZNS5_IS7_EEvS9_mlSA_ENKSB_clEvENKSC_clEvEUljE_EEvS9_T2_RKT3_T4_EUlijE_EEvlNS_15PhiloxCudaStateET1_SK_: ; @_ZN2at6native12_GLOBAL__N_143distribution_elementwise_grid_stride_kernelIjLi4EZZZNS0_9templates4cuda21random_from_to_kernelIPNS_17CUDAGeneratorImplEEEvRNS_18TensorIteratorBaseEmlT_ENKUlvE_clEvENKUlvE2_clEvEUlP25hiprandStatePhilox4_32_10E0_ZNS1_27distribution_nullary_kernelIlj15HIP_vector_typeIjLj4EES7_SF_ZZZNS5_IS7_EEvS9_mlSA_ENKSB_clEvENKSC_clEvEUljE_EEvS9_T2_RKT3_T4_EUlijE_EEvlNS_15PhiloxCudaStateET1_SK_
; %bb.0:
	s_load_dword s7, s[4:5], 0x20
	s_load_dwordx2 s[10:11], s[4:5], 0x10
	s_load_dwordx4 s[0:3], s[4:5], 0x0
	s_mov_b32 s8, 0
	s_waitcnt lgkmcnt(0)
	s_bitcmp0_b32 s7, 0
	v_pk_mov_b32 v[2:3], s[10:11], s[10:11] op_sel:[0,1]
	v_pk_mov_b32 v[14:15], s[2:3], s[2:3] op_sel:[0,1]
	s_cbranch_scc1 .LBB14_2
; %bb.1:
	v_pk_mov_b32 v[2:3], s[10:11], s[10:11] op_sel:[0,1]
	flat_load_dwordx2 v[2:3], v[2:3]
	v_pk_mov_b32 v[4:5], s[2:3], s[2:3] op_sel:[0,1]
	flat_load_dwordx2 v[14:15], v[4:5]
	s_load_dwordx2 s[2:3], s[4:5], 0x18
	s_waitcnt lgkmcnt(0)
	v_mov_b32_e32 v1, s3
	s_waitcnt vmcnt(0)
	v_add_co_u32_e32 v2, vcc, s2, v2
	v_addc_co_u32_e32 v3, vcc, v3, v1, vcc
.LBB14_2:
	s_load_dword s2, s[4:5], 0x5c
	s_load_dword s14, s[4:5], 0x50
	s_waitcnt lgkmcnt(0)
	s_and_b32 s7, s2, 0xffff
	s_add_u32 s10, s0, -1
	s_mul_i32 s16, s14, s7
	s_addc_u32 s9, s1, -1
	s_lshl_b32 s17, s16, 2
	s_cmp_lg_u64 s[8:9], 0
	s_mov_b64 s[2:3], -1
	s_cbranch_scc0 .LBB14_35
; %bb.3:
	v_cvt_f32_u32_e32 v1, s17
	v_cvt_f32_ubyte0_e32 v4, 0
	s_sub_u32 s8, 0, s17
	s_subb_u32 s11, 0, 0
	v_madmk_f32 v1, v4, 0x4f800000, v1
	v_rcp_f32_e32 v1, v1
	v_mul_f32_e32 v1, 0x5f7ffffc, v1
	v_mul_f32_e32 v4, 0x2f800000, v1
	v_trunc_f32_e32 v4, v4
	v_madmk_f32 v1, v4, 0xcf800000, v1
	v_cvt_u32_f32_e32 v4, v4
	v_cvt_u32_f32_e32 v1, v1
	v_readfirstlane_b32 s12, v4
	v_readfirstlane_b32 s13, v1
	s_mul_i32 s15, s8, s12
	s_mul_hi_u32 s19, s8, s13
	s_mul_i32 s18, s11, s13
	s_add_i32 s15, s19, s15
	s_add_i32 s15, s15, s18
	s_mul_i32 s20, s8, s13
	s_mul_hi_u32 s18, s13, s15
	s_mul_i32 s19, s13, s15
	s_mul_hi_u32 s13, s13, s20
	s_add_u32 s13, s13, s19
	s_addc_u32 s18, 0, s18
	s_mul_hi_u32 s21, s12, s20
	s_mul_i32 s20, s12, s20
	s_add_u32 s13, s13, s20
	s_mul_hi_u32 s19, s12, s15
	s_addc_u32 s13, s18, s21
	s_addc_u32 s18, s19, 0
	s_mul_i32 s15, s12, s15
	s_add_u32 s13, s13, s15
	s_addc_u32 s15, 0, s18
	v_add_co_u32_e32 v1, vcc, s13, v1
	s_cmp_lg_u64 vcc, 0
	s_addc_u32 s12, s12, s15
	v_readfirstlane_b32 s15, v1
	s_mul_i32 s13, s8, s12
	s_mul_hi_u32 s18, s8, s15
	s_add_i32 s13, s18, s13
	s_mul_i32 s11, s11, s15
	s_add_i32 s13, s13, s11
	s_mul_i32 s8, s8, s15
	s_mul_hi_u32 s18, s12, s8
	s_mul_i32 s19, s12, s8
	s_mul_i32 s21, s15, s13
	s_mul_hi_u32 s8, s15, s8
	s_mul_hi_u32 s20, s15, s13
	s_add_u32 s8, s8, s21
	s_addc_u32 s15, 0, s20
	s_add_u32 s8, s8, s19
	s_mul_hi_u32 s11, s12, s13
	s_addc_u32 s8, s15, s18
	s_addc_u32 s11, s11, 0
	s_mul_i32 s13, s12, s13
	s_add_u32 s8, s8, s13
	s_addc_u32 s11, 0, s11
	v_add_co_u32_e32 v1, vcc, s8, v1
	s_cmp_lg_u64 vcc, 0
	s_addc_u32 s11, s12, s11
	s_ashr_i32 s12, s9, 31
	s_add_u32 s8, s10, s12
	s_mov_b32 s13, s12
	s_addc_u32 s9, s9, s12
	s_xor_b64 s[8:9], s[8:9], s[12:13]
	v_readfirstlane_b32 s19, v1
	s_mul_i32 s18, s8, s11
	s_mul_hi_u32 s20, s8, s19
	s_mul_hi_u32 s15, s8, s11
	s_add_u32 s18, s20, s18
	s_addc_u32 s15, 0, s15
	s_mul_hi_u32 s21, s9, s19
	s_mul_i32 s19, s9, s19
	s_add_u32 s18, s18, s19
	s_mul_hi_u32 s20, s9, s11
	s_addc_u32 s15, s15, s21
	s_addc_u32 s18, s20, 0
	s_mul_i32 s11, s9, s11
	s_add_u32 s11, s15, s11
	s_addc_u32 s15, 0, s18
	s_add_u32 s18, s11, 1
	s_addc_u32 s19, s15, 0
	s_add_u32 s20, s11, 2
	s_mul_i32 s22, s17, s15
	s_mul_hi_u32 s23, s17, s11
	s_addc_u32 s21, s15, 0
	s_add_i32 s23, s23, s22
	s_mul_i32 s22, s17, s11
	v_mov_b32_e32 v1, s22
	v_sub_co_u32_e32 v1, vcc, s8, v1
	s_cmp_lg_u64 vcc, 0
	s_subb_u32 s8, s9, s23
	v_subrev_co_u32_e32 v4, vcc, s17, v1
	s_cmp_lg_u64 vcc, 0
	s_subb_u32 s9, s8, 0
	v_readfirstlane_b32 s22, v4
	s_cmp_ge_u32 s22, s17
	s_cselect_b32 s22, -1, 0
	s_cmp_eq_u32 s9, 0
	s_cselect_b32 s9, s22, -1
	s_cmp_lg_u32 s9, 0
	s_cselect_b32 s9, s21, s19
	v_readfirstlane_b32 s19, v1
	s_cselect_b32 s18, s20, s18
	s_cmp_ge_u32 s19, s17
	s_cselect_b32 s19, -1, 0
	s_cmp_eq_u32 s8, 0
	s_cselect_b32 s8, s19, -1
	s_cmp_lg_u32 s8, 0
	s_cselect_b32 s9, s9, s15
	s_cselect_b32 s8, s18, s11
	s_xor_b64 s[8:9], s[8:9], s[12:13]
	s_sub_u32 s8, s8, s12
	s_subb_u32 s9, s9, s12
	s_cbranch_execnz .LBB14_5
.LBB14_4:
	v_cvt_f32_u32_e32 v1, s17
	s_sub_i32 s2, 0, s17
	s_mov_b32 s9, 0
	v_rcp_iflag_f32_e32 v1, v1
	v_mul_f32_e32 v1, 0x4f7ffffe, v1
	v_cvt_u32_f32_e32 v1, v1
	v_readfirstlane_b32 s3, v1
	s_mul_i32 s2, s2, s3
	s_mul_hi_u32 s2, s3, s2
	s_add_i32 s3, s3, s2
	s_mul_hi_u32 s2, s10, s3
	s_mul_i32 s8, s2, s17
	s_sub_i32 s8, s10, s8
	s_add_i32 s3, s2, 1
	s_sub_i32 s10, s8, s17
	s_cmp_ge_u32 s8, s17
	s_cselect_b32 s2, s3, s2
	s_cselect_b32 s8, s10, s8
	s_add_i32 s3, s2, 1
	s_cmp_ge_u32 s8, s17
	s_cselect_b32 s8, s3, s2
.LBB14_5:
	v_mov_b32_e32 v1, 0
	v_mov_b32_e32 v4, s6
	v_mad_u64_u32 v[16:17], s[2:3], s7, v4, v[0:1]
	s_add_u32 s2, s8, 1
	s_addc_u32 s3, s9, 0
	s_mul_hi_u32 s8, s14, s7
	s_mul_i32 s3, s16, s3
	s_mul_hi_u32 s9, s16, s2
	s_add_i32 s3, s9, s3
	s_mul_i32 s8, s8, s2
	s_add_i32 s3, s3, s8
	s_mul_i32 s2, s16, s2
	s_lshl_b64 s[2:3], s[2:3], 2
	v_cmp_gt_i64_e32 vcc, s[2:3], v[16:17]
	s_and_saveexec_b64 s[8:9], vcc
	s_cbranch_execz .LBB14_34
; %bb.6:
	s_load_dwordx2 s[12:13], s[4:5], 0x30
	s_load_dword s15, s[4:5], 0x38
	s_load_dwordx4 s[8:11], s[4:5], 0x40
	v_mov_b32_e32 v4, v15
	s_mov_b32 s4, 0xdb3d7428
	v_add_co_u32_e32 v23, vcc, s4, v4
	s_mov_b32 s4, 0x5384540f
	v_add_co_u32_e32 v24, vcc, s4, v14
	;; [unrolled: 2-line block ×7, first 2 shown]
	s_mov_b32 s4, 0x9e3779b9
	v_alignbit_b32 v31, v3, v2, 2
	s_mov_b32 s19, 0xd2511f53
	v_add_co_u32_e32 v30, vcc, s4, v14
	v_mad_u64_u32 v[6:7], s[4:5], v31, s19, 0
	v_and_b32_e32 v20, 3, v2
	v_xor_b32_e32 v2, v7, v15
	v_xor_b32_e32 v2, v2, v17
	s_mov_b32 s20, 0xcd9e8d57
	v_mad_u64_u32 v[8:9], s[4:5], v2, s20, 0
	v_xor_b32_e32 v2, v30, v9
	v_mad_u64_u32 v[10:11], s[4:5], v16, s20, 0
	v_xor_b32_e32 v2, v2, v10
	;; [unrolled: 2-line block ×3, first 2 shown]
	v_lshrrev_b32_e32 v32, 2, v3
	v_xor_b32_e32 v2, v2, v32
	v_xor_b32_e32 v5, v29, v13
	v_mad_u64_u32 v[2:3], s[4:5], v2, s19, 0
	v_xor_b32_e32 v2, v5, v2
	v_mad_u64_u32 v[10:11], s[4:5], v2, s20, 0
	s_mov_b32 s4, 0xbb67ae85
	v_add_co_u32_e32 v33, vcc, s4, v4
	v_xor_b32_e32 v2, v33, v3
	v_xor_b32_e32 v2, v2, v6
	v_xor_b32_e32 v5, v28, v11
	v_mad_u64_u32 v[2:3], s[4:5], v2, s20, 0
	v_xor_b32_e32 v2, v5, v2
	v_mad_u64_u32 v[6:7], s[4:5], v2, s19, 0
	s_mov_b32 s4, 0x3c6ef372
	v_add_co_u32_e32 v34, vcc, s4, v14
	v_xor_b32_e32 v2, v34, v3
	;; [unrolled: 8-line block ×7, first 2 shown]
	v_xor_b32_e32 v2, v2, v12
	v_mad_u64_u32 v[2:3], s[4:5], v2, s20, 0
	s_mov_b32 s4, 0xf1bbcdc8
	v_add_co_u32_e32 v40, vcc, s4, v14
	v_xor_b32_e32 v3, v40, v3
	v_xor_b32_e32 v3, v3, v10
	v_mad_u64_u32 v[10:11], s[4:5], v3, s19, 0
	s_mul_i32 s4, s6, s7
	v_xor_b32_e32 v3, v11, v6
	v_add_u32_e32 v6, s4, v0
	s_waitcnt lgkmcnt(0)
	s_mul_i32 s4, s14, s15
	s_mul_i32 s4, s4, s7
	s_lshl_b32 s25, s4, 2
	s_mul_i32 s4, s14, 3
	s_add_i32 s4, s6, s4
	s_mul_i32 s4, s4, s7
	v_mul_lo_u32 v41, s15, v6
	v_add_u32_e32 v6, s4, v0
	s_lshl_b32 s4, s14, 1
	s_add_i32 s4, s6, s4
	s_mul_i32 s4, s4, s7
	v_mul_lo_u32 v42, s15, v6
	v_add_u32_e32 v6, s4, v0
	s_add_i32 s4, s6, s14
	s_mul_i32 s4, s4, s7
	s_mov_b32 s18, 0
	v_add_u32_e32 v21, 0x8ff34781, v14
	v_add_u32_e32 v22, 0x96a522ad, v15
	v_xor_b32_e32 v2, v9, v2
	v_add_u32_e32 v0, s4, v0
	v_xor_b32_e32 v2, v21, v2
	v_xor_b32_e32 v4, v22, v3
	v_mov_b32_e32 v3, v8
	v_mov_b32_e32 v5, v10
	s_lshl_b32 s21, s16, 1
	s_mov_b32 s22, s18
	s_mul_i32 s23, s16, 3
	s_mov_b32 s24, s18
	v_mul_lo_u32 v43, s15, v6
	v_mul_lo_u32 v44, s15, v0
	s_mov_b64 s[4:5], 0
	s_mov_b32 s26, s18
	v_mov_b32_e32 v45, v16
	v_mov_b32_e32 v46, v17
	s_branch .LBB14_9
.LBB14_7:                               ;   in Loop: Header=BB14_9 Depth=1
	s_or_b64 exec, exec, s[14:15]
	v_add_u32_e32 v2, s26, v42
	v_ashrrev_i32_e32 v3, 31, v2
	v_mov_b32_e32 v4, s13
	v_add_co_u32_e32 v2, vcc, s12, v2
	v_addc_co_u32_e32 v3, vcc, v4, v3, vcc
	v_mov_b32_e32 v5, s11
	v_add_co_u32_e32 v4, vcc, s10, v0
	v_addc_co_u32_e32 v5, vcc, v1, v5, vcc
	global_store_dwordx2 v[2:3], v[4:5], off
.LBB14_8:                               ;   in Loop: Header=BB14_9 Depth=1
	s_or_b64 exec, exec, s[6:7]
	v_add_co_u32_e32 v16, vcc, s17, v16
	v_addc_co_u32_e32 v17, vcc, 0, v17, vcc
	v_mov_b32_e32 v9, v18
	s_add_i32 s26, s26, s25
	v_cmp_le_i64_e32 vcc, s[2:3], v[16:17]
	v_pk_mov_b32 v[2:3], v[6:7], v[6:7] op_sel:[0,1]
	s_or_b64 s[4:5], vcc, s[4:5]
	v_pk_mov_b32 v[4:5], v[8:9], v[8:9] op_sel:[0,1]
	s_barrier
	s_andn2_b64 exec, exec, s[4:5]
	s_cbranch_execz .LBB14_34
.LBB14_9:                               ; =>This Inner Loop Header: Depth=1
	v_add_co_u32_e32 v31, vcc, 1, v31
	v_cndmask_b32_e64 v0, 0, 1, vcc
	v_addc_co_u32_e32 v32, vcc, 0, v32, vcc
	v_cmp_eq_u32_e32 vcc, 0, v32
	v_cndmask_b32_e32 v0, 0, v0, vcc
	v_add_u32_e32 v45, v0, v45
	v_cmp_eq_u32_e32 vcc, 0, v45
	v_cndmask_b32_e32 v0, 0, v0, vcc
	v_mad_u64_u32 v[6:7], s[6:7], v31, s19, 0
	v_mad_u64_u32 v[8:9], s[6:7], v45, s20, 0
	v_add_u32_e32 v46, v0, v46
	v_xor_b32_e32 v0, v9, v14
	v_xor_b32_e32 v7, v7, v15
	v_xor_b32_e32 v0, v32, v0
	v_xor_b32_e32 v7, v46, v7
	v_mad_u64_u32 v[10:11], s[6:7], v0, s19, 0
	v_mad_u64_u32 v[12:13], s[6:7], v7, s20, 0
	v_xor_b32_e32 v0, v30, v13
	v_xor_b32_e32 v7, v33, v11
	v_xor_b32_e32 v0, v0, v8
	v_xor_b32_e32 v8, v7, v6
	v_mad_u64_u32 v[6:7], s[6:7], v0, s19, 0
	v_mad_u64_u32 v[8:9], s[6:7], v8, s20, 0
	;; [unrolled: 6-line block ×9, first 2 shown]
	v_xor_b32_e32 v0, v13, v6
	v_xor_b32_e32 v6, v21, v0
	v_xor_b32_e32 v0, v19, v8
	v_xor_b32_e32 v13, v22, v0
	v_mov_b32_e32 v7, v12
	v_mov_b32_e32 v8, v13
	v_cmp_lt_i32_e32 vcc, 1, v20
	s_and_saveexec_b64 s[6:7], vcc
	s_xor_b64 s[6:7], exec, s[6:7]
	s_cbranch_execnz .LBB14_12
; %bb.10:                               ;   in Loop: Header=BB14_9 Depth=1
	s_andn2_saveexec_b64 s[6:7], s[6:7]
	s_cbranch_execnz .LBB14_17
.LBB14_11:                              ;   in Loop: Header=BB14_9 Depth=1
	s_or_b64 exec, exec, s[6:7]
	v_cmp_gt_i64_e32 vcc, s[0:1], v[16:17]
	s_and_saveexec_b64 s[6:7], vcc
	s_cbranch_execnz .LBB14_20
	s_branch .LBB14_23
.LBB14_12:                              ;   in Loop: Header=BB14_9 Depth=1
	v_cmp_lt_i32_e32 vcc, 2, v20
	s_and_saveexec_b64 s[14:15], vcc
	s_xor_b64 s[14:15], exec, s[14:15]
; %bb.13:                               ;   in Loop: Header=BB14_9 Depth=1
	v_mov_b32_e32 v10, v5
	v_mov_b32_e32 v11, v6
	v_pk_mov_b32 v[2:3], v[10:11], v[10:11] op_sel:[0,1]
	v_pk_mov_b32 v[4:5], v[12:13], v[12:13] op_sel:[0,1]
                                        ; implicit-def: $vgpr12_vgpr13
; %bb.14:                               ;   in Loop: Header=BB14_9 Depth=1
	s_andn2_saveexec_b64 s[14:15], s[14:15]
; %bb.15:                               ;   in Loop: Header=BB14_9 Depth=1
	v_mov_b32_e32 v2, v4
	v_mov_b32_e32 v3, v5
	v_mov_b32_e32 v4, v6
	v_mov_b32_e32 v5, v12
; %bb.16:                               ;   in Loop: Header=BB14_9 Depth=1
	s_or_b64 exec, exec, s[14:15]
	s_andn2_saveexec_b64 s[6:7], s[6:7]
	s_cbranch_execz .LBB14_11
.LBB14_17:                              ;   in Loop: Header=BB14_9 Depth=1
	v_cmp_eq_u32_e32 vcc, 1, v20
	s_and_saveexec_b64 s[14:15], vcc
; %bb.18:                               ;   in Loop: Header=BB14_9 Depth=1
	v_mov_b32_e32 v2, v3
	v_mov_b32_e32 v3, v4
	;; [unrolled: 1-line block ×4, first 2 shown]
; %bb.19:                               ;   in Loop: Header=BB14_9 Depth=1
	s_or_b64 exec, exec, s[14:15]
	s_or_b64 exec, exec, s[6:7]
	v_cmp_gt_i64_e32 vcc, s[0:1], v[16:17]
	s_and_saveexec_b64 s[6:7], vcc
	s_cbranch_execz .LBB14_23
.LBB14_20:                              ;   in Loop: Header=BB14_9 Depth=1
	v_mov_b32_e32 v0, v2
	v_cmp_le_u64_e32 vcc, s[8:9], v[0:1]
	s_and_saveexec_b64 s[14:15], vcc
	s_cbranch_execz .LBB14_22
; %bb.21:                               ;   in Loop: Header=BB14_9 Depth=1
	v_cvt_f32_u32_e32 v2, s8
	s_sub_i32 s27, 0, s8
	v_rcp_iflag_f32_e32 v2, v2
	v_mul_f32_e32 v2, 0x4f7ffffe, v2
	v_cvt_u32_f32_e32 v2, v2
	v_mul_lo_u32 v9, s27, v2
	v_mul_hi_u32 v9, v2, v9
	v_add_u32_e32 v2, v2, v9
	v_mul_hi_u32 v2, v0, v2
	v_mul_lo_u32 v2, v2, s8
	v_sub_u32_e32 v0, v0, v2
	v_subrev_u32_e32 v2, s8, v0
	v_cmp_le_u32_e32 vcc, s8, v0
	v_cndmask_b32_e32 v0, v0, v2, vcc
	v_subrev_u32_e32 v2, s8, v0
	v_cmp_le_u32_e32 vcc, s8, v0
	v_cndmask_b32_e32 v0, v0, v2, vcc
.LBB14_22:                              ;   in Loop: Header=BB14_9 Depth=1
	s_or_b64 exec, exec, s[14:15]
	v_add_u32_e32 v2, s26, v41
	v_ashrrev_i32_e32 v9, 31, v2
	v_mov_b32_e32 v11, s13
	v_add_co_u32_e32 v10, vcc, s12, v2
	v_addc_co_u32_e32 v11, vcc, v11, v9, vcc
	v_mov_b32_e32 v2, s11
	v_add_co_u32_e32 v12, vcc, s10, v0
	v_addc_co_u32_e32 v13, vcc, v1, v2, vcc
	global_store_dwordx2 v[10:11], v[12:13], off
.LBB14_23:                              ;   in Loop: Header=BB14_9 Depth=1
	s_or_b64 exec, exec, s[6:7]
	v_mov_b32_e32 v0, s18
	v_add_co_u32_e32 v10, vcc, s16, v16
	v_addc_co_u32_e32 v11, vcc, v0, v17, vcc
	v_cmp_gt_i64_e32 vcc, s[0:1], v[10:11]
	s_and_saveexec_b64 s[6:7], vcc
	s_cbranch_execz .LBB14_27
; %bb.24:                               ;   in Loop: Header=BB14_9 Depth=1
	v_mov_b32_e32 v0, v3
	v_cmp_le_u64_e32 vcc, s[8:9], v[0:1]
	s_and_saveexec_b64 s[14:15], vcc
	s_cbranch_execz .LBB14_26
; %bb.25:                               ;   in Loop: Header=BB14_9 Depth=1
	v_cvt_f32_u32_e32 v2, s8
	s_sub_i32 s27, 0, s8
	v_rcp_iflag_f32_e32 v2, v2
	v_mul_f32_e32 v2, 0x4f7ffffe, v2
	v_cvt_u32_f32_e32 v2, v2
	v_mul_lo_u32 v3, s27, v2
	v_mul_hi_u32 v3, v2, v3
	v_add_u32_e32 v2, v2, v3
	v_mul_hi_u32 v2, v0, v2
	v_mul_lo_u32 v2, v2, s8
	v_sub_u32_e32 v0, v0, v2
	v_subrev_u32_e32 v2, s8, v0
	v_cmp_le_u32_e32 vcc, s8, v0
	v_cndmask_b32_e32 v0, v0, v2, vcc
	v_subrev_u32_e32 v2, s8, v0
	v_cmp_le_u32_e32 vcc, s8, v0
	v_cndmask_b32_e32 v0, v0, v2, vcc
.LBB14_26:                              ;   in Loop: Header=BB14_9 Depth=1
	s_or_b64 exec, exec, s[14:15]
	v_add_u32_e32 v2, s26, v44
	v_ashrrev_i32_e32 v3, 31, v2
	v_mov_b32_e32 v9, s13
	v_add_co_u32_e32 v2, vcc, s12, v2
	v_addc_co_u32_e32 v3, vcc, v9, v3, vcc
	v_mov_b32_e32 v9, s11
	v_add_co_u32_e32 v10, vcc, s10, v0
	v_addc_co_u32_e32 v11, vcc, v1, v9, vcc
	global_store_dwordx2 v[2:3], v[10:11], off
.LBB14_27:                              ;   in Loop: Header=BB14_9 Depth=1
	s_or_b64 exec, exec, s[6:7]
	v_mov_b32_e32 v0, s22
	v_add_co_u32_e32 v2, vcc, s21, v16
	v_addc_co_u32_e32 v3, vcc, v0, v17, vcc
	v_cmp_gt_i64_e32 vcc, s[0:1], v[2:3]
	s_and_saveexec_b64 s[6:7], vcc
	s_cbranch_execz .LBB14_31
; %bb.28:                               ;   in Loop: Header=BB14_9 Depth=1
	v_mov_b32_e32 v0, v4
	v_cmp_le_u64_e32 vcc, s[8:9], v[0:1]
	s_and_saveexec_b64 s[14:15], vcc
	s_cbranch_execz .LBB14_30
; %bb.29:                               ;   in Loop: Header=BB14_9 Depth=1
	v_cvt_f32_u32_e32 v2, s8
	s_sub_i32 s27, 0, s8
	v_rcp_iflag_f32_e32 v2, v2
	v_mul_f32_e32 v2, 0x4f7ffffe, v2
	v_cvt_u32_f32_e32 v2, v2
	v_mul_lo_u32 v3, s27, v2
	v_mul_hi_u32 v3, v2, v3
	v_add_u32_e32 v2, v2, v3
	v_mul_hi_u32 v2, v0, v2
	v_mul_lo_u32 v2, v2, s8
	v_sub_u32_e32 v0, v0, v2
	v_subrev_u32_e32 v2, s8, v0
	v_cmp_le_u32_e32 vcc, s8, v0
	v_cndmask_b32_e32 v0, v0, v2, vcc
	v_subrev_u32_e32 v2, s8, v0
	v_cmp_le_u32_e32 vcc, s8, v0
	v_cndmask_b32_e32 v0, v0, v2, vcc
.LBB14_30:                              ;   in Loop: Header=BB14_9 Depth=1
	s_or_b64 exec, exec, s[14:15]
	v_add_u32_e32 v2, s26, v43
	v_ashrrev_i32_e32 v3, 31, v2
	v_mov_b32_e32 v4, s13
	v_add_co_u32_e32 v2, vcc, s12, v2
	v_addc_co_u32_e32 v3, vcc, v4, v3, vcc
	v_mov_b32_e32 v4, s11
	v_add_co_u32_e32 v10, vcc, s10, v0
	v_addc_co_u32_e32 v11, vcc, v1, v4, vcc
	global_store_dwordx2 v[2:3], v[10:11], off
.LBB14_31:                              ;   in Loop: Header=BB14_9 Depth=1
	s_or_b64 exec, exec, s[6:7]
	v_mov_b32_e32 v0, s24
	v_add_co_u32_e32 v2, vcc, s23, v16
	v_addc_co_u32_e32 v3, vcc, v0, v17, vcc
	v_cmp_gt_i64_e32 vcc, s[0:1], v[2:3]
	s_and_saveexec_b64 s[6:7], vcc
	s_cbranch_execz .LBB14_8
; %bb.32:                               ;   in Loop: Header=BB14_9 Depth=1
	v_mov_b32_e32 v0, v5
	v_cmp_le_u64_e32 vcc, s[8:9], v[0:1]
	s_and_saveexec_b64 s[14:15], vcc
	s_cbranch_execz .LBB14_7
; %bb.33:                               ;   in Loop: Header=BB14_9 Depth=1
	v_cvt_f32_u32_e32 v2, s8
	s_sub_i32 s27, 0, s8
	v_rcp_iflag_f32_e32 v2, v2
	v_mul_f32_e32 v2, 0x4f7ffffe, v2
	v_cvt_u32_f32_e32 v2, v2
	v_mul_lo_u32 v3, s27, v2
	v_mul_hi_u32 v3, v2, v3
	v_add_u32_e32 v2, v2, v3
	v_mul_hi_u32 v2, v0, v2
	v_mul_lo_u32 v2, v2, s8
	v_sub_u32_e32 v0, v0, v2
	v_subrev_u32_e32 v2, s8, v0
	v_cmp_le_u32_e32 vcc, s8, v0
	v_cndmask_b32_e32 v0, v0, v2, vcc
	v_subrev_u32_e32 v2, s8, v0
	v_cmp_le_u32_e32 vcc, s8, v0
	v_cndmask_b32_e32 v0, v0, v2, vcc
	s_branch .LBB14_7
.LBB14_34:
	s_endpgm
.LBB14_35:
                                        ; implicit-def: $sgpr8_sgpr9
	s_andn2_b64 vcc, exec, s[2:3]
	s_cbranch_vccz .LBB14_4
	s_branch .LBB14_5
	.section	.rodata,"a",@progbits
	.p2align	6, 0x0
	.amdhsa_kernel _ZN2at6native12_GLOBAL__N_143distribution_elementwise_grid_stride_kernelIjLi4EZZZNS0_9templates4cuda21random_from_to_kernelIPNS_17CUDAGeneratorImplEEEvRNS_18TensorIteratorBaseEmlT_ENKUlvE_clEvENKUlvE2_clEvEUlP25hiprandStatePhilox4_32_10E0_ZNS1_27distribution_nullary_kernelIlj15HIP_vector_typeIjLj4EES7_SF_ZZZNS5_IS7_EEvS9_mlSA_ENKSB_clEvENKSC_clEvEUljE_EEvS9_T2_RKT3_T4_EUlijE_EEvlNS_15PhiloxCudaStateET1_SK_
		.amdhsa_group_segment_fixed_size 0
		.amdhsa_private_segment_fixed_size 0
		.amdhsa_kernarg_size 336
		.amdhsa_user_sgpr_count 6
		.amdhsa_user_sgpr_private_segment_buffer 1
		.amdhsa_user_sgpr_dispatch_ptr 0
		.amdhsa_user_sgpr_queue_ptr 0
		.amdhsa_user_sgpr_kernarg_segment_ptr 1
		.amdhsa_user_sgpr_dispatch_id 0
		.amdhsa_user_sgpr_flat_scratch_init 0
		.amdhsa_user_sgpr_kernarg_preload_length 0
		.amdhsa_user_sgpr_kernarg_preload_offset 0
		.amdhsa_user_sgpr_private_segment_size 0
		.amdhsa_uses_dynamic_stack 0
		.amdhsa_system_sgpr_private_segment_wavefront_offset 0
		.amdhsa_system_sgpr_workgroup_id_x 1
		.amdhsa_system_sgpr_workgroup_id_y 0
		.amdhsa_system_sgpr_workgroup_id_z 0
		.amdhsa_system_sgpr_workgroup_info 0
		.amdhsa_system_vgpr_workitem_id 0
		.amdhsa_next_free_vgpr 47
		.amdhsa_next_free_sgpr 28
		.amdhsa_accum_offset 48
		.amdhsa_reserve_vcc 1
		.amdhsa_reserve_flat_scratch 0
		.amdhsa_float_round_mode_32 0
		.amdhsa_float_round_mode_16_64 0
		.amdhsa_float_denorm_mode_32 3
		.amdhsa_float_denorm_mode_16_64 3
		.amdhsa_dx10_clamp 1
		.amdhsa_ieee_mode 1
		.amdhsa_fp16_overflow 0
		.amdhsa_tg_split 0
		.amdhsa_exception_fp_ieee_invalid_op 0
		.amdhsa_exception_fp_denorm_src 0
		.amdhsa_exception_fp_ieee_div_zero 0
		.amdhsa_exception_fp_ieee_overflow 0
		.amdhsa_exception_fp_ieee_underflow 0
		.amdhsa_exception_fp_ieee_inexact 0
		.amdhsa_exception_int_div_zero 0
	.end_amdhsa_kernel
	.section	.text._ZN2at6native12_GLOBAL__N_143distribution_elementwise_grid_stride_kernelIjLi4EZZZNS0_9templates4cuda21random_from_to_kernelIPNS_17CUDAGeneratorImplEEEvRNS_18TensorIteratorBaseEmlT_ENKUlvE_clEvENKUlvE2_clEvEUlP25hiprandStatePhilox4_32_10E0_ZNS1_27distribution_nullary_kernelIlj15HIP_vector_typeIjLj4EES7_SF_ZZZNS5_IS7_EEvS9_mlSA_ENKSB_clEvENKSC_clEvEUljE_EEvS9_T2_RKT3_T4_EUlijE_EEvlNS_15PhiloxCudaStateET1_SK_,"axG",@progbits,_ZN2at6native12_GLOBAL__N_143distribution_elementwise_grid_stride_kernelIjLi4EZZZNS0_9templates4cuda21random_from_to_kernelIPNS_17CUDAGeneratorImplEEEvRNS_18TensorIteratorBaseEmlT_ENKUlvE_clEvENKUlvE2_clEvEUlP25hiprandStatePhilox4_32_10E0_ZNS1_27distribution_nullary_kernelIlj15HIP_vector_typeIjLj4EES7_SF_ZZZNS5_IS7_EEvS9_mlSA_ENKSB_clEvENKSC_clEvEUljE_EEvS9_T2_RKT3_T4_EUlijE_EEvlNS_15PhiloxCudaStateET1_SK_,comdat
.Lfunc_end14:
	.size	_ZN2at6native12_GLOBAL__N_143distribution_elementwise_grid_stride_kernelIjLi4EZZZNS0_9templates4cuda21random_from_to_kernelIPNS_17CUDAGeneratorImplEEEvRNS_18TensorIteratorBaseEmlT_ENKUlvE_clEvENKUlvE2_clEvEUlP25hiprandStatePhilox4_32_10E0_ZNS1_27distribution_nullary_kernelIlj15HIP_vector_typeIjLj4EES7_SF_ZZZNS5_IS7_EEvS9_mlSA_ENKSB_clEvENKSC_clEvEUljE_EEvS9_T2_RKT3_T4_EUlijE_EEvlNS_15PhiloxCudaStateET1_SK_, .Lfunc_end14-_ZN2at6native12_GLOBAL__N_143distribution_elementwise_grid_stride_kernelIjLi4EZZZNS0_9templates4cuda21random_from_to_kernelIPNS_17CUDAGeneratorImplEEEvRNS_18TensorIteratorBaseEmlT_ENKUlvE_clEvENKUlvE2_clEvEUlP25hiprandStatePhilox4_32_10E0_ZNS1_27distribution_nullary_kernelIlj15HIP_vector_typeIjLj4EES7_SF_ZZZNS5_IS7_EEvS9_mlSA_ENKSB_clEvENKSC_clEvEUljE_EEvS9_T2_RKT3_T4_EUlijE_EEvlNS_15PhiloxCudaStateET1_SK_
                                        ; -- End function
	.section	.AMDGPU.csdata,"",@progbits
; Kernel info:
; codeLenInByte = 2828
; NumSgprs: 32
; NumVgprs: 47
; NumAgprs: 0
; TotalNumVgprs: 47
; ScratchSize: 0
; MemoryBound: 0
; FloatMode: 240
; IeeeMode: 1
; LDSByteSize: 0 bytes/workgroup (compile time only)
; SGPRBlocks: 3
; VGPRBlocks: 5
; NumSGPRsForWavesPerEU: 32
; NumVGPRsForWavesPerEU: 47
; AccumOffset: 48
; Occupancy: 8
; WaveLimiterHint : 0
; COMPUTE_PGM_RSRC2:SCRATCH_EN: 0
; COMPUTE_PGM_RSRC2:USER_SGPR: 6
; COMPUTE_PGM_RSRC2:TRAP_HANDLER: 0
; COMPUTE_PGM_RSRC2:TGID_X_EN: 1
; COMPUTE_PGM_RSRC2:TGID_Y_EN: 0
; COMPUTE_PGM_RSRC2:TGID_Z_EN: 0
; COMPUTE_PGM_RSRC2:TIDIG_COMP_CNT: 0
; COMPUTE_PGM_RSRC3_GFX90A:ACCUM_OFFSET: 11
; COMPUTE_PGM_RSRC3_GFX90A:TG_SPLIT: 0
	.section	.text._ZN2at6native12_GLOBAL__N_143distribution_elementwise_grid_stride_kernelIjLi4EZZZNS0_9templates4cuda21random_from_to_kernelIPNS_17CUDAGeneratorImplEEEvRNS_18TensorIteratorBaseEmlT_ENKUlvE_clEvENKUlvE2_clEvEUlP25hiprandStatePhilox4_32_10E0_ZNS1_27distribution_nullary_kernelIlj15HIP_vector_typeIjLj4EES7_SF_ZZZNS5_IS7_EEvS9_mlSA_ENKSB_clEvENKSC_clEvEUljE_EEvS9_T2_RKT3_T4_EUlijE0_EEvlNS_15PhiloxCudaStateET1_SK_,"axG",@progbits,_ZN2at6native12_GLOBAL__N_143distribution_elementwise_grid_stride_kernelIjLi4EZZZNS0_9templates4cuda21random_from_to_kernelIPNS_17CUDAGeneratorImplEEEvRNS_18TensorIteratorBaseEmlT_ENKUlvE_clEvENKUlvE2_clEvEUlP25hiprandStatePhilox4_32_10E0_ZNS1_27distribution_nullary_kernelIlj15HIP_vector_typeIjLj4EES7_SF_ZZZNS5_IS7_EEvS9_mlSA_ENKSB_clEvENKSC_clEvEUljE_EEvS9_T2_RKT3_T4_EUlijE0_EEvlNS_15PhiloxCudaStateET1_SK_,comdat
	.globl	_ZN2at6native12_GLOBAL__N_143distribution_elementwise_grid_stride_kernelIjLi4EZZZNS0_9templates4cuda21random_from_to_kernelIPNS_17CUDAGeneratorImplEEEvRNS_18TensorIteratorBaseEmlT_ENKUlvE_clEvENKUlvE2_clEvEUlP25hiprandStatePhilox4_32_10E0_ZNS1_27distribution_nullary_kernelIlj15HIP_vector_typeIjLj4EES7_SF_ZZZNS5_IS7_EEvS9_mlSA_ENKSB_clEvENKSC_clEvEUljE_EEvS9_T2_RKT3_T4_EUlijE0_EEvlNS_15PhiloxCudaStateET1_SK_ ; -- Begin function _ZN2at6native12_GLOBAL__N_143distribution_elementwise_grid_stride_kernelIjLi4EZZZNS0_9templates4cuda21random_from_to_kernelIPNS_17CUDAGeneratorImplEEEvRNS_18TensorIteratorBaseEmlT_ENKUlvE_clEvENKUlvE2_clEvEUlP25hiprandStatePhilox4_32_10E0_ZNS1_27distribution_nullary_kernelIlj15HIP_vector_typeIjLj4EES7_SF_ZZZNS5_IS7_EEvS9_mlSA_ENKSB_clEvENKSC_clEvEUljE_EEvS9_T2_RKT3_T4_EUlijE0_EEvlNS_15PhiloxCudaStateET1_SK_
	.p2align	8
	.type	_ZN2at6native12_GLOBAL__N_143distribution_elementwise_grid_stride_kernelIjLi4EZZZNS0_9templates4cuda21random_from_to_kernelIPNS_17CUDAGeneratorImplEEEvRNS_18TensorIteratorBaseEmlT_ENKUlvE_clEvENKUlvE2_clEvEUlP25hiprandStatePhilox4_32_10E0_ZNS1_27distribution_nullary_kernelIlj15HIP_vector_typeIjLj4EES7_SF_ZZZNS5_IS7_EEvS9_mlSA_ENKSB_clEvENKSC_clEvEUljE_EEvS9_T2_RKT3_T4_EUlijE0_EEvlNS_15PhiloxCudaStateET1_SK_,@function
_ZN2at6native12_GLOBAL__N_143distribution_elementwise_grid_stride_kernelIjLi4EZZZNS0_9templates4cuda21random_from_to_kernelIPNS_17CUDAGeneratorImplEEEvRNS_18TensorIteratorBaseEmlT_ENKUlvE_clEvENKUlvE2_clEvEUlP25hiprandStatePhilox4_32_10E0_ZNS1_27distribution_nullary_kernelIlj15HIP_vector_typeIjLj4EES7_SF_ZZZNS5_IS7_EEvS9_mlSA_ENKSB_clEvENKSC_clEvEUljE_EEvS9_T2_RKT3_T4_EUlijE0_EEvlNS_15PhiloxCudaStateET1_SK_: ; @_ZN2at6native12_GLOBAL__N_143distribution_elementwise_grid_stride_kernelIjLi4EZZZNS0_9templates4cuda21random_from_to_kernelIPNS_17CUDAGeneratorImplEEEvRNS_18TensorIteratorBaseEmlT_ENKUlvE_clEvENKUlvE2_clEvEUlP25hiprandStatePhilox4_32_10E0_ZNS1_27distribution_nullary_kernelIlj15HIP_vector_typeIjLj4EES7_SF_ZZZNS5_IS7_EEvS9_mlSA_ENKSB_clEvENKSC_clEvEUljE_EEvS9_T2_RKT3_T4_EUlijE0_EEvlNS_15PhiloxCudaStateET1_SK_
; %bb.0:
	s_load_dword s2, s[4:5], 0x20
	s_load_dwordx2 s[0:1], s[4:5], 0x10
	s_load_dwordx4 s[24:27], s[4:5], 0x0
	s_waitcnt lgkmcnt(0)
	s_bitcmp0_b32 s2, 0
	s_mov_b32 s2, 0
	v_pk_mov_b32 v[2:3], s[0:1], s[0:1] op_sel:[0,1]
	v_pk_mov_b32 v[14:15], s[26:27], s[26:27] op_sel:[0,1]
	s_cbranch_scc1 .LBB15_2
; %bb.1:
	v_pk_mov_b32 v[2:3], s[0:1], s[0:1] op_sel:[0,1]
	flat_load_dwordx2 v[2:3], v[2:3]
	v_pk_mov_b32 v[4:5], s[26:27], s[26:27] op_sel:[0,1]
	flat_load_dwordx2 v[14:15], v[4:5]
	s_load_dwordx2 s[0:1], s[4:5], 0x18
	s_waitcnt lgkmcnt(0)
	v_mov_b32_e32 v1, s1
	s_waitcnt vmcnt(0)
	v_add_co_u32_e32 v2, vcc, s0, v2
	v_addc_co_u32_e32 v3, vcc, v3, v1, vcc
.LBB15_2:
	s_load_dword s0, s[4:5], 0x15c
	s_load_dword s7, s[4:5], 0x150
	s_waitcnt lgkmcnt(0)
	s_and_b32 s8, s0, 0xffff
	s_add_u32 s9, s24, -1
	s_mul_i32 s33, s7, s8
	s_addc_u32 s3, s25, -1
	s_lshl_b32 s62, s33, 2
	s_cmp_lg_u64 s[2:3], 0
	s_mov_b64 s[0:1], -1
	s_cbranch_scc0 .LBB15_91
; %bb.3:
	v_cvt_f32_u32_e32 v1, s62
	v_cvt_f32_ubyte0_e32 v4, 0
	s_sub_u32 s2, 0, s62
	s_subb_u32 s10, 0, 0
	v_madmk_f32 v1, v4, 0x4f800000, v1
	v_rcp_f32_e32 v1, v1
	v_mul_f32_e32 v1, 0x5f7ffffc, v1
	v_mul_f32_e32 v4, 0x2f800000, v1
	v_trunc_f32_e32 v4, v4
	v_madmk_f32 v1, v4, 0xcf800000, v1
	v_cvt_u32_f32_e32 v4, v4
	v_cvt_u32_f32_e32 v1, v1
	v_readfirstlane_b32 s11, v4
	v_readfirstlane_b32 s12, v1
	s_mul_i32 s13, s2, s11
	s_mul_hi_u32 s15, s2, s12
	s_mul_i32 s14, s10, s12
	s_add_i32 s13, s15, s13
	s_add_i32 s13, s13, s14
	s_mul_i32 s16, s2, s12
	s_mul_hi_u32 s14, s12, s13
	s_mul_i32 s15, s12, s13
	s_mul_hi_u32 s12, s12, s16
	s_add_u32 s12, s12, s15
	s_addc_u32 s14, 0, s14
	s_mul_hi_u32 s17, s11, s16
	s_mul_i32 s16, s11, s16
	s_add_u32 s12, s12, s16
	s_mul_hi_u32 s15, s11, s13
	s_addc_u32 s12, s14, s17
	s_addc_u32 s14, s15, 0
	s_mul_i32 s13, s11, s13
	s_add_u32 s12, s12, s13
	s_addc_u32 s13, 0, s14
	v_add_co_u32_e32 v1, vcc, s12, v1
	s_cmp_lg_u64 vcc, 0
	s_addc_u32 s11, s11, s13
	v_readfirstlane_b32 s13, v1
	s_mul_i32 s12, s2, s11
	s_mul_hi_u32 s14, s2, s13
	s_add_i32 s12, s14, s12
	s_mul_i32 s10, s10, s13
	s_add_i32 s12, s12, s10
	s_mul_i32 s2, s2, s13
	s_mul_hi_u32 s14, s11, s2
	s_mul_i32 s15, s11, s2
	s_mul_i32 s17, s13, s12
	s_mul_hi_u32 s2, s13, s2
	s_mul_hi_u32 s16, s13, s12
	s_add_u32 s2, s2, s17
	s_addc_u32 s13, 0, s16
	s_add_u32 s2, s2, s15
	s_mul_hi_u32 s10, s11, s12
	s_addc_u32 s2, s13, s14
	s_addc_u32 s10, s10, 0
	s_mul_i32 s12, s11, s12
	s_add_u32 s2, s2, s12
	s_addc_u32 s10, 0, s10
	v_add_co_u32_e32 v1, vcc, s2, v1
	s_cmp_lg_u64 vcc, 0
	s_addc_u32 s12, s11, s10
	s_ashr_i32 s10, s3, 31
	s_add_u32 s2, s9, s10
	s_mov_b32 s11, s10
	s_addc_u32 s3, s3, s10
	s_xor_b64 s[2:3], s[2:3], s[10:11]
	v_readfirstlane_b32 s15, v1
	s_mul_i32 s14, s2, s12
	s_mul_hi_u32 s16, s2, s15
	s_mul_hi_u32 s13, s2, s12
	s_add_u32 s14, s16, s14
	s_addc_u32 s13, 0, s13
	s_mul_hi_u32 s17, s3, s15
	s_mul_i32 s15, s3, s15
	s_add_u32 s14, s14, s15
	s_mul_hi_u32 s16, s3, s12
	s_addc_u32 s13, s13, s17
	s_addc_u32 s14, s16, 0
	s_mul_i32 s12, s3, s12
	s_add_u32 s12, s13, s12
	s_addc_u32 s13, 0, s14
	s_add_u32 s14, s12, 1
	s_addc_u32 s15, s13, 0
	s_add_u32 s16, s12, 2
	s_mul_i32 s18, s62, s13
	s_mul_hi_u32 s19, s62, s12
	s_addc_u32 s17, s13, 0
	s_add_i32 s19, s19, s18
	s_mul_i32 s18, s62, s12
	v_mov_b32_e32 v1, s18
	v_sub_co_u32_e32 v1, vcc, s2, v1
	s_cmp_lg_u64 vcc, 0
	s_subb_u32 s2, s3, s19
	v_subrev_co_u32_e32 v4, vcc, s62, v1
	s_cmp_lg_u64 vcc, 0
	s_subb_u32 s3, s2, 0
	v_readfirstlane_b32 s18, v4
	s_cmp_ge_u32 s18, s62
	s_cselect_b32 s18, -1, 0
	s_cmp_eq_u32 s3, 0
	s_cselect_b32 s3, s18, -1
	s_cmp_lg_u32 s3, 0
	s_cselect_b32 s3, s17, s15
	v_readfirstlane_b32 s15, v1
	s_cselect_b32 s14, s16, s14
	s_cmp_ge_u32 s15, s62
	s_cselect_b32 s15, -1, 0
	s_cmp_eq_u32 s2, 0
	s_cselect_b32 s2, s15, -1
	s_cmp_lg_u32 s2, 0
	s_cselect_b32 s3, s3, s13
	s_cselect_b32 s2, s14, s12
	s_xor_b64 s[2:3], s[2:3], s[10:11]
	s_sub_u32 s2, s2, s10
	s_subb_u32 s3, s3, s10
	s_cbranch_execnz .LBB15_5
.LBB15_4:
	v_cvt_f32_u32_e32 v1, s62
	s_sub_i32 s0, 0, s62
	s_mov_b32 s3, 0
	v_rcp_iflag_f32_e32 v1, v1
	v_mul_f32_e32 v1, 0x4f7ffffe, v1
	v_cvt_u32_f32_e32 v1, v1
	v_readfirstlane_b32 s1, v1
	s_mul_i32 s0, s0, s1
	s_mul_hi_u32 s0, s1, s0
	s_add_i32 s1, s1, s0
	s_mul_hi_u32 s0, s9, s1
	s_mul_i32 s2, s0, s62
	s_sub_i32 s2, s9, s2
	s_add_i32 s1, s0, 1
	s_sub_i32 s9, s2, s62
	s_cmp_ge_u32 s2, s62
	s_cselect_b32 s0, s1, s0
	s_cselect_b32 s2, s9, s2
	s_add_i32 s1, s0, 1
	s_cmp_ge_u32 s2, s62
	s_cselect_b32 s2, s1, s0
.LBB15_5:
	v_mov_b32_e32 v1, 0
	v_mov_b32_e32 v4, s6
	v_mad_u64_u32 v[16:17], s[0:1], s8, v4, v[0:1]
	s_add_u32 s0, s2, 1
	s_addc_u32 s1, s3, 0
	s_mul_hi_u32 s2, s7, s8
	s_mul_i32 s1, s33, s1
	s_mul_hi_u32 s3, s33, s0
	s_add_i32 s1, s3, s1
	s_mul_i32 s2, s2, s0
	s_add_i32 s1, s1, s2
	s_mul_i32 s0, s33, s0
	s_lshl_b64 s[26:27], s[0:1], 2
	v_cmp_gt_i64_e32 vcc, s[26:27], v[16:17]
	s_and_saveexec_b64 s[0:1], vcc
	s_cbranch_execz .LBB15_90
; %bb.6:
	s_mov_b32 s0, 0x5384540f
	v_mov_b32_e32 v0, v15
	v_add_co_u32_e32 v24, vcc, s0, v14
	s_mov_b32 s0, 0x646e171e
	v_add_co_u32_e32 v25, vcc, s0, v0
	s_mov_b32 s0, 0x1715609d
	;; [unrolled: 2-line block ×6, first 2 shown]
	v_alignbit_b32 v31, v3, v2, 2
	s_mov_b32 s64, 0xd2511f53
	v_add_co_u32_e32 v30, vcc, s0, v14
	v_mad_u64_u32 v[4:5], s[0:1], v31, s64, 0
	v_and_b32_e32 v20, 3, v2
	v_xor_b32_e32 v2, v5, v15
	v_xor_b32_e32 v2, v2, v17
	s_mov_b32 s65, 0xcd9e8d57
	v_mad_u64_u32 v[6:7], s[0:1], v2, s65, 0
	v_xor_b32_e32 v2, v30, v7
	v_mad_u64_u32 v[8:9], s[0:1], v16, s65, 0
	v_xor_b32_e32 v2, v2, v8
	;; [unrolled: 2-line block ×3, first 2 shown]
	v_lshrrev_b32_e32 v32, 2, v3
	v_xor_b32_e32 v2, v2, v32
	v_xor_b32_e32 v5, v29, v11
	v_mad_u64_u32 v[2:3], s[0:1], v2, s64, 0
	v_xor_b32_e32 v2, v5, v2
	v_mad_u64_u32 v[8:9], s[0:1], v2, s65, 0
	s_mov_b32 s0, 0xbb67ae85
	v_add_co_u32_e32 v33, vcc, s0, v0
	v_xor_b32_e32 v2, v33, v3
	v_xor_b32_e32 v2, v2, v4
	v_xor_b32_e32 v5, v28, v9
	v_mad_u64_u32 v[2:3], s[0:1], v2, s65, 0
	v_xor_b32_e32 v2, v5, v2
	v_mad_u64_u32 v[4:5], s[0:1], v2, s64, 0
	s_mov_b32 s0, 0x3c6ef372
	v_add_co_u32_e32 v34, vcc, s0, v14
	v_xor_b32_e32 v2, v34, v3
	;; [unrolled: 8-line block ×6, first 2 shown]
	v_add_co_u32_e32 v23, vcc, 0xdb3d7428, v0
	v_xor_b32_e32 v2, v2, v6
	v_xor_b32_e32 v5, v23, v5
	v_mad_u64_u32 v[2:3], s[0:1], v2, s64, 0
	v_xor_b32_e32 v2, v5, v2
	v_mad_u64_u32 v[6:7], s[0:1], v2, s65, 0
	s_mov_b32 s0, 0x1fd5c5a3
	v_add_co_u32_e32 v39, vcc, s0, v0
	v_xor_b32_e32 v0, v39, v3
	v_xor_b32_e32 v0, v0, v10
	v_mad_u64_u32 v[2:3], s[0:1], v0, s65, 0
	s_mov_b32 s0, 0xf1bbcdc8
	s_load_dwordx8 s[8:15], s[4:5], 0x30
	v_add_u32_e32 v21, 0x8ff34781, v14
	v_xor_b32_e32 v0, v7, v2
	v_add_co_u32_e32 v40, vcc, s0, v14
	v_xor_b32_e32 v2, v21, v0
	v_xor_b32_e32 v0, v40, v3
	;; [unrolled: 1-line block ×3, first 2 shown]
	s_add_u32 s34, s4, 48
	v_mad_u64_u32 v[8:9], s[0:1], v0, s64, 0
	s_addc_u32 s35, s5, 0
	s_waitcnt lgkmcnt(0)
	s_add_i32 s0, s8, -1
	s_cmp_gt_u32 s0, 1
	s_cselect_b64 s[40:41], -1, 0
	s_cmp_lg_u32 s8, 0
	s_cselect_b64 s[42:43], -1, 0
	s_add_u32 s44, s4, 0xf4
	s_addc_u32 s45, s5, 0
	s_min_u32 s1, s0, 15
	s_cmp_gt_u32 s8, 1
	s_cselect_b64 s[46:47], -1, 0
	s_load_dwordx2 s[48:49], s[4:5], 0x148
	s_load_dwordx2 s[50:51], s[4:5], 0xf4
	s_load_dwordx4 s[28:31], s[4:5], 0x138
	s_add_i32 s1, s1, 1
	s_mov_b32 s8, s13
	s_lshl_b32 s13, s33, 1
	s_and_b32 s68, s1, 3
	s_cmp_lg_u32 s0, 2
	s_cselect_b64 s[52:53], -1, 0
	s_and_b32 s69, s1, 28
	s_mov_b32 s63, 0
	v_add_u32_e32 v22, 0x96a522ad, v15
	v_xor_b32_e32 v0, v9, v4
	s_cmp_lg_u32 s68, 0
	v_xor_b32_e32 v4, v22, v0
	v_mov_b32_e32 v3, v6
	v_mov_b32_e32 v5, v8
	s_mov_b32 s15, s63
	s_mul_i32 s66, s33, 3
	s_mov_b32 s67, s63
	s_mov_b64 s[54:55], 0
	s_cselect_b64 s[56:57], -1, 0
	v_mov_b32_e32 v41, v16
	v_mov_b32_e32 v42, v17
	s_branch .LBB15_9
.LBB15_7:                               ;   in Loop: Header=BB15_9 Depth=1
	s_or_b64 exec, exec, s[0:1]
	v_mov_b32_e32 v3, s49
	v_add_co_u32_e32 v4, vcc, s48, v0
	v_addc_co_u32_e32 v5, vcc, v1, v3, vcc
	global_store_dwordx2 v2, v[4:5], s[28:29]
.LBB15_8:                               ;   in Loop: Header=BB15_9 Depth=1
	s_or_b64 exec, exec, s[36:37]
	v_add_co_u32_e32 v16, vcc, s62, v16
	v_addc_co_u32_e32 v17, vcc, 0, v17, vcc
	v_mov_b32_e32 v9, v18
	v_cmp_le_i64_e32 vcc, s[26:27], v[16:17]
	v_pk_mov_b32 v[2:3], v[6:7], v[6:7] op_sel:[0,1]
	s_or_b64 s[54:55], vcc, s[54:55]
	v_pk_mov_b32 v[4:5], v[8:9], v[8:9] op_sel:[0,1]
	s_waitcnt lgkmcnt(0)
	s_barrier
	s_andn2_b64 exec, exec, s[54:55]
	s_cbranch_execz .LBB15_90
.LBB15_9:                               ; =>This Loop Header: Depth=1
                                        ;     Child Loop BB15_24 Depth 2
                                        ;     Child Loop BB15_30 Depth 2
	;; [unrolled: 1-line block ×8, first 2 shown]
	v_add_co_u32_e32 v31, vcc, 1, v31
	v_cndmask_b32_e64 v0, 0, 1, vcc
	v_addc_co_u32_e32 v32, vcc, 0, v32, vcc
	v_cmp_eq_u32_e32 vcc, 0, v32
	v_cndmask_b32_e32 v0, 0, v0, vcc
	v_add_u32_e32 v41, v0, v41
	v_cmp_eq_u32_e32 vcc, 0, v41
	v_cndmask_b32_e32 v0, 0, v0, vcc
	v_mad_u64_u32 v[6:7], s[0:1], v31, s64, 0
	v_mad_u64_u32 v[8:9], s[0:1], v41, s65, 0
	v_add_u32_e32 v42, v0, v42
	v_xor_b32_e32 v0, v9, v14
	v_xor_b32_e32 v7, v7, v15
	v_xor_b32_e32 v0, v32, v0
	v_xor_b32_e32 v7, v42, v7
	v_mad_u64_u32 v[10:11], s[0:1], v0, s64, 0
	v_mad_u64_u32 v[12:13], s[0:1], v7, s65, 0
	v_xor_b32_e32 v0, v30, v13
	v_xor_b32_e32 v7, v33, v11
	v_xor_b32_e32 v0, v0, v8
	v_xor_b32_e32 v8, v7, v6
	v_mad_u64_u32 v[6:7], s[0:1], v0, s64, 0
	v_mad_u64_u32 v[8:9], s[0:1], v8, s65, 0
	;; [unrolled: 6-line block ×9, first 2 shown]
	v_xor_b32_e32 v0, v13, v6
	v_xor_b32_e32 v6, v21, v0
	;; [unrolled: 1-line block ×4, first 2 shown]
	v_mov_b32_e32 v7, v12
	v_mov_b32_e32 v8, v13
	v_cmp_lt_i32_e32 vcc, 1, v20
	s_and_saveexec_b64 s[0:1], vcc
	s_xor_b64 s[0:1], exec, s[0:1]
	s_cbranch_execz .LBB15_15
; %bb.10:                               ;   in Loop: Header=BB15_9 Depth=1
	v_cmp_lt_i32_e32 vcc, 2, v20
	s_and_saveexec_b64 s[2:3], vcc
	s_xor_b64 s[2:3], exec, s[2:3]
; %bb.11:                               ;   in Loop: Header=BB15_9 Depth=1
	v_mov_b32_e32 v10, v5
	v_mov_b32_e32 v11, v6
	v_pk_mov_b32 v[2:3], v[10:11], v[10:11] op_sel:[0,1]
	v_pk_mov_b32 v[4:5], v[12:13], v[12:13] op_sel:[0,1]
                                        ; implicit-def: $vgpr12_vgpr13
; %bb.12:                               ;   in Loop: Header=BB15_9 Depth=1
	s_andn2_saveexec_b64 s[2:3], s[2:3]
; %bb.13:                               ;   in Loop: Header=BB15_9 Depth=1
	v_mov_b32_e32 v2, v4
	v_mov_b32_e32 v3, v5
	;; [unrolled: 1-line block ×4, first 2 shown]
; %bb.14:                               ;   in Loop: Header=BB15_9 Depth=1
	s_or_b64 exec, exec, s[2:3]
.LBB15_15:                              ;   in Loop: Header=BB15_9 Depth=1
	s_andn2_saveexec_b64 s[0:1], s[0:1]
	s_cbranch_execz .LBB15_19
; %bb.16:                               ;   in Loop: Header=BB15_9 Depth=1
	v_cmp_eq_u32_e32 vcc, 1, v20
	s_and_saveexec_b64 s[2:3], vcc
; %bb.17:                               ;   in Loop: Header=BB15_9 Depth=1
	v_mov_b32_e32 v2, v3
	v_mov_b32_e32 v3, v4
	;; [unrolled: 1-line block ×4, first 2 shown]
; %bb.18:                               ;   in Loop: Header=BB15_9 Depth=1
	s_or_b64 exec, exec, s[2:3]
.LBB15_19:                              ;   in Loop: Header=BB15_9 Depth=1
	s_or_b64 exec, exec, s[0:1]
	v_cndmask_b32_e64 v0, 0, 1, s[40:41]
	v_cmp_gt_i64_e32 vcc, s[24:25], v[16:17]
	v_cmp_ne_u32_e64 s[0:1], 1, v0
	s_and_saveexec_b64 s[2:3], vcc
	s_cbranch_execz .LBB15_37
; %bb.20:                               ;   in Loop: Header=BB15_9 Depth=1
	s_and_b64 vcc, exec, s[0:1]
	s_cbranch_vccnz .LBB15_26
; %bb.21:                               ;   in Loop: Header=BB15_9 Depth=1
	s_andn2_b64 vcc, exec, s[42:43]
	s_cbranch_vccnz .LBB15_27
; %bb.22:                               ;   in Loop: Header=BB15_9 Depth=1
	s_mov_b32 s6, 0
	s_andn2_b64 vcc, exec, s[52:53]
	v_mov_b32_e32 v10, 0
	s_cbranch_vccnz .LBB15_28
; %bb.23:                               ;   in Loop: Header=BB15_9 Depth=1
	s_mov_b32 s70, 0
	v_mov_b32_e32 v10, 0
	s_mov_b64 s[58:59], s[34:35]
	s_mov_b64 s[60:61], s[44:45]
	v_mov_b32_e32 v0, v16
.LBB15_24:                              ;   Parent Loop BB15_9 Depth=1
                                        ; =>  This Inner Loop Header: Depth=2
	s_load_dwordx8 s[16:23], s[58:59], 0x4
	s_load_dwordx4 s[4:7], s[58:59], 0x24
	s_load_dwordx4 s[36:39], s[60:61], 0x0
	s_add_u32 s58, s58, 48
	s_addc_u32 s59, s59, 0
	s_waitcnt lgkmcnt(0)
	v_mul_hi_u32 v9, s17, v0
	v_add_u32_e32 v9, v0, v9
	v_lshrrev_b32_e32 v9, s18, v9
	v_mul_lo_u32 v11, v9, s16
	v_mul_hi_u32 v12, s20, v9
	v_sub_u32_e32 v0, v0, v11
	v_add_u32_e32 v11, v9, v12
	v_lshrrev_b32_e32 v11, s21, v11
	v_mul_lo_u32 v12, v11, s19
	v_mul_hi_u32 v13, s23, v11
	v_sub_u32_e32 v9, v9, v12
	v_add_u32_e32 v12, v11, v13
	v_mul_lo_u32 v0, v0, s36
	v_mul_lo_u32 v9, v9, s37
	v_lshrrev_b32_e32 v12, s4, v12
	v_add3_u32 v9, v0, v10, v9
	v_mul_lo_u32 v0, v12, s22
	v_mul_hi_u32 v10, s6, v12
	v_sub_u32_e32 v0, v11, v0
	v_add_u32_e32 v10, v12, v10
	v_mul_lo_u32 v11, v0, s38
	v_lshrrev_b32_e32 v0, s7, v10
	s_add_i32 s70, s70, 4
	v_mul_lo_u32 v10, v0, s5
	s_add_u32 s60, s60, 16
	v_sub_u32_e32 v10, v12, v10
	s_addc_u32 s61, s61, 0
	v_mul_lo_u32 v10, v10, s39
	s_cmp_lg_u32 s69, s70
	v_add3_u32 v10, v11, v9, v10
	s_cbranch_scc1 .LBB15_24
; %bb.25:                               ;   in Loop: Header=BB15_9 Depth=1
	s_mov_b32 s6, s69
	s_andn2_b64 vcc, exec, s[56:57]
	s_cbranch_vccz .LBB15_29
	s_branch .LBB15_31
.LBB15_26:                              ;   in Loop: Header=BB15_9 Depth=1
                                        ; implicit-def: $vgpr10
	s_branch .LBB15_32
.LBB15_27:                              ;   in Loop: Header=BB15_9 Depth=1
	v_mov_b32_e32 v10, 0
	s_branch .LBB15_31
.LBB15_28:                              ;   in Loop: Header=BB15_9 Depth=1
	v_mov_b32_e32 v0, v16
	s_andn2_b64 vcc, exec, s[56:57]
	s_cbranch_vccnz .LBB15_31
.LBB15_29:                              ;   in Loop: Header=BB15_9 Depth=1
	s_lshl_b32 s4, s6, 2
	s_add_u32 s4, s44, s4
	s_addc_u32 s5, s45, 0
	s_mul_i32 s6, s6, 12
	s_add_u32 s6, s34, s6
	s_addc_u32 s7, s35, 0
	s_mov_b32 s16, s68
.LBB15_30:                              ;   Parent Loop BB15_9 Depth=1
                                        ; =>  This Inner Loop Header: Depth=2
	s_load_dwordx2 s[18:19], s[6:7], 0x4
	s_load_dword s17, s[6:7], 0xc
	s_load_dword s20, s[4:5], 0x0
	s_add_u32 s6, s6, 12
	s_addc_u32 s7, s7, 0
	s_waitcnt lgkmcnt(0)
	v_mul_hi_u32 v9, s19, v0
	v_add_u32_e32 v9, v0, v9
	v_lshrrev_b32_e32 v9, s17, v9
	s_add_u32 s4, s4, 4
	v_mul_lo_u32 v11, v9, s18
	s_addc_u32 s5, s5, 0
	s_add_i32 s16, s16, -1
	v_sub_u32_e32 v11, v0, v11
	s_cmp_lg_u32 s16, 0
	v_mov_b32_e32 v0, v9
	v_mad_u64_u32 v[10:11], s[18:19], v11, s20, v[10:11]
	s_cbranch_scc1 .LBB15_30
.LBB15_31:                              ;   in Loop: Header=BB15_9 Depth=1
	s_cbranch_execnz .LBB15_34
.LBB15_32:                              ;   in Loop: Header=BB15_9 Depth=1
	v_mul_hi_u32 v0, v16, s10
	v_add_u32_e32 v0, v0, v16
	v_lshrrev_b32_e32 v0, s11, v0
	v_mul_lo_u32 v9, v0, s9
	v_sub_u32_e32 v9, v16, v9
	s_andn2_b64 vcc, exec, s[46:47]
	s_waitcnt lgkmcnt(0)
	v_mul_lo_u32 v10, v9, s50
	s_cbranch_vccnz .LBB15_34
; %bb.33:                               ;   in Loop: Header=BB15_9 Depth=1
	v_mul_hi_u32 v9, s8, v0
	v_add_u32_e32 v9, v0, v9
	v_lshrrev_b32_e32 v9, s14, v9
	v_mul_lo_u32 v9, v9, s12
	v_sub_u32_e32 v0, v0, v9
	v_mad_u64_u32 v[10:11], s[4:5], v0, s51, v[10:11]
.LBB15_34:                              ;   in Loop: Header=BB15_9 Depth=1
	v_mov_b32_e32 v0, v2
	s_waitcnt lgkmcnt(0)
	v_cmp_le_u64_e32 vcc, s[30:31], v[0:1]
	s_and_saveexec_b64 s[4:5], vcc
	s_cbranch_execz .LBB15_36
; %bb.35:                               ;   in Loop: Header=BB15_9 Depth=1
	v_cvt_f32_u32_e32 v2, s30
	s_sub_i32 s6, 0, s30
	v_rcp_iflag_f32_e32 v2, v2
	v_mul_f32_e32 v2, 0x4f7ffffe, v2
	v_cvt_u32_f32_e32 v2, v2
	v_mul_lo_u32 v9, s6, v2
	v_mul_hi_u32 v9, v2, v9
	v_add_u32_e32 v2, v2, v9
	v_mul_hi_u32 v2, v0, v2
	v_mul_lo_u32 v2, v2, s30
	v_sub_u32_e32 v0, v0, v2
	v_subrev_u32_e32 v2, s30, v0
	v_cmp_le_u32_e32 vcc, s30, v0
	v_cndmask_b32_e32 v0, v0, v2, vcc
	v_subrev_u32_e32 v2, s30, v0
	v_cmp_le_u32_e32 vcc, s30, v0
	v_cndmask_b32_e32 v0, v0, v2, vcc
.LBB15_36:                              ;   in Loop: Header=BB15_9 Depth=1
	s_or_b64 exec, exec, s[4:5]
	v_mov_b32_e32 v2, s49
	v_add_co_u32_e32 v12, vcc, s48, v0
	v_addc_co_u32_e32 v13, vcc, v1, v2, vcc
	global_store_dwordx2 v10, v[12:13], s[28:29]
.LBB15_37:                              ;   in Loop: Header=BB15_9 Depth=1
	s_or_b64 exec, exec, s[2:3]
	v_mov_b32_e32 v0, s63
	v_add_co_u32_e32 v12, vcc, s33, v16
	v_addc_co_u32_e32 v13, vcc, v17, v0, vcc
	v_cmp_gt_i64_e32 vcc, s[24:25], v[12:13]
	s_and_saveexec_b64 s[2:3], vcc
	s_cbranch_execz .LBB15_55
; %bb.38:                               ;   in Loop: Header=BB15_9 Depth=1
	s_and_b64 vcc, exec, s[0:1]
	s_cbranch_vccnz .LBB15_44
; %bb.39:                               ;   in Loop: Header=BB15_9 Depth=1
	s_andn2_b64 vcc, exec, s[42:43]
	s_cbranch_vccnz .LBB15_45
; %bb.40:                               ;   in Loop: Header=BB15_9 Depth=1
	s_mov_b32 s6, 0
	s_andn2_b64 vcc, exec, s[52:53]
	v_mov_b32_e32 v10, 0
	s_cbranch_vccnz .LBB15_46
; %bb.41:                               ;   in Loop: Header=BB15_9 Depth=1
	s_mov_b32 s70, 0
	v_mov_b32_e32 v10, 0
	s_mov_b64 s[58:59], s[34:35]
	s_mov_b64 s[60:61], s[44:45]
	v_mov_b32_e32 v0, v12
.LBB15_42:                              ;   Parent Loop BB15_9 Depth=1
                                        ; =>  This Inner Loop Header: Depth=2
	s_load_dwordx8 s[16:23], s[58:59], 0x4
	s_load_dwordx4 s[4:7], s[58:59], 0x24
	s_load_dwordx4 s[36:39], s[60:61], 0x0
	s_add_u32 s58, s58, 48
	s_addc_u32 s59, s59, 0
	s_waitcnt lgkmcnt(0)
	v_mul_hi_u32 v2, s17, v0
	v_add_u32_e32 v2, v0, v2
	v_lshrrev_b32_e32 v2, s18, v2
	v_mul_lo_u32 v9, v2, s16
	v_mul_hi_u32 v11, s20, v2
	v_sub_u32_e32 v0, v0, v9
	v_add_u32_e32 v9, v2, v11
	v_lshrrev_b32_e32 v9, s21, v9
	v_mul_lo_u32 v11, v9, s19
	v_mul_hi_u32 v13, s23, v9
	v_sub_u32_e32 v2, v2, v11
	v_add_u32_e32 v11, v9, v13
	v_mul_lo_u32 v0, v0, s36
	v_mul_lo_u32 v2, v2, s37
	v_lshrrev_b32_e32 v11, s4, v11
	v_add3_u32 v2, v0, v10, v2
	v_mul_lo_u32 v0, v11, s22
	v_mul_hi_u32 v10, s6, v11
	v_sub_u32_e32 v0, v9, v0
	v_add_u32_e32 v9, v11, v10
	v_mul_lo_u32 v10, v0, s38
	v_lshrrev_b32_e32 v0, s7, v9
	s_add_i32 s70, s70, 4
	v_mul_lo_u32 v9, v0, s5
	s_add_u32 s60, s60, 16
	v_sub_u32_e32 v9, v11, v9
	s_addc_u32 s61, s61, 0
	v_mul_lo_u32 v9, v9, s39
	s_cmp_eq_u32 s69, s70
	v_add3_u32 v10, v10, v2, v9
	s_cbranch_scc0 .LBB15_42
; %bb.43:                               ;   in Loop: Header=BB15_9 Depth=1
	s_mov_b32 s6, s69
	s_andn2_b64 vcc, exec, s[56:57]
	s_cbranch_vccz .LBB15_47
	s_branch .LBB15_49
.LBB15_44:                              ;   in Loop: Header=BB15_9 Depth=1
                                        ; implicit-def: $vgpr10
	s_branch .LBB15_50
.LBB15_45:                              ;   in Loop: Header=BB15_9 Depth=1
	v_mov_b32_e32 v10, 0
	s_branch .LBB15_49
.LBB15_46:                              ;   in Loop: Header=BB15_9 Depth=1
	v_mov_b32_e32 v0, v12
	s_andn2_b64 vcc, exec, s[56:57]
	s_cbranch_vccnz .LBB15_49
.LBB15_47:                              ;   in Loop: Header=BB15_9 Depth=1
	s_lshl_b32 s4, s6, 2
	s_add_u32 s4, s44, s4
	s_addc_u32 s5, s45, 0
	s_mul_i32 s6, s6, 12
	s_add_u32 s6, s34, s6
	s_addc_u32 s7, s35, 0
	s_mov_b32 s16, s68
.LBB15_48:                              ;   Parent Loop BB15_9 Depth=1
                                        ; =>  This Inner Loop Header: Depth=2
	s_load_dwordx2 s[18:19], s[6:7], 0x4
	s_load_dword s17, s[6:7], 0xc
	s_load_dword s20, s[4:5], 0x0
	s_add_u32 s6, s6, 12
	s_addc_u32 s7, s7, 0
	s_waitcnt lgkmcnt(0)
	v_mul_hi_u32 v2, s19, v0
	v_add_u32_e32 v2, v0, v2
	v_lshrrev_b32_e32 v2, s17, v2
	s_add_u32 s4, s4, 4
	v_mul_lo_u32 v9, v2, s18
	s_addc_u32 s5, s5, 0
	s_add_i32 s16, s16, -1
	v_sub_u32_e32 v9, v0, v9
	s_cmp_lg_u32 s16, 0
	v_mov_b32_e32 v0, v2
	v_mad_u64_u32 v[10:11], s[18:19], v9, s20, v[10:11]
	s_cbranch_scc1 .LBB15_48
.LBB15_49:                              ;   in Loop: Header=BB15_9 Depth=1
	s_cbranch_execnz .LBB15_52
.LBB15_50:                              ;   in Loop: Header=BB15_9 Depth=1
	v_mul_hi_u32 v0, v12, s10
	v_add_u32_e32 v0, v0, v12
	v_lshrrev_b32_e32 v0, s11, v0
	v_mul_lo_u32 v2, v0, s9
	v_sub_u32_e32 v2, v12, v2
	s_andn2_b64 vcc, exec, s[46:47]
	s_waitcnt lgkmcnt(0)
	v_mul_lo_u32 v10, v2, s50
	s_cbranch_vccnz .LBB15_52
; %bb.51:                               ;   in Loop: Header=BB15_9 Depth=1
	v_mul_hi_u32 v2, s8, v0
	v_add_u32_e32 v2, v0, v2
	v_lshrrev_b32_e32 v2, s14, v2
	v_mul_lo_u32 v2, v2, s12
	v_sub_u32_e32 v0, v0, v2
	v_mad_u64_u32 v[10:11], s[4:5], v0, s51, v[10:11]
.LBB15_52:                              ;   in Loop: Header=BB15_9 Depth=1
	v_mov_b32_e32 v0, v3
	s_waitcnt lgkmcnt(0)
	v_cmp_le_u64_e32 vcc, s[30:31], v[0:1]
	s_and_saveexec_b64 s[4:5], vcc
	s_cbranch_execz .LBB15_54
; %bb.53:                               ;   in Loop: Header=BB15_9 Depth=1
	v_cvt_f32_u32_e32 v2, s30
	s_sub_i32 s6, 0, s30
	v_rcp_iflag_f32_e32 v2, v2
	v_mul_f32_e32 v2, 0x4f7ffffe, v2
	v_cvt_u32_f32_e32 v2, v2
	v_mul_lo_u32 v3, s6, v2
	v_mul_hi_u32 v3, v2, v3
	v_add_u32_e32 v2, v2, v3
	v_mul_hi_u32 v2, v0, v2
	v_mul_lo_u32 v2, v2, s30
	v_sub_u32_e32 v0, v0, v2
	v_subrev_u32_e32 v2, s30, v0
	v_cmp_le_u32_e32 vcc, s30, v0
	v_cndmask_b32_e32 v0, v0, v2, vcc
	v_subrev_u32_e32 v2, s30, v0
	v_cmp_le_u32_e32 vcc, s30, v0
	v_cndmask_b32_e32 v0, v0, v2, vcc
.LBB15_54:                              ;   in Loop: Header=BB15_9 Depth=1
	s_or_b64 exec, exec, s[4:5]
	v_mov_b32_e32 v3, s49
	v_add_co_u32_e32 v2, vcc, s48, v0
	v_addc_co_u32_e32 v3, vcc, v1, v3, vcc
	global_store_dwordx2 v10, v[2:3], s[28:29]
.LBB15_55:                              ;   in Loop: Header=BB15_9 Depth=1
	s_or_b64 exec, exec, s[2:3]
	v_mov_b32_e32 v0, s15
	v_add_co_u32_e32 v10, vcc, s13, v16
	v_addc_co_u32_e32 v11, vcc, v17, v0, vcc
	v_cmp_gt_i64_e32 vcc, s[24:25], v[10:11]
	s_and_saveexec_b64 s[2:3], vcc
	s_cbranch_execz .LBB15_73
; %bb.56:                               ;   in Loop: Header=BB15_9 Depth=1
	s_and_b64 vcc, exec, s[0:1]
	s_cbranch_vccnz .LBB15_62
; %bb.57:                               ;   in Loop: Header=BB15_9 Depth=1
	s_andn2_b64 vcc, exec, s[42:43]
	s_cbranch_vccnz .LBB15_63
; %bb.58:                               ;   in Loop: Header=BB15_9 Depth=1
	s_mov_b32 s6, 0
	s_andn2_b64 vcc, exec, s[52:53]
	v_mov_b32_e32 v2, 0
	s_cbranch_vccnz .LBB15_64
; %bb.59:                               ;   in Loop: Header=BB15_9 Depth=1
	s_mov_b32 s70, 0
	v_mov_b32_e32 v2, 0
	s_mov_b64 s[58:59], s[34:35]
	s_mov_b64 s[60:61], s[44:45]
	v_mov_b32_e32 v0, v10
.LBB15_60:                              ;   Parent Loop BB15_9 Depth=1
                                        ; =>  This Inner Loop Header: Depth=2
	s_load_dwordx8 s[16:23], s[58:59], 0x4
	s_load_dwordx4 s[4:7], s[58:59], 0x24
	s_load_dwordx4 s[36:39], s[60:61], 0x0
	s_add_u32 s58, s58, 48
	s_addc_u32 s59, s59, 0
	s_waitcnt lgkmcnt(0)
	v_mul_hi_u32 v3, s17, v0
	v_add_u32_e32 v3, v0, v3
	v_lshrrev_b32_e32 v3, s18, v3
	v_mul_lo_u32 v9, v3, s16
	v_mul_hi_u32 v11, s20, v3
	v_sub_u32_e32 v0, v0, v9
	v_add_u32_e32 v9, v3, v11
	v_lshrrev_b32_e32 v9, s21, v9
	v_mul_lo_u32 v11, v9, s19
	v_mul_hi_u32 v12, s23, v9
	v_sub_u32_e32 v3, v3, v11
	v_add_u32_e32 v11, v9, v12
	v_mul_lo_u32 v0, v0, s36
	v_mul_lo_u32 v3, v3, s37
	v_lshrrev_b32_e32 v11, s4, v11
	v_add3_u32 v2, v0, v2, v3
	v_mul_lo_u32 v0, v11, s22
	v_mul_hi_u32 v3, s6, v11
	v_sub_u32_e32 v0, v9, v0
	v_add_u32_e32 v3, v11, v3
	v_mul_lo_u32 v9, v0, s38
	v_lshrrev_b32_e32 v0, s7, v3
	s_add_i32 s70, s70, 4
	v_mul_lo_u32 v3, v0, s5
	s_add_u32 s60, s60, 16
	v_sub_u32_e32 v3, v11, v3
	s_addc_u32 s61, s61, 0
	v_mul_lo_u32 v3, v3, s39
	s_cmp_eq_u32 s69, s70
	v_add3_u32 v2, v9, v2, v3
	s_cbranch_scc0 .LBB15_60
; %bb.61:                               ;   in Loop: Header=BB15_9 Depth=1
	s_mov_b32 s6, s69
	s_andn2_b64 vcc, exec, s[56:57]
	s_cbranch_vccz .LBB15_65
	s_branch .LBB15_67
.LBB15_62:                              ;   in Loop: Header=BB15_9 Depth=1
                                        ; implicit-def: $vgpr2
	s_branch .LBB15_68
.LBB15_63:                              ;   in Loop: Header=BB15_9 Depth=1
	v_mov_b32_e32 v2, 0
	s_branch .LBB15_67
.LBB15_64:                              ;   in Loop: Header=BB15_9 Depth=1
	v_mov_b32_e32 v0, v10
	s_andn2_b64 vcc, exec, s[56:57]
	s_cbranch_vccnz .LBB15_67
.LBB15_65:                              ;   in Loop: Header=BB15_9 Depth=1
	s_lshl_b32 s4, s6, 2
	s_add_u32 s4, s44, s4
	s_addc_u32 s5, s45, 0
	s_mul_i32 s6, s6, 12
	s_add_u32 s6, s34, s6
	s_addc_u32 s7, s35, 0
	s_mov_b32 s16, s68
.LBB15_66:                              ;   Parent Loop BB15_9 Depth=1
                                        ; =>  This Inner Loop Header: Depth=2
	s_load_dwordx2 s[18:19], s[6:7], 0x4
	s_load_dword s17, s[6:7], 0xc
	s_load_dword s20, s[4:5], 0x0
	s_add_u32 s6, s6, 12
	s_addc_u32 s7, s7, 0
	s_waitcnt lgkmcnt(0)
	v_mul_hi_u32 v3, s19, v0
	v_add_u32_e32 v3, v0, v3
	v_lshrrev_b32_e32 v3, s17, v3
	s_add_u32 s4, s4, 4
	v_mul_lo_u32 v9, v3, s18
	s_addc_u32 s5, s5, 0
	s_add_i32 s16, s16, -1
	v_sub_u32_e32 v9, v0, v9
	s_cmp_lg_u32 s16, 0
	v_mov_b32_e32 v0, v3
	v_mad_u64_u32 v[2:3], s[18:19], v9, s20, v[2:3]
	s_cbranch_scc1 .LBB15_66
.LBB15_67:                              ;   in Loop: Header=BB15_9 Depth=1
	s_cbranch_execnz .LBB15_70
.LBB15_68:                              ;   in Loop: Header=BB15_9 Depth=1
	v_mul_hi_u32 v0, v10, s10
	v_add_u32_e32 v0, v0, v10
	v_lshrrev_b32_e32 v0, s11, v0
	v_mul_lo_u32 v2, v0, s9
	v_sub_u32_e32 v2, v10, v2
	s_andn2_b64 vcc, exec, s[46:47]
	s_waitcnt lgkmcnt(0)
	v_mul_lo_u32 v2, v2, s50
	s_cbranch_vccnz .LBB15_70
; %bb.69:                               ;   in Loop: Header=BB15_9 Depth=1
	v_mul_hi_u32 v3, s8, v0
	v_add_u32_e32 v3, v0, v3
	v_lshrrev_b32_e32 v3, s14, v3
	v_mul_lo_u32 v3, v3, s12
	v_sub_u32_e32 v0, v0, v3
	v_mad_u64_u32 v[2:3], s[4:5], v0, s51, v[2:3]
.LBB15_70:                              ;   in Loop: Header=BB15_9 Depth=1
	v_mov_b32_e32 v0, v4
	s_waitcnt lgkmcnt(0)
	v_cmp_le_u64_e32 vcc, s[30:31], v[0:1]
	s_and_saveexec_b64 s[4:5], vcc
	s_cbranch_execz .LBB15_72
; %bb.71:                               ;   in Loop: Header=BB15_9 Depth=1
	v_cvt_f32_u32_e32 v3, s30
	s_sub_i32 s6, 0, s30
	v_rcp_iflag_f32_e32 v3, v3
	v_mul_f32_e32 v3, 0x4f7ffffe, v3
	v_cvt_u32_f32_e32 v3, v3
	v_mul_lo_u32 v4, s6, v3
	v_mul_hi_u32 v4, v3, v4
	v_add_u32_e32 v3, v3, v4
	v_mul_hi_u32 v3, v0, v3
	v_mul_lo_u32 v3, v3, s30
	v_sub_u32_e32 v0, v0, v3
	v_subrev_u32_e32 v3, s30, v0
	v_cmp_le_u32_e32 vcc, s30, v0
	v_cndmask_b32_e32 v0, v0, v3, vcc
	v_subrev_u32_e32 v3, s30, v0
	v_cmp_le_u32_e32 vcc, s30, v0
	v_cndmask_b32_e32 v0, v0, v3, vcc
.LBB15_72:                              ;   in Loop: Header=BB15_9 Depth=1
	s_or_b64 exec, exec, s[4:5]
	v_mov_b32_e32 v3, s49
	v_add_co_u32_e32 v10, vcc, s48, v0
	v_addc_co_u32_e32 v11, vcc, v1, v3, vcc
	global_store_dwordx2 v2, v[10:11], s[28:29]
.LBB15_73:                              ;   in Loop: Header=BB15_9 Depth=1
	s_or_b64 exec, exec, s[2:3]
	v_mov_b32_e32 v0, s67
	v_add_co_u32_e32 v10, vcc, s66, v16
	v_addc_co_u32_e32 v11, vcc, v17, v0, vcc
	v_cmp_gt_i64_e32 vcc, s[24:25], v[10:11]
	s_and_saveexec_b64 s[36:37], vcc
	s_cbranch_execz .LBB15_8
; %bb.74:                               ;   in Loop: Header=BB15_9 Depth=1
	s_and_b64 vcc, exec, s[0:1]
	s_cbranch_vccnz .LBB15_80
; %bb.75:                               ;   in Loop: Header=BB15_9 Depth=1
	s_andn2_b64 vcc, exec, s[42:43]
	s_cbranch_vccnz .LBB15_81
; %bb.76:                               ;   in Loop: Header=BB15_9 Depth=1
	s_mov_b32 s2, 0
	s_andn2_b64 vcc, exec, s[52:53]
	v_mov_b32_e32 v2, 0
	s_cbranch_vccnz .LBB15_82
; %bb.77:                               ;   in Loop: Header=BB15_9 Depth=1
	s_mov_b32 s60, 0
	v_mov_b32_e32 v2, 0
	s_mov_b64 s[38:39], s[34:35]
	s_mov_b64 s[58:59], s[44:45]
	v_mov_b32_e32 v0, v10
.LBB15_78:                              ;   Parent Loop BB15_9 Depth=1
                                        ; =>  This Inner Loop Header: Depth=2
	s_load_dwordx8 s[0:7], s[38:39], 0x4
	s_load_dwordx4 s[16:19], s[38:39], 0x24
	s_load_dwordx4 s[20:23], s[58:59], 0x0
	s_add_u32 s38, s38, 48
	s_addc_u32 s39, s39, 0
	s_waitcnt lgkmcnt(0)
	v_mul_hi_u32 v3, s1, v0
	v_add_u32_e32 v3, v0, v3
	v_lshrrev_b32_e32 v3, s2, v3
	v_mul_lo_u32 v4, v3, s0
	v_mul_hi_u32 v9, s4, v3
	v_sub_u32_e32 v0, v0, v4
	v_add_u32_e32 v4, v3, v9
	v_lshrrev_b32_e32 v4, s5, v4
	v_mul_lo_u32 v9, v4, s3
	v_mul_hi_u32 v11, s7, v4
	v_sub_u32_e32 v3, v3, v9
	v_add_u32_e32 v9, v4, v11
	v_mul_lo_u32 v0, v0, s20
	v_mul_lo_u32 v3, v3, s21
	v_lshrrev_b32_e32 v9, s16, v9
	v_add3_u32 v2, v0, v2, v3
	v_mul_lo_u32 v0, v9, s6
	v_mul_hi_u32 v3, s18, v9
	v_sub_u32_e32 v0, v4, v0
	v_add_u32_e32 v3, v9, v3
	v_mul_lo_u32 v4, v0, s22
	v_lshrrev_b32_e32 v0, s19, v3
	s_add_i32 s60, s60, 4
	v_mul_lo_u32 v3, v0, s17
	s_add_u32 s58, s58, 16
	v_sub_u32_e32 v3, v9, v3
	s_addc_u32 s59, s59, 0
	v_mul_lo_u32 v3, v3, s23
	s_cmp_eq_u32 s69, s60
	v_add3_u32 v2, v4, v2, v3
	s_cbranch_scc0 .LBB15_78
; %bb.79:                               ;   in Loop: Header=BB15_9 Depth=1
	s_mov_b32 s2, s69
	s_andn2_b64 vcc, exec, s[56:57]
	s_cbranch_vccz .LBB15_83
	s_branch .LBB15_85
.LBB15_80:                              ;   in Loop: Header=BB15_9 Depth=1
                                        ; implicit-def: $vgpr2
	s_branch .LBB15_86
.LBB15_81:                              ;   in Loop: Header=BB15_9 Depth=1
	v_mov_b32_e32 v2, 0
	s_branch .LBB15_85
.LBB15_82:                              ;   in Loop: Header=BB15_9 Depth=1
	v_mov_b32_e32 v0, v10
	s_andn2_b64 vcc, exec, s[56:57]
	s_cbranch_vccnz .LBB15_85
.LBB15_83:                              ;   in Loop: Header=BB15_9 Depth=1
	s_lshl_b32 s0, s2, 2
	s_add_u32 s0, s44, s0
	s_addc_u32 s1, s45, 0
	s_mul_i32 s2, s2, 12
	s_add_u32 s2, s34, s2
	s_addc_u32 s3, s35, 0
	s_mov_b32 s4, s68
.LBB15_84:                              ;   Parent Loop BB15_9 Depth=1
                                        ; =>  This Inner Loop Header: Depth=2
	s_load_dwordx2 s[6:7], s[2:3], 0x4
	s_load_dword s5, s[2:3], 0xc
	s_load_dword s16, s[0:1], 0x0
	s_add_u32 s2, s2, 12
	s_addc_u32 s3, s3, 0
	s_waitcnt lgkmcnt(0)
	v_mul_hi_u32 v3, s7, v0
	v_add_u32_e32 v3, v0, v3
	v_lshrrev_b32_e32 v3, s5, v3
	s_add_u32 s0, s0, 4
	v_mul_lo_u32 v4, v3, s6
	s_addc_u32 s1, s1, 0
	s_add_i32 s4, s4, -1
	v_sub_u32_e32 v4, v0, v4
	s_cmp_lg_u32 s4, 0
	v_mov_b32_e32 v0, v3
	v_mad_u64_u32 v[2:3], s[6:7], v4, s16, v[2:3]
	s_cbranch_scc1 .LBB15_84
.LBB15_85:                              ;   in Loop: Header=BB15_9 Depth=1
	s_cbranch_execnz .LBB15_88
.LBB15_86:                              ;   in Loop: Header=BB15_9 Depth=1
	v_mul_hi_u32 v0, v10, s10
	v_add_u32_e32 v0, v0, v10
	v_lshrrev_b32_e32 v0, s11, v0
	v_mul_lo_u32 v2, v0, s9
	v_sub_u32_e32 v2, v10, v2
	s_andn2_b64 vcc, exec, s[46:47]
	s_waitcnt lgkmcnt(0)
	v_mul_lo_u32 v2, v2, s50
	s_cbranch_vccnz .LBB15_88
; %bb.87:                               ;   in Loop: Header=BB15_9 Depth=1
	v_mul_hi_u32 v3, s8, v0
	v_add_u32_e32 v3, v0, v3
	v_lshrrev_b32_e32 v3, s14, v3
	v_mul_lo_u32 v3, v3, s12
	v_sub_u32_e32 v0, v0, v3
	v_mad_u64_u32 v[2:3], s[0:1], v0, s51, v[2:3]
.LBB15_88:                              ;   in Loop: Header=BB15_9 Depth=1
	v_mov_b32_e32 v0, v5
	s_waitcnt lgkmcnt(0)
	v_cmp_le_u64_e32 vcc, s[30:31], v[0:1]
	s_and_saveexec_b64 s[0:1], vcc
	s_cbranch_execz .LBB15_7
; %bb.89:                               ;   in Loop: Header=BB15_9 Depth=1
	v_cvt_f32_u32_e32 v3, s30
	s_sub_i32 s2, 0, s30
	v_rcp_iflag_f32_e32 v3, v3
	v_mul_f32_e32 v3, 0x4f7ffffe, v3
	v_cvt_u32_f32_e32 v3, v3
	v_mul_lo_u32 v4, s2, v3
	v_mul_hi_u32 v4, v3, v4
	v_add_u32_e32 v3, v3, v4
	v_mul_hi_u32 v3, v0, v3
	v_mul_lo_u32 v3, v3, s30
	v_sub_u32_e32 v0, v0, v3
	v_subrev_u32_e32 v3, s30, v0
	v_cmp_le_u32_e32 vcc, s30, v0
	v_cndmask_b32_e32 v0, v0, v3, vcc
	v_subrev_u32_e32 v3, s30, v0
	v_cmp_le_u32_e32 vcc, s30, v0
	v_cndmask_b32_e32 v0, v0, v3, vcc
	s_branch .LBB15_7
.LBB15_90:
	s_endpgm
.LBB15_91:
                                        ; implicit-def: $sgpr2_sgpr3
	s_andn2_b64 vcc, exec, s[0:1]
	s_cbranch_vccz .LBB15_4
	s_branch .LBB15_5
	.section	.rodata,"a",@progbits
	.p2align	6, 0x0
	.amdhsa_kernel _ZN2at6native12_GLOBAL__N_143distribution_elementwise_grid_stride_kernelIjLi4EZZZNS0_9templates4cuda21random_from_to_kernelIPNS_17CUDAGeneratorImplEEEvRNS_18TensorIteratorBaseEmlT_ENKUlvE_clEvENKUlvE2_clEvEUlP25hiprandStatePhilox4_32_10E0_ZNS1_27distribution_nullary_kernelIlj15HIP_vector_typeIjLj4EES7_SF_ZZZNS5_IS7_EEvS9_mlSA_ENKSB_clEvENKSC_clEvEUljE_EEvS9_T2_RKT3_T4_EUlijE0_EEvlNS_15PhiloxCudaStateET1_SK_
		.amdhsa_group_segment_fixed_size 0
		.amdhsa_private_segment_fixed_size 0
		.amdhsa_kernarg_size 592
		.amdhsa_user_sgpr_count 6
		.amdhsa_user_sgpr_private_segment_buffer 1
		.amdhsa_user_sgpr_dispatch_ptr 0
		.amdhsa_user_sgpr_queue_ptr 0
		.amdhsa_user_sgpr_kernarg_segment_ptr 1
		.amdhsa_user_sgpr_dispatch_id 0
		.amdhsa_user_sgpr_flat_scratch_init 0
		.amdhsa_user_sgpr_kernarg_preload_length 0
		.amdhsa_user_sgpr_kernarg_preload_offset 0
		.amdhsa_user_sgpr_private_segment_size 0
		.amdhsa_uses_dynamic_stack 0
		.amdhsa_system_sgpr_private_segment_wavefront_offset 0
		.amdhsa_system_sgpr_workgroup_id_x 1
		.amdhsa_system_sgpr_workgroup_id_y 0
		.amdhsa_system_sgpr_workgroup_id_z 0
		.amdhsa_system_sgpr_workgroup_info 0
		.amdhsa_system_vgpr_workitem_id 0
		.amdhsa_next_free_vgpr 43
		.amdhsa_next_free_sgpr 71
		.amdhsa_accum_offset 44
		.amdhsa_reserve_vcc 1
		.amdhsa_reserve_flat_scratch 0
		.amdhsa_float_round_mode_32 0
		.amdhsa_float_round_mode_16_64 0
		.amdhsa_float_denorm_mode_32 3
		.amdhsa_float_denorm_mode_16_64 3
		.amdhsa_dx10_clamp 1
		.amdhsa_ieee_mode 1
		.amdhsa_fp16_overflow 0
		.amdhsa_tg_split 0
		.amdhsa_exception_fp_ieee_invalid_op 0
		.amdhsa_exception_fp_denorm_src 0
		.amdhsa_exception_fp_ieee_div_zero 0
		.amdhsa_exception_fp_ieee_overflow 0
		.amdhsa_exception_fp_ieee_underflow 0
		.amdhsa_exception_fp_ieee_inexact 0
		.amdhsa_exception_int_div_zero 0
	.end_amdhsa_kernel
	.section	.text._ZN2at6native12_GLOBAL__N_143distribution_elementwise_grid_stride_kernelIjLi4EZZZNS0_9templates4cuda21random_from_to_kernelIPNS_17CUDAGeneratorImplEEEvRNS_18TensorIteratorBaseEmlT_ENKUlvE_clEvENKUlvE2_clEvEUlP25hiprandStatePhilox4_32_10E0_ZNS1_27distribution_nullary_kernelIlj15HIP_vector_typeIjLj4EES7_SF_ZZZNS5_IS7_EEvS9_mlSA_ENKSB_clEvENKSC_clEvEUljE_EEvS9_T2_RKT3_T4_EUlijE0_EEvlNS_15PhiloxCudaStateET1_SK_,"axG",@progbits,_ZN2at6native12_GLOBAL__N_143distribution_elementwise_grid_stride_kernelIjLi4EZZZNS0_9templates4cuda21random_from_to_kernelIPNS_17CUDAGeneratorImplEEEvRNS_18TensorIteratorBaseEmlT_ENKUlvE_clEvENKUlvE2_clEvEUlP25hiprandStatePhilox4_32_10E0_ZNS1_27distribution_nullary_kernelIlj15HIP_vector_typeIjLj4EES7_SF_ZZZNS5_IS7_EEvS9_mlSA_ENKSB_clEvENKSC_clEvEUljE_EEvS9_T2_RKT3_T4_EUlijE0_EEvlNS_15PhiloxCudaStateET1_SK_,comdat
.Lfunc_end15:
	.size	_ZN2at6native12_GLOBAL__N_143distribution_elementwise_grid_stride_kernelIjLi4EZZZNS0_9templates4cuda21random_from_to_kernelIPNS_17CUDAGeneratorImplEEEvRNS_18TensorIteratorBaseEmlT_ENKUlvE_clEvENKUlvE2_clEvEUlP25hiprandStatePhilox4_32_10E0_ZNS1_27distribution_nullary_kernelIlj15HIP_vector_typeIjLj4EES7_SF_ZZZNS5_IS7_EEvS9_mlSA_ENKSB_clEvENKSC_clEvEUljE_EEvS9_T2_RKT3_T4_EUlijE0_EEvlNS_15PhiloxCudaStateET1_SK_, .Lfunc_end15-_ZN2at6native12_GLOBAL__N_143distribution_elementwise_grid_stride_kernelIjLi4EZZZNS0_9templates4cuda21random_from_to_kernelIPNS_17CUDAGeneratorImplEEEvRNS_18TensorIteratorBaseEmlT_ENKUlvE_clEvENKUlvE2_clEvEUlP25hiprandStatePhilox4_32_10E0_ZNS1_27distribution_nullary_kernelIlj15HIP_vector_typeIjLj4EES7_SF_ZZZNS5_IS7_EEvS9_mlSA_ENKSB_clEvENKSC_clEvEUljE_EEvS9_T2_RKT3_T4_EUlijE0_EEvlNS_15PhiloxCudaStateET1_SK_
                                        ; -- End function
	.section	.AMDGPU.csdata,"",@progbits
; Kernel info:
; codeLenInByte = 4820
; NumSgprs: 75
; NumVgprs: 43
; NumAgprs: 0
; TotalNumVgprs: 43
; ScratchSize: 0
; MemoryBound: 0
; FloatMode: 240
; IeeeMode: 1
; LDSByteSize: 0 bytes/workgroup (compile time only)
; SGPRBlocks: 9
; VGPRBlocks: 5
; NumSGPRsForWavesPerEU: 75
; NumVGPRsForWavesPerEU: 43
; AccumOffset: 44
; Occupancy: 8
; WaveLimiterHint : 1
; COMPUTE_PGM_RSRC2:SCRATCH_EN: 0
; COMPUTE_PGM_RSRC2:USER_SGPR: 6
; COMPUTE_PGM_RSRC2:TRAP_HANDLER: 0
; COMPUTE_PGM_RSRC2:TGID_X_EN: 1
; COMPUTE_PGM_RSRC2:TGID_Y_EN: 0
; COMPUTE_PGM_RSRC2:TGID_Z_EN: 0
; COMPUTE_PGM_RSRC2:TIDIG_COMP_CNT: 0
; COMPUTE_PGM_RSRC3_GFX90A:ACCUM_OFFSET: 10
; COMPUTE_PGM_RSRC3_GFX90A:TG_SPLIT: 0
	.section	.text._ZN2at6native12_GLOBAL__N_143distribution_elementwise_grid_stride_kernelImLi2EZZZNS0_9templates4cuda21random_from_to_kernelIPNS_17CUDAGeneratorImplEEEvRNS_18TensorIteratorBaseEmlT_ENKUlvE_clEvENKUlvE3_clEvEUlP25hiprandStatePhilox4_32_10E_ZNS1_27distribution_nullary_kernelIsm15HIP_vector_typeIyLj2EES7_SF_ZZZNS5_IS7_EEvS9_mlSA_ENKSB_clEvENKSC_clEvEUlmE_EEvS9_T2_RKT3_T4_EUlimE_EEvlNS_15PhiloxCudaStateET1_SK_,"axG",@progbits,_ZN2at6native12_GLOBAL__N_143distribution_elementwise_grid_stride_kernelImLi2EZZZNS0_9templates4cuda21random_from_to_kernelIPNS_17CUDAGeneratorImplEEEvRNS_18TensorIteratorBaseEmlT_ENKUlvE_clEvENKUlvE3_clEvEUlP25hiprandStatePhilox4_32_10E_ZNS1_27distribution_nullary_kernelIsm15HIP_vector_typeIyLj2EES7_SF_ZZZNS5_IS7_EEvS9_mlSA_ENKSB_clEvENKSC_clEvEUlmE_EEvS9_T2_RKT3_T4_EUlimE_EEvlNS_15PhiloxCudaStateET1_SK_,comdat
	.globl	_ZN2at6native12_GLOBAL__N_143distribution_elementwise_grid_stride_kernelImLi2EZZZNS0_9templates4cuda21random_from_to_kernelIPNS_17CUDAGeneratorImplEEEvRNS_18TensorIteratorBaseEmlT_ENKUlvE_clEvENKUlvE3_clEvEUlP25hiprandStatePhilox4_32_10E_ZNS1_27distribution_nullary_kernelIsm15HIP_vector_typeIyLj2EES7_SF_ZZZNS5_IS7_EEvS9_mlSA_ENKSB_clEvENKSC_clEvEUlmE_EEvS9_T2_RKT3_T4_EUlimE_EEvlNS_15PhiloxCudaStateET1_SK_ ; -- Begin function _ZN2at6native12_GLOBAL__N_143distribution_elementwise_grid_stride_kernelImLi2EZZZNS0_9templates4cuda21random_from_to_kernelIPNS_17CUDAGeneratorImplEEEvRNS_18TensorIteratorBaseEmlT_ENKUlvE_clEvENKUlvE3_clEvEUlP25hiprandStatePhilox4_32_10E_ZNS1_27distribution_nullary_kernelIsm15HIP_vector_typeIyLj2EES7_SF_ZZZNS5_IS7_EEvS9_mlSA_ENKSB_clEvENKSC_clEvEUlmE_EEvS9_T2_RKT3_T4_EUlimE_EEvlNS_15PhiloxCudaStateET1_SK_
	.p2align	8
	.type	_ZN2at6native12_GLOBAL__N_143distribution_elementwise_grid_stride_kernelImLi2EZZZNS0_9templates4cuda21random_from_to_kernelIPNS_17CUDAGeneratorImplEEEvRNS_18TensorIteratorBaseEmlT_ENKUlvE_clEvENKUlvE3_clEvEUlP25hiprandStatePhilox4_32_10E_ZNS1_27distribution_nullary_kernelIsm15HIP_vector_typeIyLj2EES7_SF_ZZZNS5_IS7_EEvS9_mlSA_ENKSB_clEvENKSC_clEvEUlmE_EEvS9_T2_RKT3_T4_EUlimE_EEvlNS_15PhiloxCudaStateET1_SK_,@function
_ZN2at6native12_GLOBAL__N_143distribution_elementwise_grid_stride_kernelImLi2EZZZNS0_9templates4cuda21random_from_to_kernelIPNS_17CUDAGeneratorImplEEEvRNS_18TensorIteratorBaseEmlT_ENKUlvE_clEvENKUlvE3_clEvEUlP25hiprandStatePhilox4_32_10E_ZNS1_27distribution_nullary_kernelIsm15HIP_vector_typeIyLj2EES7_SF_ZZZNS5_IS7_EEvS9_mlSA_ENKSB_clEvENKSC_clEvEUlmE_EEvS9_T2_RKT3_T4_EUlimE_EEvlNS_15PhiloxCudaStateET1_SK_: ; @_ZN2at6native12_GLOBAL__N_143distribution_elementwise_grid_stride_kernelImLi2EZZZNS0_9templates4cuda21random_from_to_kernelIPNS_17CUDAGeneratorImplEEEvRNS_18TensorIteratorBaseEmlT_ENKUlvE_clEvENKUlvE3_clEvEUlP25hiprandStatePhilox4_32_10E_ZNS1_27distribution_nullary_kernelIsm15HIP_vector_typeIyLj2EES7_SF_ZZZNS5_IS7_EEvS9_mlSA_ENKSB_clEvENKSC_clEvEUlmE_EEvS9_T2_RKT3_T4_EUlimE_EEvlNS_15PhiloxCudaStateET1_SK_
; %bb.0:
	s_load_dword s2, s[4:5], 0x20
	s_load_dwordx2 s[0:1], s[4:5], 0x10
	s_load_dwordx4 s[8:11], s[4:5], 0x0
	s_waitcnt lgkmcnt(0)
	s_bitcmp0_b32 s2, 0
	s_mov_b32 s2, 0
	v_pk_mov_b32 v[2:3], s[0:1], s[0:1] op_sel:[0,1]
	v_pk_mov_b32 v[14:15], s[10:11], s[10:11] op_sel:[0,1]
	s_cbranch_scc1 .LBB16_2
; %bb.1:
	v_pk_mov_b32 v[2:3], s[0:1], s[0:1] op_sel:[0,1]
	flat_load_dwordx2 v[2:3], v[2:3]
	v_pk_mov_b32 v[4:5], s[10:11], s[10:11] op_sel:[0,1]
	flat_load_dwordx2 v[14:15], v[4:5]
	s_load_dwordx2 s[0:1], s[4:5], 0x18
	s_waitcnt lgkmcnt(0)
	v_mov_b32_e32 v1, s1
	s_waitcnt vmcnt(0)
	v_add_co_u32_e32 v2, vcc, s0, v2
	v_addc_co_u32_e32 v3, vcc, v3, v1, vcc
.LBB16_2:
	s_load_dword s0, s[4:5], 0x5c
	s_load_dword s16, s[4:5], 0x50
	s_waitcnt lgkmcnt(0)
	s_and_b32 s7, s0, 0xffff
	s_add_u32 s10, s8, -1
	s_mul_i32 s18, s16, s7
	s_addc_u32 s3, s9, -1
	s_lshl_b32 s19, s18, 1
	s_cmp_lg_u64 s[2:3], 0
	s_mov_b64 s[0:1], -1
	s_cbranch_scc0 .LBB16_31
; %bb.3:
	v_cvt_f32_u32_e32 v1, s19
	v_cvt_f32_ubyte0_e32 v4, 0
	s_sub_u32 s2, 0, s19
	s_subb_u32 s11, 0, 0
	v_madmk_f32 v1, v4, 0x4f800000, v1
	v_rcp_f32_e32 v1, v1
	v_mul_f32_e32 v1, 0x5f7ffffc, v1
	v_mul_f32_e32 v4, 0x2f800000, v1
	v_trunc_f32_e32 v4, v4
	v_madmk_f32 v1, v4, 0xcf800000, v1
	v_cvt_u32_f32_e32 v4, v4
	v_cvt_u32_f32_e32 v1, v1
	v_readfirstlane_b32 s12, v4
	v_readfirstlane_b32 s13, v1
	s_mul_i32 s14, s2, s12
	s_mul_hi_u32 s17, s2, s13
	s_mul_i32 s15, s11, s13
	s_add_i32 s14, s17, s14
	s_add_i32 s14, s14, s15
	s_mul_i32 s20, s2, s13
	s_mul_hi_u32 s15, s13, s14
	s_mul_i32 s17, s13, s14
	s_mul_hi_u32 s13, s13, s20
	s_add_u32 s13, s13, s17
	s_addc_u32 s15, 0, s15
	s_mul_hi_u32 s21, s12, s20
	s_mul_i32 s20, s12, s20
	s_add_u32 s13, s13, s20
	s_mul_hi_u32 s17, s12, s14
	s_addc_u32 s13, s15, s21
	s_addc_u32 s15, s17, 0
	s_mul_i32 s14, s12, s14
	s_add_u32 s13, s13, s14
	s_addc_u32 s14, 0, s15
	v_add_co_u32_e32 v1, vcc, s13, v1
	s_cmp_lg_u64 vcc, 0
	s_addc_u32 s12, s12, s14
	v_readfirstlane_b32 s14, v1
	s_mul_i32 s13, s2, s12
	s_mul_hi_u32 s15, s2, s14
	s_add_i32 s13, s15, s13
	s_mul_i32 s11, s11, s14
	s_add_i32 s13, s13, s11
	s_mul_i32 s2, s2, s14
	s_mul_hi_u32 s15, s12, s2
	s_mul_i32 s17, s12, s2
	s_mul_i32 s21, s14, s13
	s_mul_hi_u32 s2, s14, s2
	s_mul_hi_u32 s20, s14, s13
	s_add_u32 s2, s2, s21
	s_addc_u32 s14, 0, s20
	s_add_u32 s2, s2, s17
	s_mul_hi_u32 s11, s12, s13
	s_addc_u32 s2, s14, s15
	s_addc_u32 s11, s11, 0
	s_mul_i32 s13, s12, s13
	s_add_u32 s2, s2, s13
	s_addc_u32 s11, 0, s11
	v_add_co_u32_e32 v1, vcc, s2, v1
	s_cmp_lg_u64 vcc, 0
	s_addc_u32 s11, s12, s11
	s_ashr_i32 s12, s3, 31
	s_add_u32 s2, s10, s12
	s_mov_b32 s13, s12
	s_addc_u32 s3, s3, s12
	s_xor_b64 s[2:3], s[2:3], s[12:13]
	v_readfirstlane_b32 s17, v1
	s_mul_i32 s15, s2, s11
	s_mul_hi_u32 s20, s2, s17
	s_mul_hi_u32 s14, s2, s11
	s_add_u32 s15, s20, s15
	s_addc_u32 s14, 0, s14
	s_mul_hi_u32 s21, s3, s17
	s_mul_i32 s17, s3, s17
	s_add_u32 s15, s15, s17
	s_mul_hi_u32 s20, s3, s11
	s_addc_u32 s14, s14, s21
	s_addc_u32 s15, s20, 0
	s_mul_i32 s11, s3, s11
	s_add_u32 s11, s14, s11
	s_addc_u32 s14, 0, s15
	s_add_u32 s15, s11, 1
	s_addc_u32 s17, s14, 0
	s_add_u32 s20, s11, 2
	s_mul_i32 s22, s19, s14
	s_mul_hi_u32 s23, s19, s11
	s_addc_u32 s21, s14, 0
	s_add_i32 s23, s23, s22
	s_mul_i32 s22, s19, s11
	v_mov_b32_e32 v1, s22
	v_sub_co_u32_e32 v1, vcc, s2, v1
	s_cmp_lg_u64 vcc, 0
	s_subb_u32 s2, s3, s23
	v_subrev_co_u32_e32 v4, vcc, s19, v1
	s_cmp_lg_u64 vcc, 0
	s_subb_u32 s3, s2, 0
	v_readfirstlane_b32 s22, v4
	s_cmp_ge_u32 s22, s19
	s_cselect_b32 s22, -1, 0
	s_cmp_eq_u32 s3, 0
	s_cselect_b32 s3, s22, -1
	s_cmp_lg_u32 s3, 0
	s_cselect_b32 s3, s21, s17
	v_readfirstlane_b32 s17, v1
	s_cselect_b32 s15, s20, s15
	s_cmp_ge_u32 s17, s19
	s_cselect_b32 s17, -1, 0
	s_cmp_eq_u32 s2, 0
	s_cselect_b32 s2, s17, -1
	s_cmp_lg_u32 s2, 0
	s_cselect_b32 s3, s3, s14
	s_cselect_b32 s2, s15, s11
	s_xor_b64 s[2:3], s[2:3], s[12:13]
	s_sub_u32 s2, s2, s12
	s_subb_u32 s3, s3, s12
	s_cbranch_execnz .LBB16_5
.LBB16_4:
	v_cvt_f32_u32_e32 v1, s19
	s_sub_i32 s0, 0, s19
	s_mov_b32 s3, 0
	v_rcp_iflag_f32_e32 v1, v1
	v_mul_f32_e32 v1, 0x4f7ffffe, v1
	v_cvt_u32_f32_e32 v1, v1
	v_readfirstlane_b32 s1, v1
	s_mul_i32 s0, s0, s1
	s_mul_hi_u32 s0, s1, s0
	s_add_i32 s1, s1, s0
	s_mul_hi_u32 s0, s10, s1
	s_mul_i32 s2, s0, s19
	s_sub_i32 s2, s10, s2
	s_add_i32 s1, s0, 1
	s_sub_i32 s10, s2, s19
	s_cmp_ge_u32 s2, s19
	s_cselect_b32 s0, s1, s0
	s_cselect_b32 s2, s10, s2
	s_add_i32 s1, s0, 1
	s_cmp_ge_u32 s2, s19
	s_cselect_b32 s2, s1, s0
.LBB16_5:
	v_mov_b32_e32 v16, 0
	v_mov_b32_e32 v1, v16
	;; [unrolled: 1-line block ×3, first 2 shown]
	v_mad_u64_u32 v[18:19], s[0:1], s7, v4, v[0:1]
	s_add_u32 s0, s2, 1
	s_addc_u32 s1, s3, 0
	s_mul_hi_u32 s2, s16, s7
	s_mul_i32 s1, s18, s1
	s_mul_hi_u32 s3, s18, s0
	s_add_i32 s1, s3, s1
	s_mul_i32 s2, s2, s0
	s_add_i32 s1, s1, s2
	s_mul_i32 s0, s18, s0
	s_lshl_b64 s[2:3], s[0:1], 1
	v_cmp_gt_i64_e32 vcc, s[2:3], v[18:19]
	s_and_saveexec_b64 s[0:1], vcc
	s_cbranch_execz .LBB16_30
; %bb.6:
	v_mov_b32_e32 v4, v15
	s_mov_b32 s0, 0xdb3d7428
	v_add_co_u32_e32 v23, vcc, s0, v4
	s_mov_b32 s0, 0x5384540f
	v_add_co_u32_e32 v24, vcc, s0, v14
	;; [unrolled: 2-line block ×7, first 2 shown]
	s_mov_b32 s0, 0x9e3779b9
	v_alignbit_b32 v31, v3, v2, 2
	s_mov_b32 s20, 0xd2511f53
	v_add_co_u32_e32 v30, vcc, s0, v14
	v_mad_u64_u32 v[6:7], s[0:1], v31, s20, 0
	v_xor_b32_e32 v1, v7, v15
	v_xor_b32_e32 v1, v1, v19
	s_mov_b32 s21, 0xcd9e8d57
	v_mad_u64_u32 v[8:9], s[0:1], v1, s21, 0
	v_xor_b32_e32 v1, v30, v9
	v_mad_u64_u32 v[10:11], s[0:1], v18, s21, 0
	v_and_b32_e32 v20, 3, v2
	v_xor_b32_e32 v1, v1, v10
	v_xor_b32_e32 v2, v14, v11
	v_lshrrev_b32_e32 v32, 2, v3
	v_mad_u64_u32 v[12:13], s[0:1], v1, s20, 0
	v_xor_b32_e32 v2, v2, v32
	v_xor_b32_e32 v1, v29, v13
	v_mad_u64_u32 v[2:3], s[0:1], v2, s20, 0
	v_xor_b32_e32 v1, v1, v2
	v_mad_u64_u32 v[10:11], s[0:1], v1, s21, 0
	s_mov_b32 s0, 0xbb67ae85
	v_add_co_u32_e32 v33, vcc, s0, v4
	v_xor_b32_e32 v2, v33, v3
	v_xor_b32_e32 v2, v2, v6
	v_xor_b32_e32 v1, v28, v11
	v_mad_u64_u32 v[2:3], s[0:1], v2, s21, 0
	v_xor_b32_e32 v1, v1, v2
	v_mad_u64_u32 v[6:7], s[0:1], v1, s20, 0
	s_mov_b32 s0, 0x3c6ef372
	v_add_co_u32_e32 v34, vcc, s0, v14
	v_xor_b32_e32 v2, v34, v3
	;; [unrolled: 8-line block ×7, first 2 shown]
	v_xor_b32_e32 v1, v1, v12
	v_mad_u64_u32 v[2:3], s[0:1], v1, s21, 0
	s_mov_b32 s0, 0xf1bbcdc8
	v_add_u32_e32 v21, 0x8ff34781, v14
	v_xor_b32_e32 v1, v9, v2
	v_add_co_u32_e32 v40, vcc, s0, v14
	s_load_dwordx2 s[10:11], s[4:5], 0x30
	s_load_dword s17, s[4:5], 0x38
	s_load_dwordx4 s[12:15], s[4:5], 0x40
	v_xor_b32_e32 v2, v21, v1
	v_xor_b32_e32 v1, v40, v3
	;; [unrolled: 1-line block ×3, first 2 shown]
	v_mad_u64_u32 v[10:11], s[0:1], v1, s20, 0
	v_add_u32_e32 v22, 0x96a522ad, v15
	v_xor_b32_e32 v1, v11, v6
	s_mul_i32 s0, s6, s7
	v_xor_b32_e32 v4, v22, v1
	v_add_u32_e32 v1, s0, v0
	s_waitcnt lgkmcnt(0)
	s_mul_i32 s0, s16, s17
	s_mul_i32 s0, s0, s7
	s_lshl_b32 s22, s0, 1
	s_add_i32 s0, s6, s16
	s_mul_i32 s0, s0, s7
	s_mov_b32 s15, 0
	v_add_u32_e32 v0, s0, v0
	v_mov_b32_e32 v3, v8
	v_mov_b32_e32 v5, v10
	v_mul_lo_u32 v41, s17, v1
	v_mul_lo_u32 v42, s17, v0
	s_mov_b64 s[4:5], 0
	s_mov_b32 s23, s15
	v_mov_b32_e32 v43, v18
	v_mov_b32_e32 v44, v19
	s_branch .LBB16_9
.LBB16_7:                               ;   in Loop: Header=BB16_9 Depth=1
	s_or_b64 exec, exec, s[0:1]
	v_add_u32_e32 v1, s23, v42
	v_ashrrev_i32_e32 v3, 31, v1
	v_mov_b32_e32 v4, s11
	v_add_co_u32_e32 v2, vcc, s10, v1
	v_addc_co_u32_e32 v3, vcc, v4, v3, vcc
	v_add_u32_e32 v1, s14, v10
	global_store_short v[2:3], v1, off
.LBB16_8:                               ;   in Loop: Header=BB16_9 Depth=1
	s_or_b64 exec, exec, s[6:7]
	v_add_co_u32_e32 v18, vcc, s19, v18
	v_addc_co_u32_e32 v19, vcc, 0, v19, vcc
	v_mov_b32_e32 v9, v0
	s_add_i32 s23, s23, s22
	v_cmp_le_i64_e32 vcc, s[2:3], v[18:19]
	v_pk_mov_b32 v[2:3], v[6:7], v[6:7] op_sel:[0,1]
	s_or_b64 s[4:5], vcc, s[4:5]
	v_pk_mov_b32 v[4:5], v[8:9], v[8:9] op_sel:[0,1]
	s_barrier
	s_andn2_b64 exec, exec, s[4:5]
	s_cbranch_execz .LBB16_30
.LBB16_9:                               ; =>This Inner Loop Header: Depth=1
	v_add_co_u32_e32 v31, vcc, 1, v31
	v_cndmask_b32_e64 v0, 0, 1, vcc
	v_addc_co_u32_e32 v32, vcc, 0, v32, vcc
	v_cmp_eq_u32_e32 vcc, 0, v32
	v_cndmask_b32_e32 v0, 0, v0, vcc
	v_add_u32_e32 v43, v0, v43
	v_cmp_eq_u32_e32 vcc, 0, v43
	v_cndmask_b32_e32 v0, 0, v0, vcc
	v_add_u32_e32 v44, v0, v44
	v_mad_u64_u32 v[0:1], s[0:1], v31, s20, 0
	v_mad_u64_u32 v[6:7], s[0:1], v43, s21, 0
	v_xor_b32_e32 v1, v1, v15
	v_xor_b32_e32 v7, v7, v14
	v_xor_b32_e32 v1, v44, v1
	v_xor_b32_e32 v7, v32, v7
	v_mad_u64_u32 v[10:11], s[0:1], v1, s21, 0
	v_mad_u64_u32 v[8:9], s[0:1], v7, s20, 0
	v_xor_b32_e32 v1, v30, v11
	v_xor_b32_e32 v1, v1, v6
	v_xor_b32_e32 v6, v33, v9
	v_xor_b32_e32 v6, v6, v0
	;; [unrolled: 6-line block ×10, first 2 shown]
	v_mov_b32_e32 v7, v12
	v_mov_b32_e32 v8, v13
	v_cmp_lt_i32_e32 vcc, 1, v20
	s_and_saveexec_b64 s[0:1], vcc
	s_xor_b64 s[0:1], exec, s[0:1]
	s_cbranch_execnz .LBB16_12
; %bb.10:                               ;   in Loop: Header=BB16_9 Depth=1
	s_andn2_saveexec_b64 s[0:1], s[0:1]
	s_cbranch_execnz .LBB16_17
.LBB16_11:                              ;   in Loop: Header=BB16_9 Depth=1
	s_or_b64 exec, exec, s[0:1]
	v_cmp_gt_i64_e32 vcc, s[8:9], v[18:19]
	s_and_saveexec_b64 s[6:7], vcc
	s_cbranch_execnz .LBB16_20
	s_branch .LBB16_25
.LBB16_12:                              ;   in Loop: Header=BB16_9 Depth=1
	v_cmp_lt_i32_e32 vcc, 2, v20
	s_and_saveexec_b64 s[6:7], vcc
	s_xor_b64 s[6:7], exec, s[6:7]
; %bb.13:                               ;   in Loop: Header=BB16_9 Depth=1
	v_mov_b32_e32 v10, v5
	v_mov_b32_e32 v11, v6
	v_pk_mov_b32 v[2:3], v[10:11], v[10:11] op_sel:[0,1]
	v_pk_mov_b32 v[4:5], v[12:13], v[12:13] op_sel:[0,1]
                                        ; implicit-def: $vgpr12_vgpr13
; %bb.14:                               ;   in Loop: Header=BB16_9 Depth=1
	s_andn2_saveexec_b64 s[6:7], s[6:7]
; %bb.15:                               ;   in Loop: Header=BB16_9 Depth=1
	v_mov_b32_e32 v2, v4
	v_mov_b32_e32 v3, v5
	;; [unrolled: 1-line block ×4, first 2 shown]
; %bb.16:                               ;   in Loop: Header=BB16_9 Depth=1
	s_or_b64 exec, exec, s[6:7]
	s_andn2_saveexec_b64 s[0:1], s[0:1]
	s_cbranch_execz .LBB16_11
.LBB16_17:                              ;   in Loop: Header=BB16_9 Depth=1
	v_cmp_eq_u32_e32 vcc, 1, v20
	s_and_saveexec_b64 s[6:7], vcc
; %bb.18:                               ;   in Loop: Header=BB16_9 Depth=1
	v_mov_b32_e32 v2, v3
	v_mov_b32_e32 v3, v4
	v_mov_b32_e32 v4, v5
	v_mov_b32_e32 v5, v6
; %bb.19:                               ;   in Loop: Header=BB16_9 Depth=1
	s_or_b64 exec, exec, s[6:7]
	s_or_b64 exec, exec, s[0:1]
	v_cmp_gt_i64_e32 vcc, s[8:9], v[18:19]
	s_and_saveexec_b64 s[6:7], vcc
	s_cbranch_execz .LBB16_25
.LBB16_20:                              ;   in Loop: Header=BB16_9 Depth=1
	v_or_b32_e32 v17, s13, v2
	v_cmp_ne_u64_e32 vcc, 0, v[16:17]
                                        ; implicit-def: $vgpr10_vgpr11
	s_and_saveexec_b64 s[0:1], vcc
	s_xor_b64 s[16:17], exec, s[0:1]
	s_cbranch_execz .LBB16_22
; %bb.21:                               ;   in Loop: Header=BB16_9 Depth=1
	v_cvt_f32_u32_e32 v1, s12
	v_cvt_f32_u32_e32 v9, s13
	s_sub_u32 s0, 0, s12
	s_subb_u32 s1, 0, s13
	v_mac_f32_e32 v1, 0x4f800000, v9
	v_rcp_f32_e32 v1, v1
	v_mul_f32_e32 v1, 0x5f7ffffc, v1
	v_mul_f32_e32 v9, 0x2f800000, v1
	v_trunc_f32_e32 v9, v9
	v_mac_f32_e32 v1, 0xcf800000, v9
	v_cvt_u32_f32_e32 v9, v9
	v_cvt_u32_f32_e32 v1, v1
	v_mul_lo_u32 v10, s0, v9
	v_mul_hi_u32 v12, s0, v1
	v_mul_lo_u32 v11, s1, v1
	v_add_u32_e32 v10, v12, v10
	v_mul_lo_u32 v13, s0, v1
	v_add_u32_e32 v10, v10, v11
	v_mul_hi_u32 v12, v1, v13
	v_mul_lo_u32 v17, v1, v10
	v_mul_hi_u32 v11, v1, v10
	v_add_co_u32_e32 v12, vcc, v12, v17
	v_addc_co_u32_e32 v11, vcc, 0, v11, vcc
	v_mul_hi_u32 v45, v9, v13
	v_mul_lo_u32 v13, v9, v13
	v_add_co_u32_e32 v12, vcc, v12, v13
	v_mul_hi_u32 v17, v9, v10
	v_addc_co_u32_e32 v11, vcc, v11, v45, vcc
	v_addc_co_u32_e32 v12, vcc, 0, v17, vcc
	v_mul_lo_u32 v10, v9, v10
	v_add_co_u32_e32 v10, vcc, v11, v10
	v_addc_co_u32_e32 v11, vcc, 0, v12, vcc
	v_add_co_u32_e32 v1, vcc, v1, v10
	v_addc_co_u32_e32 v9, vcc, v9, v11, vcc
	v_mul_lo_u32 v10, s0, v9
	v_mul_hi_u32 v11, s0, v1
	v_add_u32_e32 v10, v11, v10
	v_mul_lo_u32 v11, s1, v1
	v_add_u32_e32 v10, v10, v11
	v_mul_lo_u32 v12, s0, v1
	v_mul_hi_u32 v13, v9, v12
	v_mul_lo_u32 v17, v9, v12
	v_mul_lo_u32 v46, v1, v10
	v_mul_hi_u32 v12, v1, v12
	v_mul_hi_u32 v45, v1, v10
	v_add_co_u32_e32 v12, vcc, v12, v46
	v_addc_co_u32_e32 v45, vcc, 0, v45, vcc
	v_add_co_u32_e32 v12, vcc, v12, v17
	v_mul_hi_u32 v11, v9, v10
	v_addc_co_u32_e32 v12, vcc, v45, v13, vcc
	v_addc_co_u32_e32 v11, vcc, 0, v11, vcc
	v_mul_lo_u32 v10, v9, v10
	v_add_co_u32_e32 v10, vcc, v12, v10
	v_addc_co_u32_e32 v11, vcc, 0, v11, vcc
	v_add_co_u32_e32 v1, vcc, v1, v10
	v_addc_co_u32_e32 v9, vcc, v9, v11, vcc
	v_mad_u64_u32 v[10:11], s[0:1], v3, v9, 0
	v_mul_hi_u32 v12, v3, v1
	v_add_co_u32_e32 v17, vcc, v12, v10
	v_addc_co_u32_e32 v45, vcc, 0, v11, vcc
	v_mad_u64_u32 v[12:13], s[0:1], v2, v1, 0
	v_add_co_u32_e32 v1, vcc, v17, v12
	v_mad_u64_u32 v[10:11], s[0:1], v2, v9, 0
	v_addc_co_u32_e32 v1, vcc, v45, v13, vcc
	v_addc_co_u32_e32 v9, vcc, 0, v11, vcc
	v_add_co_u32_e32 v1, vcc, v1, v10
	v_addc_co_u32_e32 v9, vcc, 0, v9, vcc
	v_mul_lo_u32 v12, s13, v1
	v_mul_lo_u32 v9, s12, v9
	v_mad_u64_u32 v[10:11], s[0:1], s12, v1, 0
	v_add3_u32 v1, v11, v9, v12
	v_sub_u32_e32 v9, v2, v1
	v_mov_b32_e32 v11, s13
	v_sub_co_u32_e32 v10, vcc, v3, v10
	v_subb_co_u32_e64 v9, s[0:1], v9, v11, vcc
	v_subrev_co_u32_e64 v11, s[0:1], s12, v10
	v_subbrev_co_u32_e64 v9, s[0:1], 0, v9, s[0:1]
	v_cmp_le_u32_e64 s[0:1], s13, v9
	v_subb_co_u32_e32 v1, vcc, v2, v1, vcc
	v_cndmask_b32_e64 v12, 0, -1, s[0:1]
	v_cmp_le_u32_e64 s[0:1], s12, v11
	v_cmp_le_u32_e32 vcc, s13, v1
	v_cndmask_b32_e64 v13, 0, -1, s[0:1]
	v_cmp_eq_u32_e64 s[0:1], s13, v9
	v_cndmask_b32_e64 v2, 0, -1, vcc
	v_cmp_le_u32_e32 vcc, s12, v10
	v_cndmask_b32_e64 v9, v12, v13, s[0:1]
	v_cndmask_b32_e64 v13, 0, -1, vcc
	v_cmp_eq_u32_e32 vcc, s13, v1
	v_subrev_co_u32_e64 v12, s[0:1], s12, v11
	v_cndmask_b32_e32 v1, v2, v13, vcc
	v_cmp_ne_u32_e32 vcc, 0, v9
	v_cndmask_b32_e32 v2, v11, v12, vcc
	v_cmp_ne_u32_e32 vcc, 0, v1
	v_cndmask_b32_e32 v10, v10, v2, vcc
.LBB16_22:                              ;   in Loop: Header=BB16_9 Depth=1
	s_andn2_saveexec_b64 s[0:1], s[16:17]
	s_cbranch_execz .LBB16_24
; %bb.23:                               ;   in Loop: Header=BB16_9 Depth=1
	v_cvt_f32_u32_e32 v1, s12
	s_sub_i32 s16, 0, s12
	v_rcp_iflag_f32_e32 v1, v1
	v_mul_f32_e32 v1, 0x4f7ffffe, v1
	v_cvt_u32_f32_e32 v1, v1
	v_mul_lo_u32 v2, s16, v1
	v_mul_hi_u32 v2, v1, v2
	v_add_u32_e32 v1, v1, v2
	v_mul_hi_u32 v1, v3, v1
	v_mul_lo_u32 v1, v1, s12
	v_sub_u32_e32 v1, v3, v1
	v_subrev_u32_e32 v2, s12, v1
	v_cmp_le_u32_e32 vcc, s12, v1
	v_cndmask_b32_e32 v1, v1, v2, vcc
	v_subrev_u32_e32 v2, s12, v1
	v_cmp_le_u32_e32 vcc, s12, v1
	v_cndmask_b32_e32 v10, v1, v2, vcc
.LBB16_24:                              ;   in Loop: Header=BB16_9 Depth=1
	s_or_b64 exec, exec, s[0:1]
	v_add_u32_e32 v1, s23, v41
	v_ashrrev_i32_e32 v3, 31, v1
	v_mov_b32_e32 v9, s11
	v_add_co_u32_e32 v2, vcc, s10, v1
	v_addc_co_u32_e32 v3, vcc, v9, v3, vcc
	v_add_u32_e32 v1, s14, v10
	global_store_short v[2:3], v1, off
.LBB16_25:                              ;   in Loop: Header=BB16_9 Depth=1
	s_or_b64 exec, exec, s[6:7]
	v_mov_b32_e32 v1, s15
	v_add_co_u32_e32 v2, vcc, s18, v18
	v_addc_co_u32_e32 v3, vcc, v1, v19, vcc
	v_cmp_gt_i64_e32 vcc, s[8:9], v[2:3]
	s_and_saveexec_b64 s[6:7], vcc
	s_cbranch_execz .LBB16_8
; %bb.26:                               ;   in Loop: Header=BB16_9 Depth=1
	v_or_b32_e32 v17, s13, v4
	v_cmp_ne_u64_e32 vcc, 0, v[16:17]
                                        ; implicit-def: $vgpr10_vgpr11
	s_and_saveexec_b64 s[0:1], vcc
	s_xor_b64 s[16:17], exec, s[0:1]
	s_cbranch_execz .LBB16_28
; %bb.27:                               ;   in Loop: Header=BB16_9 Depth=1
	v_cvt_f32_u32_e32 v1, s12
	v_cvt_f32_u32_e32 v2, s13
	s_sub_u32 s0, 0, s12
	s_subb_u32 s1, 0, s13
	v_mac_f32_e32 v1, 0x4f800000, v2
	v_rcp_f32_e32 v1, v1
	v_mul_f32_e32 v1, 0x5f7ffffc, v1
	v_mul_f32_e32 v2, 0x2f800000, v1
	v_trunc_f32_e32 v2, v2
	v_mac_f32_e32 v1, 0xcf800000, v2
	v_cvt_u32_f32_e32 v2, v2
	v_cvt_u32_f32_e32 v1, v1
	v_mul_lo_u32 v3, s0, v2
	v_mul_hi_u32 v10, s0, v1
	v_mul_lo_u32 v9, s1, v1
	v_add_u32_e32 v3, v10, v3
	v_mul_lo_u32 v11, s0, v1
	v_add_u32_e32 v3, v3, v9
	v_mul_hi_u32 v10, v1, v11
	v_mul_lo_u32 v12, v1, v3
	v_mul_hi_u32 v9, v1, v3
	v_add_co_u32_e32 v10, vcc, v10, v12
	v_addc_co_u32_e32 v9, vcc, 0, v9, vcc
	v_mul_hi_u32 v13, v2, v11
	v_mul_lo_u32 v11, v2, v11
	v_add_co_u32_e32 v10, vcc, v10, v11
	v_mul_hi_u32 v12, v2, v3
	v_addc_co_u32_e32 v9, vcc, v9, v13, vcc
	v_addc_co_u32_e32 v10, vcc, 0, v12, vcc
	v_mul_lo_u32 v3, v2, v3
	v_add_co_u32_e32 v3, vcc, v9, v3
	v_addc_co_u32_e32 v9, vcc, 0, v10, vcc
	v_add_co_u32_e32 v1, vcc, v1, v3
	v_addc_co_u32_e32 v2, vcc, v2, v9, vcc
	v_mul_lo_u32 v3, s0, v2
	v_mul_hi_u32 v9, s0, v1
	v_add_u32_e32 v3, v9, v3
	v_mul_lo_u32 v9, s1, v1
	v_add_u32_e32 v3, v3, v9
	v_mul_lo_u32 v10, s0, v1
	v_mul_hi_u32 v11, v2, v10
	v_mul_lo_u32 v12, v2, v10
	v_mul_lo_u32 v17, v1, v3
	v_mul_hi_u32 v10, v1, v10
	v_mul_hi_u32 v13, v1, v3
	v_add_co_u32_e32 v10, vcc, v10, v17
	v_addc_co_u32_e32 v13, vcc, 0, v13, vcc
	v_add_co_u32_e32 v10, vcc, v10, v12
	v_mul_hi_u32 v9, v2, v3
	v_addc_co_u32_e32 v10, vcc, v13, v11, vcc
	v_addc_co_u32_e32 v9, vcc, 0, v9, vcc
	v_mul_lo_u32 v3, v2, v3
	v_add_co_u32_e32 v3, vcc, v10, v3
	v_addc_co_u32_e32 v9, vcc, 0, v9, vcc
	v_add_co_u32_e32 v1, vcc, v1, v3
	v_addc_co_u32_e32 v9, vcc, v2, v9, vcc
	v_mad_u64_u32 v[2:3], s[0:1], v5, v9, 0
	v_mul_hi_u32 v10, v5, v1
	v_add_co_u32_e32 v12, vcc, v10, v2
	v_addc_co_u32_e32 v13, vcc, 0, v3, vcc
	v_mad_u64_u32 v[10:11], s[0:1], v4, v1, 0
	v_add_co_u32_e32 v1, vcc, v12, v10
	v_mad_u64_u32 v[2:3], s[0:1], v4, v9, 0
	v_addc_co_u32_e32 v1, vcc, v13, v11, vcc
	v_addc_co_u32_e32 v3, vcc, 0, v3, vcc
	v_add_co_u32_e32 v1, vcc, v1, v2
	v_addc_co_u32_e32 v2, vcc, 0, v3, vcc
	v_mul_lo_u32 v9, s13, v1
	v_mul_lo_u32 v10, s12, v2
	v_mad_u64_u32 v[2:3], s[0:1], s12, v1, 0
	v_add3_u32 v1, v3, v10, v9
	v_sub_u32_e32 v3, v4, v1
	v_mov_b32_e32 v9, s13
	v_sub_co_u32_e32 v2, vcc, v5, v2
	v_subb_co_u32_e64 v3, s[0:1], v3, v9, vcc
	v_subrev_co_u32_e64 v5, s[0:1], s12, v2
	v_subbrev_co_u32_e64 v3, s[0:1], 0, v3, s[0:1]
	v_cmp_le_u32_e64 s[0:1], s13, v3
	v_subb_co_u32_e32 v1, vcc, v4, v1, vcc
	v_cndmask_b32_e64 v9, 0, -1, s[0:1]
	v_cmp_le_u32_e64 s[0:1], s12, v5
	v_cmp_le_u32_e32 vcc, s13, v1
	v_cndmask_b32_e64 v10, 0, -1, s[0:1]
	v_cmp_eq_u32_e64 s[0:1], s13, v3
	v_cndmask_b32_e64 v4, 0, -1, vcc
	v_cmp_le_u32_e32 vcc, s12, v2
	v_cndmask_b32_e64 v3, v9, v10, s[0:1]
	v_cndmask_b32_e64 v10, 0, -1, vcc
	v_cmp_eq_u32_e32 vcc, s13, v1
	v_subrev_co_u32_e64 v9, s[0:1], s12, v5
	v_cndmask_b32_e32 v1, v4, v10, vcc
	v_cmp_ne_u32_e32 vcc, 0, v3
	v_cndmask_b32_e32 v3, v5, v9, vcc
	v_cmp_ne_u32_e32 vcc, 0, v1
	v_cndmask_b32_e32 v10, v2, v3, vcc
                                        ; implicit-def: $vgpr2_vgpr3_vgpr4_vgpr5
.LBB16_28:                              ;   in Loop: Header=BB16_9 Depth=1
	s_andn2_saveexec_b64 s[0:1], s[16:17]
	s_cbranch_execz .LBB16_7
; %bb.29:                               ;   in Loop: Header=BB16_9 Depth=1
	v_cvt_f32_u32_e32 v1, s12
	s_sub_i32 s16, 0, s12
	v_rcp_iflag_f32_e32 v1, v1
	v_mul_f32_e32 v1, 0x4f7ffffe, v1
	v_cvt_u32_f32_e32 v1, v1
	v_mul_lo_u32 v2, s16, v1
	v_mul_hi_u32 v2, v1, v2
	v_add_u32_e32 v1, v1, v2
	v_mul_hi_u32 v1, v5, v1
	v_mul_lo_u32 v1, v1, s12
	v_sub_u32_e32 v1, v5, v1
	v_subrev_u32_e32 v2, s12, v1
	v_cmp_le_u32_e32 vcc, s12, v1
	v_cndmask_b32_e32 v1, v1, v2, vcc
	v_subrev_u32_e32 v2, s12, v1
	v_cmp_le_u32_e32 vcc, s12, v1
	v_cndmask_b32_e32 v10, v1, v2, vcc
	s_branch .LBB16_7
.LBB16_30:
	s_endpgm
.LBB16_31:
                                        ; implicit-def: $sgpr2_sgpr3
	s_andn2_b64 vcc, exec, s[0:1]
	s_cbranch_vccz .LBB16_4
	s_branch .LBB16_5
	.section	.rodata,"a",@progbits
	.p2align	6, 0x0
	.amdhsa_kernel _ZN2at6native12_GLOBAL__N_143distribution_elementwise_grid_stride_kernelImLi2EZZZNS0_9templates4cuda21random_from_to_kernelIPNS_17CUDAGeneratorImplEEEvRNS_18TensorIteratorBaseEmlT_ENKUlvE_clEvENKUlvE3_clEvEUlP25hiprandStatePhilox4_32_10E_ZNS1_27distribution_nullary_kernelIsm15HIP_vector_typeIyLj2EES7_SF_ZZZNS5_IS7_EEvS9_mlSA_ENKSB_clEvENKSC_clEvEUlmE_EEvS9_T2_RKT3_T4_EUlimE_EEvlNS_15PhiloxCudaStateET1_SK_
		.amdhsa_group_segment_fixed_size 0
		.amdhsa_private_segment_fixed_size 0
		.amdhsa_kernarg_size 336
		.amdhsa_user_sgpr_count 6
		.amdhsa_user_sgpr_private_segment_buffer 1
		.amdhsa_user_sgpr_dispatch_ptr 0
		.amdhsa_user_sgpr_queue_ptr 0
		.amdhsa_user_sgpr_kernarg_segment_ptr 1
		.amdhsa_user_sgpr_dispatch_id 0
		.amdhsa_user_sgpr_flat_scratch_init 0
		.amdhsa_user_sgpr_kernarg_preload_length 0
		.amdhsa_user_sgpr_kernarg_preload_offset 0
		.amdhsa_user_sgpr_private_segment_size 0
		.amdhsa_uses_dynamic_stack 0
		.amdhsa_system_sgpr_private_segment_wavefront_offset 0
		.amdhsa_system_sgpr_workgroup_id_x 1
		.amdhsa_system_sgpr_workgroup_id_y 0
		.amdhsa_system_sgpr_workgroup_id_z 0
		.amdhsa_system_sgpr_workgroup_info 0
		.amdhsa_system_vgpr_workitem_id 0
		.amdhsa_next_free_vgpr 48
		.amdhsa_next_free_sgpr 24
		.amdhsa_accum_offset 48
		.amdhsa_reserve_vcc 1
		.amdhsa_reserve_flat_scratch 0
		.amdhsa_float_round_mode_32 0
		.amdhsa_float_round_mode_16_64 0
		.amdhsa_float_denorm_mode_32 3
		.amdhsa_float_denorm_mode_16_64 3
		.amdhsa_dx10_clamp 1
		.amdhsa_ieee_mode 1
		.amdhsa_fp16_overflow 0
		.amdhsa_tg_split 0
		.amdhsa_exception_fp_ieee_invalid_op 0
		.amdhsa_exception_fp_denorm_src 0
		.amdhsa_exception_fp_ieee_div_zero 0
		.amdhsa_exception_fp_ieee_overflow 0
		.amdhsa_exception_fp_ieee_underflow 0
		.amdhsa_exception_fp_ieee_inexact 0
		.amdhsa_exception_int_div_zero 0
	.end_amdhsa_kernel
	.section	.text._ZN2at6native12_GLOBAL__N_143distribution_elementwise_grid_stride_kernelImLi2EZZZNS0_9templates4cuda21random_from_to_kernelIPNS_17CUDAGeneratorImplEEEvRNS_18TensorIteratorBaseEmlT_ENKUlvE_clEvENKUlvE3_clEvEUlP25hiprandStatePhilox4_32_10E_ZNS1_27distribution_nullary_kernelIsm15HIP_vector_typeIyLj2EES7_SF_ZZZNS5_IS7_EEvS9_mlSA_ENKSB_clEvENKSC_clEvEUlmE_EEvS9_T2_RKT3_T4_EUlimE_EEvlNS_15PhiloxCudaStateET1_SK_,"axG",@progbits,_ZN2at6native12_GLOBAL__N_143distribution_elementwise_grid_stride_kernelImLi2EZZZNS0_9templates4cuda21random_from_to_kernelIPNS_17CUDAGeneratorImplEEEvRNS_18TensorIteratorBaseEmlT_ENKUlvE_clEvENKUlvE3_clEvEUlP25hiprandStatePhilox4_32_10E_ZNS1_27distribution_nullary_kernelIsm15HIP_vector_typeIyLj2EES7_SF_ZZZNS5_IS7_EEvS9_mlSA_ENKSB_clEvENKSC_clEvEUlmE_EEvS9_T2_RKT3_T4_EUlimE_EEvlNS_15PhiloxCudaStateET1_SK_,comdat
.Lfunc_end16:
	.size	_ZN2at6native12_GLOBAL__N_143distribution_elementwise_grid_stride_kernelImLi2EZZZNS0_9templates4cuda21random_from_to_kernelIPNS_17CUDAGeneratorImplEEEvRNS_18TensorIteratorBaseEmlT_ENKUlvE_clEvENKUlvE3_clEvEUlP25hiprandStatePhilox4_32_10E_ZNS1_27distribution_nullary_kernelIsm15HIP_vector_typeIyLj2EES7_SF_ZZZNS5_IS7_EEvS9_mlSA_ENKSB_clEvENKSC_clEvEUlmE_EEvS9_T2_RKT3_T4_EUlimE_EEvlNS_15PhiloxCudaStateET1_SK_, .Lfunc_end16-_ZN2at6native12_GLOBAL__N_143distribution_elementwise_grid_stride_kernelImLi2EZZZNS0_9templates4cuda21random_from_to_kernelIPNS_17CUDAGeneratorImplEEEvRNS_18TensorIteratorBaseEmlT_ENKUlvE_clEvENKUlvE3_clEvEUlP25hiprandStatePhilox4_32_10E_ZNS1_27distribution_nullary_kernelIsm15HIP_vector_typeIyLj2EES7_SF_ZZZNS5_IS7_EEvS9_mlSA_ENKSB_clEvENKSC_clEvEUlmE_EEvS9_T2_RKT3_T4_EUlimE_EEvlNS_15PhiloxCudaStateET1_SK_
                                        ; -- End function
	.section	.AMDGPU.csdata,"",@progbits
; Kernel info:
; codeLenInByte = 3552
; NumSgprs: 28
; NumVgprs: 48
; NumAgprs: 0
; TotalNumVgprs: 48
; ScratchSize: 0
; MemoryBound: 0
; FloatMode: 240
; IeeeMode: 1
; LDSByteSize: 0 bytes/workgroup (compile time only)
; SGPRBlocks: 3
; VGPRBlocks: 5
; NumSGPRsForWavesPerEU: 28
; NumVGPRsForWavesPerEU: 48
; AccumOffset: 48
; Occupancy: 8
; WaveLimiterHint : 0
; COMPUTE_PGM_RSRC2:SCRATCH_EN: 0
; COMPUTE_PGM_RSRC2:USER_SGPR: 6
; COMPUTE_PGM_RSRC2:TRAP_HANDLER: 0
; COMPUTE_PGM_RSRC2:TGID_X_EN: 1
; COMPUTE_PGM_RSRC2:TGID_Y_EN: 0
; COMPUTE_PGM_RSRC2:TGID_Z_EN: 0
; COMPUTE_PGM_RSRC2:TIDIG_COMP_CNT: 0
; COMPUTE_PGM_RSRC3_GFX90A:ACCUM_OFFSET: 11
; COMPUTE_PGM_RSRC3_GFX90A:TG_SPLIT: 0
	.section	.text._ZN2at6native12_GLOBAL__N_143distribution_elementwise_grid_stride_kernelImLi2EZZZNS0_9templates4cuda21random_from_to_kernelIPNS_17CUDAGeneratorImplEEEvRNS_18TensorIteratorBaseEmlT_ENKUlvE_clEvENKUlvE3_clEvEUlP25hiprandStatePhilox4_32_10E_ZNS1_27distribution_nullary_kernelIsm15HIP_vector_typeIyLj2EES7_SF_ZZZNS5_IS7_EEvS9_mlSA_ENKSB_clEvENKSC_clEvEUlmE_EEvS9_T2_RKT3_T4_EUlimE0_EEvlNS_15PhiloxCudaStateET1_SK_,"axG",@progbits,_ZN2at6native12_GLOBAL__N_143distribution_elementwise_grid_stride_kernelImLi2EZZZNS0_9templates4cuda21random_from_to_kernelIPNS_17CUDAGeneratorImplEEEvRNS_18TensorIteratorBaseEmlT_ENKUlvE_clEvENKUlvE3_clEvEUlP25hiprandStatePhilox4_32_10E_ZNS1_27distribution_nullary_kernelIsm15HIP_vector_typeIyLj2EES7_SF_ZZZNS5_IS7_EEvS9_mlSA_ENKSB_clEvENKSC_clEvEUlmE_EEvS9_T2_RKT3_T4_EUlimE0_EEvlNS_15PhiloxCudaStateET1_SK_,comdat
	.globl	_ZN2at6native12_GLOBAL__N_143distribution_elementwise_grid_stride_kernelImLi2EZZZNS0_9templates4cuda21random_from_to_kernelIPNS_17CUDAGeneratorImplEEEvRNS_18TensorIteratorBaseEmlT_ENKUlvE_clEvENKUlvE3_clEvEUlP25hiprandStatePhilox4_32_10E_ZNS1_27distribution_nullary_kernelIsm15HIP_vector_typeIyLj2EES7_SF_ZZZNS5_IS7_EEvS9_mlSA_ENKSB_clEvENKSC_clEvEUlmE_EEvS9_T2_RKT3_T4_EUlimE0_EEvlNS_15PhiloxCudaStateET1_SK_ ; -- Begin function _ZN2at6native12_GLOBAL__N_143distribution_elementwise_grid_stride_kernelImLi2EZZZNS0_9templates4cuda21random_from_to_kernelIPNS_17CUDAGeneratorImplEEEvRNS_18TensorIteratorBaseEmlT_ENKUlvE_clEvENKUlvE3_clEvEUlP25hiprandStatePhilox4_32_10E_ZNS1_27distribution_nullary_kernelIsm15HIP_vector_typeIyLj2EES7_SF_ZZZNS5_IS7_EEvS9_mlSA_ENKSB_clEvENKSC_clEvEUlmE_EEvS9_T2_RKT3_T4_EUlimE0_EEvlNS_15PhiloxCudaStateET1_SK_
	.p2align	8
	.type	_ZN2at6native12_GLOBAL__N_143distribution_elementwise_grid_stride_kernelImLi2EZZZNS0_9templates4cuda21random_from_to_kernelIPNS_17CUDAGeneratorImplEEEvRNS_18TensorIteratorBaseEmlT_ENKUlvE_clEvENKUlvE3_clEvEUlP25hiprandStatePhilox4_32_10E_ZNS1_27distribution_nullary_kernelIsm15HIP_vector_typeIyLj2EES7_SF_ZZZNS5_IS7_EEvS9_mlSA_ENKSB_clEvENKSC_clEvEUlmE_EEvS9_T2_RKT3_T4_EUlimE0_EEvlNS_15PhiloxCudaStateET1_SK_,@function
_ZN2at6native12_GLOBAL__N_143distribution_elementwise_grid_stride_kernelImLi2EZZZNS0_9templates4cuda21random_from_to_kernelIPNS_17CUDAGeneratorImplEEEvRNS_18TensorIteratorBaseEmlT_ENKUlvE_clEvENKUlvE3_clEvEUlP25hiprandStatePhilox4_32_10E_ZNS1_27distribution_nullary_kernelIsm15HIP_vector_typeIyLj2EES7_SF_ZZZNS5_IS7_EEvS9_mlSA_ENKSB_clEvENKSC_clEvEUlmE_EEvS9_T2_RKT3_T4_EUlimE0_EEvlNS_15PhiloxCudaStateET1_SK_: ; @_ZN2at6native12_GLOBAL__N_143distribution_elementwise_grid_stride_kernelImLi2EZZZNS0_9templates4cuda21random_from_to_kernelIPNS_17CUDAGeneratorImplEEEvRNS_18TensorIteratorBaseEmlT_ENKUlvE_clEvENKUlvE3_clEvEUlP25hiprandStatePhilox4_32_10E_ZNS1_27distribution_nullary_kernelIsm15HIP_vector_typeIyLj2EES7_SF_ZZZNS5_IS7_EEvS9_mlSA_ENKSB_clEvENKSC_clEvEUlmE_EEvS9_T2_RKT3_T4_EUlimE0_EEvlNS_15PhiloxCudaStateET1_SK_
; %bb.0:
	s_load_dword s2, s[4:5], 0x20
	s_load_dwordx2 s[0:1], s[4:5], 0x10
	s_load_dwordx4 s[24:27], s[4:5], 0x0
	s_waitcnt lgkmcnt(0)
	s_bitcmp0_b32 s2, 0
	s_mov_b32 s2, 0
	v_pk_mov_b32 v[2:3], s[0:1], s[0:1] op_sel:[0,1]
	v_pk_mov_b32 v[12:13], s[26:27], s[26:27] op_sel:[0,1]
	s_cbranch_scc1 .LBB17_2
; %bb.1:
	v_pk_mov_b32 v[2:3], s[0:1], s[0:1] op_sel:[0,1]
	flat_load_dwordx2 v[2:3], v[2:3]
	v_pk_mov_b32 v[4:5], s[26:27], s[26:27] op_sel:[0,1]
	flat_load_dwordx2 v[12:13], v[4:5]
	s_load_dwordx2 s[0:1], s[4:5], 0x18
	s_waitcnt lgkmcnt(0)
	v_mov_b32_e32 v1, s1
	s_waitcnt vmcnt(0)
	v_add_co_u32_e32 v2, vcc, s0, v2
	v_addc_co_u32_e32 v3, vcc, v3, v1, vcc
.LBB17_2:
	s_load_dword s0, s[4:5], 0x15c
	s_load_dword s7, s[4:5], 0x150
	s_waitcnt lgkmcnt(0)
	s_and_b32 s8, s0, 0xffff
	s_add_u32 s9, s24, -1
	s_mul_i32 s33, s7, s8
	s_addc_u32 s3, s25, -1
	s_lshl_b32 s62, s33, 1
	s_cmp_lg_u64 s[2:3], 0
	s_mov_b64 s[0:1], -1
	s_cbranch_scc0 .LBB17_59
; %bb.3:
	v_cvt_f32_u32_e32 v1, s62
	v_cvt_f32_ubyte0_e32 v4, 0
	s_sub_u32 s2, 0, s62
	s_subb_u32 s10, 0, 0
	v_madmk_f32 v1, v4, 0x4f800000, v1
	v_rcp_f32_e32 v1, v1
	v_mul_f32_e32 v1, 0x5f7ffffc, v1
	v_mul_f32_e32 v4, 0x2f800000, v1
	v_trunc_f32_e32 v4, v4
	v_madmk_f32 v1, v4, 0xcf800000, v1
	v_cvt_u32_f32_e32 v4, v4
	v_cvt_u32_f32_e32 v1, v1
	v_readfirstlane_b32 s11, v4
	v_readfirstlane_b32 s12, v1
	s_mul_i32 s13, s2, s11
	s_mul_hi_u32 s15, s2, s12
	s_mul_i32 s14, s10, s12
	s_add_i32 s13, s15, s13
	s_add_i32 s13, s13, s14
	s_mul_i32 s16, s2, s12
	s_mul_hi_u32 s14, s12, s13
	s_mul_i32 s15, s12, s13
	s_mul_hi_u32 s12, s12, s16
	s_add_u32 s12, s12, s15
	s_addc_u32 s14, 0, s14
	s_mul_hi_u32 s17, s11, s16
	s_mul_i32 s16, s11, s16
	s_add_u32 s12, s12, s16
	s_mul_hi_u32 s15, s11, s13
	s_addc_u32 s12, s14, s17
	s_addc_u32 s14, s15, 0
	s_mul_i32 s13, s11, s13
	s_add_u32 s12, s12, s13
	s_addc_u32 s13, 0, s14
	v_add_co_u32_e32 v1, vcc, s12, v1
	s_cmp_lg_u64 vcc, 0
	s_addc_u32 s11, s11, s13
	v_readfirstlane_b32 s13, v1
	s_mul_i32 s12, s2, s11
	s_mul_hi_u32 s14, s2, s13
	s_add_i32 s12, s14, s12
	s_mul_i32 s10, s10, s13
	s_add_i32 s12, s12, s10
	s_mul_i32 s2, s2, s13
	s_mul_hi_u32 s14, s11, s2
	s_mul_i32 s15, s11, s2
	s_mul_i32 s17, s13, s12
	s_mul_hi_u32 s2, s13, s2
	s_mul_hi_u32 s16, s13, s12
	s_add_u32 s2, s2, s17
	s_addc_u32 s13, 0, s16
	s_add_u32 s2, s2, s15
	s_mul_hi_u32 s10, s11, s12
	s_addc_u32 s2, s13, s14
	s_addc_u32 s10, s10, 0
	s_mul_i32 s12, s11, s12
	s_add_u32 s2, s2, s12
	s_addc_u32 s10, 0, s10
	v_add_co_u32_e32 v1, vcc, s2, v1
	s_cmp_lg_u64 vcc, 0
	s_addc_u32 s12, s11, s10
	s_ashr_i32 s10, s3, 31
	s_add_u32 s2, s9, s10
	s_mov_b32 s11, s10
	s_addc_u32 s3, s3, s10
	s_xor_b64 s[2:3], s[2:3], s[10:11]
	v_readfirstlane_b32 s15, v1
	s_mul_i32 s14, s2, s12
	s_mul_hi_u32 s16, s2, s15
	s_mul_hi_u32 s13, s2, s12
	s_add_u32 s14, s16, s14
	s_addc_u32 s13, 0, s13
	s_mul_hi_u32 s17, s3, s15
	s_mul_i32 s15, s3, s15
	s_add_u32 s14, s14, s15
	s_mul_hi_u32 s16, s3, s12
	s_addc_u32 s13, s13, s17
	s_addc_u32 s14, s16, 0
	s_mul_i32 s12, s3, s12
	s_add_u32 s12, s13, s12
	s_addc_u32 s13, 0, s14
	s_add_u32 s14, s12, 1
	s_addc_u32 s15, s13, 0
	s_add_u32 s16, s12, 2
	s_mul_i32 s18, s62, s13
	s_mul_hi_u32 s19, s62, s12
	s_addc_u32 s17, s13, 0
	s_add_i32 s19, s19, s18
	s_mul_i32 s18, s62, s12
	v_mov_b32_e32 v1, s18
	v_sub_co_u32_e32 v1, vcc, s2, v1
	s_cmp_lg_u64 vcc, 0
	s_subb_u32 s2, s3, s19
	v_subrev_co_u32_e32 v4, vcc, s62, v1
	s_cmp_lg_u64 vcc, 0
	s_subb_u32 s3, s2, 0
	v_readfirstlane_b32 s18, v4
	s_cmp_ge_u32 s18, s62
	s_cselect_b32 s18, -1, 0
	s_cmp_eq_u32 s3, 0
	s_cselect_b32 s3, s18, -1
	s_cmp_lg_u32 s3, 0
	s_cselect_b32 s3, s17, s15
	v_readfirstlane_b32 s15, v1
	s_cselect_b32 s14, s16, s14
	s_cmp_ge_u32 s15, s62
	s_cselect_b32 s15, -1, 0
	s_cmp_eq_u32 s2, 0
	s_cselect_b32 s2, s15, -1
	s_cmp_lg_u32 s2, 0
	s_cselect_b32 s3, s3, s13
	s_cselect_b32 s2, s14, s12
	s_xor_b64 s[2:3], s[2:3], s[10:11]
	s_sub_u32 s2, s2, s10
	s_subb_u32 s3, s3, s10
	s_cbranch_execnz .LBB17_5
.LBB17_4:
	v_cvt_f32_u32_e32 v1, s62
	s_sub_i32 s0, 0, s62
	s_mov_b32 s3, 0
	v_rcp_iflag_f32_e32 v1, v1
	v_mul_f32_e32 v1, 0x4f7ffffe, v1
	v_cvt_u32_f32_e32 v1, v1
	v_readfirstlane_b32 s1, v1
	s_mul_i32 s0, s0, s1
	s_mul_hi_u32 s0, s1, s0
	s_add_i32 s1, s1, s0
	s_mul_hi_u32 s0, s9, s1
	s_mul_i32 s2, s0, s62
	s_sub_i32 s2, s9, s2
	s_add_i32 s1, s0, 1
	s_sub_i32 s9, s2, s62
	s_cmp_ge_u32 s2, s62
	s_cselect_b32 s0, s1, s0
	s_cselect_b32 s2, s9, s2
	s_add_i32 s1, s0, 1
	s_cmp_ge_u32 s2, s62
	s_cselect_b32 s2, s1, s0
.LBB17_5:
	v_mov_b32_e32 v14, 0
	v_mov_b32_e32 v1, v14
	;; [unrolled: 1-line block ×3, first 2 shown]
	v_mad_u64_u32 v[16:17], s[0:1], s8, v4, v[0:1]
	s_add_u32 s0, s2, 1
	s_addc_u32 s1, s3, 0
	s_mul_hi_u32 s2, s7, s8
	s_mul_i32 s1, s33, s1
	s_mul_hi_u32 s3, s33, s0
	s_add_i32 s1, s3, s1
	s_mul_i32 s2, s2, s0
	s_add_i32 s1, s1, s2
	s_mul_i32 s0, s33, s0
	s_lshl_b64 s[26:27], s[0:1], 1
	v_cmp_gt_i64_e32 vcc, s[26:27], v[16:17]
	s_and_saveexec_b64 s[0:1], vcc
	s_cbranch_execz .LBB17_58
; %bb.6:
	s_mov_b32 s0, 0x5384540f
	v_mov_b32_e32 v0, v13
	v_add_co_u32_e32 v24, vcc, s0, v12
	s_mov_b32 s0, 0x646e171e
	v_add_co_u32_e32 v25, vcc, s0, v0
	s_mov_b32 s0, 0x1715609d
	v_add_co_u32_e32 v26, vcc, s0, v12
	s_mov_b32 s0, 0xed9eba14
	v_add_co_u32_e32 v27, vcc, s0, v0
	s_mov_b32 s0, 0xdaa66d2b
	v_add_co_u32_e32 v28, vcc, s0, v12
	s_mov_b32 s0, 0x76cf5d0a
	v_add_co_u32_e32 v29, vcc, s0, v0
	s_mov_b32 s0, 0x9e3779b9
	v_alignbit_b32 v31, v3, v2, 2
	s_mov_b32 s64, 0xd2511f53
	v_add_co_u32_e32 v30, vcc, s0, v12
	v_mad_u64_u32 v[4:5], s[0:1], v31, s64, 0
	v_xor_b32_e32 v1, v5, v13
	v_xor_b32_e32 v1, v1, v17
	s_mov_b32 s65, 0xcd9e8d57
	v_mad_u64_u32 v[6:7], s[0:1], v1, s65, 0
	v_xor_b32_e32 v1, v30, v7
	v_mad_u64_u32 v[8:9], s[0:1], v16, s65, 0
	v_and_b32_e32 v20, 3, v2
	v_xor_b32_e32 v1, v1, v8
	v_xor_b32_e32 v2, v12, v9
	v_lshrrev_b32_e32 v32, 2, v3
	v_mad_u64_u32 v[10:11], s[0:1], v1, s64, 0
	v_xor_b32_e32 v2, v2, v32
	v_xor_b32_e32 v1, v29, v11
	v_mad_u64_u32 v[2:3], s[0:1], v2, s64, 0
	v_xor_b32_e32 v1, v1, v2
	v_mad_u64_u32 v[8:9], s[0:1], v1, s65, 0
	s_mov_b32 s0, 0xbb67ae85
	v_add_co_u32_e32 v33, vcc, s0, v0
	v_xor_b32_e32 v2, v33, v3
	v_xor_b32_e32 v2, v2, v4
	v_xor_b32_e32 v1, v28, v9
	v_mad_u64_u32 v[2:3], s[0:1], v2, s65, 0
	v_xor_b32_e32 v1, v1, v2
	v_mad_u64_u32 v[4:5], s[0:1], v1, s64, 0
	s_mov_b32 s0, 0x3c6ef372
	v_add_co_u32_e32 v34, vcc, s0, v12
	v_xor_b32_e32 v2, v34, v3
	;; [unrolled: 8-line block ×6, first 2 shown]
	v_add_co_u32_e32 v23, vcc, 0xdb3d7428, v0
	v_xor_b32_e32 v2, v2, v6
	v_xor_b32_e32 v1, v23, v5
	v_mad_u64_u32 v[2:3], s[0:1], v2, s64, 0
	v_xor_b32_e32 v1, v1, v2
	v_mad_u64_u32 v[6:7], s[0:1], v1, s65, 0
	s_mov_b32 s0, 0x1fd5c5a3
	v_add_co_u32_e32 v39, vcc, s0, v0
	v_xor_b32_e32 v0, v39, v3
	v_xor_b32_e32 v0, v0, v10
	v_mad_u64_u32 v[0:1], s[0:1], v0, s65, 0
	s_mov_b32 s0, 0xf1bbcdc8
	s_load_dwordx8 s[8:15], s[4:5], 0x30
	v_add_co_u32_e32 v40, vcc, s0, v12
	v_xor_b32_e32 v1, v40, v1
	v_xor_b32_e32 v1, v1, v8
	s_add_u32 s34, s4, 48
	v_mad_u64_u32 v[8:9], s[0:1], v1, s64, 0
	s_addc_u32 s35, s5, 0
	s_waitcnt lgkmcnt(0)
	s_add_i32 s0, s8, -1
	s_cmp_gt_u32 s0, 1
	s_cselect_b64 s[40:41], -1, 0
	s_cmp_lg_u32 s8, 0
	s_cselect_b64 s[42:43], -1, 0
	s_add_u32 s44, s4, 0xf4
	s_addc_u32 s45, s5, 0
	s_min_u32 s1, s0, 15
	s_cmp_gt_u32 s8, 1
	s_cselect_b64 s[46:47], -1, 0
	s_load_dwordx2 s[48:49], s[4:5], 0x148
	s_load_dwordx2 s[50:51], s[4:5], 0xf4
	s_load_dwordx4 s[28:31], s[4:5], 0x138
	s_add_i32 s1, s1, 1
	s_mov_b32 s8, s13
	s_and_b32 s13, s1, 3
	s_cmp_lg_u32 s0, 2
	s_cselect_b64 s[52:53], -1, 0
	s_and_b32 s15, s1, 28
	v_add_u32_e32 v21, 0x8ff34781, v12
	v_add_u32_e32 v22, 0x96a522ad, v13
	v_xor_b32_e32 v0, v7, v0
	v_xor_b32_e32 v1, v9, v4
	s_cmp_lg_u32 s13, 0
	s_mov_b32 s63, 0
	v_xor_b32_e32 v0, v21, v0
	v_xor_b32_e32 v2, v22, v1
	v_mov_b32_e32 v1, v6
	v_mov_b32_e32 v3, v8
	s_mov_b64 s[54:55], 0
	s_cselect_b64 s[56:57], -1, 0
	v_mov_b32_e32 v41, v16
	v_mov_b32_e32 v42, v17
	s_branch .LBB17_9
.LBB17_7:                               ;   in Loop: Header=BB17_9 Depth=1
	s_or_b64 exec, exec, s[0:1]
	v_add_u32_e32 v0, s48, v10
	global_store_short v8, v0, s[28:29]
.LBB17_8:                               ;   in Loop: Header=BB17_9 Depth=1
	s_or_b64 exec, exec, s[36:37]
	v_add_co_u32_e32 v16, vcc, s62, v16
	v_addc_co_u32_e32 v17, vcc, 0, v17, vcc
	v_mov_b32_e32 v7, v18
	v_cmp_le_i64_e32 vcc, s[26:27], v[16:17]
	v_pk_mov_b32 v[0:1], v[4:5], v[4:5] op_sel:[0,1]
	s_or_b64 s[54:55], vcc, s[54:55]
	v_pk_mov_b32 v[2:3], v[6:7], v[6:7] op_sel:[0,1]
	s_waitcnt lgkmcnt(0)
	s_barrier
	s_andn2_b64 exec, exec, s[54:55]
	s_cbranch_execz .LBB17_58
.LBB17_9:                               ; =>This Loop Header: Depth=1
                                        ;     Child Loop BB17_24 Depth 2
                                        ;     Child Loop BB17_30 Depth 2
	;; [unrolled: 1-line block ×4, first 2 shown]
	v_add_co_u32_e32 v31, vcc, 1, v31
	v_cndmask_b32_e64 v4, 0, 1, vcc
	v_addc_co_u32_e32 v32, vcc, 0, v32, vcc
	v_cmp_eq_u32_e32 vcc, 0, v32
	v_cndmask_b32_e32 v4, 0, v4, vcc
	v_add_u32_e32 v41, v4, v41
	v_cmp_eq_u32_e32 vcc, 0, v41
	v_cndmask_b32_e32 v4, 0, v4, vcc
	v_add_u32_e32 v42, v4, v42
	v_mad_u64_u32 v[4:5], s[0:1], v31, s64, 0
	v_mad_u64_u32 v[6:7], s[0:1], v41, s65, 0
	v_xor_b32_e32 v5, v5, v13
	v_xor_b32_e32 v7, v7, v12
	v_xor_b32_e32 v5, v42, v5
	v_xor_b32_e32 v7, v32, v7
	v_mad_u64_u32 v[10:11], s[0:1], v5, s65, 0
	v_mad_u64_u32 v[8:9], s[0:1], v7, s64, 0
	v_xor_b32_e32 v5, v30, v11
	v_xor_b32_e32 v5, v5, v6
	v_xor_b32_e32 v6, v33, v9
	v_xor_b32_e32 v6, v6, v4
	;; [unrolled: 6-line block ×10, first 2 shown]
	v_mov_b32_e32 v5, v10
	v_mov_b32_e32 v6, v11
	v_cmp_lt_i32_e32 vcc, 1, v20
	s_and_saveexec_b64 s[0:1], vcc
	s_xor_b64 s[0:1], exec, s[0:1]
	s_cbranch_execz .LBB17_15
; %bb.10:                               ;   in Loop: Header=BB17_9 Depth=1
	v_cmp_lt_i32_e32 vcc, 2, v20
	s_and_saveexec_b64 s[2:3], vcc
	s_xor_b64 s[2:3], exec, s[2:3]
; %bb.11:                               ;   in Loop: Header=BB17_9 Depth=1
	v_mov_b32_e32 v8, v3
	v_mov_b32_e32 v9, v4
	v_pk_mov_b32 v[0:1], v[8:9], v[8:9] op_sel:[0,1]
	v_pk_mov_b32 v[2:3], v[10:11], v[10:11] op_sel:[0,1]
                                        ; implicit-def: $vgpr10_vgpr11
; %bb.12:                               ;   in Loop: Header=BB17_9 Depth=1
	s_andn2_saveexec_b64 s[2:3], s[2:3]
; %bb.13:                               ;   in Loop: Header=BB17_9 Depth=1
	v_mov_b32_e32 v0, v2
	v_mov_b32_e32 v1, v3
	;; [unrolled: 1-line block ×4, first 2 shown]
; %bb.14:                               ;   in Loop: Header=BB17_9 Depth=1
	s_or_b64 exec, exec, s[2:3]
.LBB17_15:                              ;   in Loop: Header=BB17_9 Depth=1
	s_andn2_saveexec_b64 s[0:1], s[0:1]
	s_cbranch_execz .LBB17_19
; %bb.16:                               ;   in Loop: Header=BB17_9 Depth=1
	v_cmp_eq_u32_e32 vcc, 1, v20
	s_and_saveexec_b64 s[2:3], vcc
; %bb.17:                               ;   in Loop: Header=BB17_9 Depth=1
	v_mov_b32_e32 v0, v1
	v_mov_b32_e32 v1, v2
	;; [unrolled: 1-line block ×4, first 2 shown]
; %bb.18:                               ;   in Loop: Header=BB17_9 Depth=1
	s_or_b64 exec, exec, s[2:3]
.LBB17_19:                              ;   in Loop: Header=BB17_9 Depth=1
	s_or_b64 exec, exec, s[0:1]
	v_cndmask_b32_e64 v7, 0, 1, s[40:41]
	v_cmp_gt_i64_e32 vcc, s[24:25], v[16:17]
	v_cmp_ne_u32_e64 s[0:1], 1, v7
	s_and_saveexec_b64 s[58:59], vcc
	s_cbranch_execz .LBB17_39
; %bb.20:                               ;   in Loop: Header=BB17_9 Depth=1
	s_and_b64 vcc, exec, s[0:1]
	s_cbranch_vccnz .LBB17_26
; %bb.21:                               ;   in Loop: Header=BB17_9 Depth=1
	s_andn2_b64 vcc, exec, s[42:43]
	s_cbranch_vccnz .LBB17_27
; %bb.22:                               ;   in Loop: Header=BB17_9 Depth=1
	s_mov_b32 s4, 0
	s_andn2_b64 vcc, exec, s[52:53]
	v_mov_b32_e32 v8, 0
	s_cbranch_vccnz .LBB17_28
; %bb.23:                               ;   in Loop: Header=BB17_9 Depth=1
	s_waitcnt lgkmcnt(0)
	s_mov_b32 s49, 0
	v_mov_b32_e32 v8, 0
	s_mov_b64 s[2:3], s[34:35]
	s_mov_b64 s[60:61], s[44:45]
	v_mov_b32_e32 v7, v16
.LBB17_24:                              ;   Parent Loop BB17_9 Depth=1
                                        ; =>  This Inner Loop Header: Depth=2
	s_load_dwordx8 s[16:23], s[2:3], 0x4
	s_load_dwordx4 s[4:7], s[2:3], 0x24
	s_load_dwordx4 s[36:39], s[60:61], 0x0
	s_add_u32 s2, s2, 48
	s_addc_u32 s3, s3, 0
	s_waitcnt lgkmcnt(0)
	v_mul_hi_u32 v9, s17, v7
	v_add_u32_e32 v9, v7, v9
	v_lshrrev_b32_e32 v9, s18, v9
	v_mul_lo_u32 v10, v9, s16
	v_mul_hi_u32 v11, s20, v9
	v_sub_u32_e32 v7, v7, v10
	v_add_u32_e32 v10, v9, v11
	v_lshrrev_b32_e32 v10, s21, v10
	v_mul_lo_u32 v11, v10, s19
	v_mul_hi_u32 v15, s23, v10
	v_sub_u32_e32 v9, v9, v11
	v_add_u32_e32 v11, v10, v15
	v_mul_lo_u32 v7, v7, s36
	v_mul_lo_u32 v9, v9, s37
	v_lshrrev_b32_e32 v11, s4, v11
	v_add3_u32 v8, v7, v8, v9
	v_mul_lo_u32 v7, v11, s22
	v_mul_hi_u32 v9, s6, v11
	v_sub_u32_e32 v7, v10, v7
	v_add_u32_e32 v9, v11, v9
	v_mul_lo_u32 v10, v7, s38
	v_lshrrev_b32_e32 v7, s7, v9
	s_add_i32 s49, s49, 4
	v_mul_lo_u32 v9, v7, s5
	s_add_u32 s60, s60, 16
	v_sub_u32_e32 v9, v11, v9
	s_addc_u32 s61, s61, 0
	v_mul_lo_u32 v9, v9, s39
	s_cmp_lg_u32 s15, s49
	v_add3_u32 v8, v10, v8, v9
	s_cbranch_scc1 .LBB17_24
; %bb.25:                               ;   in Loop: Header=BB17_9 Depth=1
	s_mov_b32 s4, s15
	s_andn2_b64 vcc, exec, s[56:57]
	s_cbranch_vccz .LBB17_29
	s_branch .LBB17_31
.LBB17_26:                              ;   in Loop: Header=BB17_9 Depth=1
                                        ; implicit-def: $vgpr8
	s_branch .LBB17_32
.LBB17_27:                              ;   in Loop: Header=BB17_9 Depth=1
	v_mov_b32_e32 v8, 0
	s_branch .LBB17_31
.LBB17_28:                              ;   in Loop: Header=BB17_9 Depth=1
	v_mov_b32_e32 v7, v16
	s_andn2_b64 vcc, exec, s[56:57]
	s_cbranch_vccnz .LBB17_31
.LBB17_29:                              ;   in Loop: Header=BB17_9 Depth=1
	s_lshl_b32 s2, s4, 2
	s_add_u32 s2, s44, s2
	s_addc_u32 s3, s45, 0
	s_mul_i32 s4, s4, 12
	s_add_u32 s4, s34, s4
	s_addc_u32 s5, s35, 0
	s_mov_b32 s6, s13
.LBB17_30:                              ;   Parent Loop BB17_9 Depth=1
                                        ; =>  This Inner Loop Header: Depth=2
	s_load_dwordx2 s[16:17], s[4:5], 0x4
	s_load_dword s7, s[4:5], 0xc
	s_load_dword s18, s[2:3], 0x0
	s_add_u32 s4, s4, 12
	s_addc_u32 s5, s5, 0
	s_waitcnt lgkmcnt(0)
	v_mul_hi_u32 v9, s17, v7
	v_add_u32_e32 v9, v7, v9
	v_lshrrev_b32_e32 v9, s7, v9
	s_add_u32 s2, s2, 4
	v_mul_lo_u32 v10, v9, s16
	s_addc_u32 s3, s3, 0
	s_add_i32 s6, s6, -1
	v_sub_u32_e32 v10, v7, v10
	s_cmp_lg_u32 s6, 0
	v_mov_b32_e32 v7, v9
	v_mad_u64_u32 v[8:9], s[16:17], v10, s18, v[8:9]
	s_cbranch_scc1 .LBB17_30
.LBB17_31:                              ;   in Loop: Header=BB17_9 Depth=1
	s_cbranch_execnz .LBB17_34
.LBB17_32:                              ;   in Loop: Header=BB17_9 Depth=1
	v_mul_hi_u32 v7, v16, s10
	v_add_u32_e32 v7, v7, v16
	v_lshrrev_b32_e32 v7, s11, v7
	v_mul_lo_u32 v8, v7, s9
	v_sub_u32_e32 v8, v16, v8
	s_andn2_b64 vcc, exec, s[46:47]
	s_waitcnt lgkmcnt(0)
	v_mul_lo_u32 v8, v8, s50
	s_cbranch_vccnz .LBB17_34
; %bb.33:                               ;   in Loop: Header=BB17_9 Depth=1
	v_mul_hi_u32 v9, s8, v7
	v_add_u32_e32 v9, v7, v9
	v_lshrrev_b32_e32 v9, s14, v9
	v_mul_lo_u32 v9, v9, s12
	v_sub_u32_e32 v7, v7, v9
	v_mad_u64_u32 v[8:9], s[2:3], v7, s51, v[8:9]
.LBB17_34:                              ;   in Loop: Header=BB17_9 Depth=1
	s_waitcnt lgkmcnt(0)
	v_or_b32_e32 v15, s31, v0
	v_cmp_ne_u64_e32 vcc, 0, v[14:15]
                                        ; implicit-def: $vgpr10_vgpr11
	s_and_saveexec_b64 s[2:3], vcc
	s_xor_b64 s[4:5], exec, s[2:3]
	s_cbranch_execz .LBB17_36
; %bb.35:                               ;   in Loop: Header=BB17_9 Depth=1
	v_cvt_f32_u32_e32 v7, s30
	v_cvt_f32_u32_e32 v9, s31
	s_sub_u32 s2, 0, s30
	s_subb_u32 s3, 0, s31
	v_mac_f32_e32 v7, 0x4f800000, v9
	v_rcp_f32_e32 v7, v7
	v_mul_f32_e32 v7, 0x5f7ffffc, v7
	v_mul_f32_e32 v9, 0x2f800000, v7
	v_trunc_f32_e32 v9, v9
	v_mac_f32_e32 v7, 0xcf800000, v9
	v_cvt_u32_f32_e32 v9, v9
	v_cvt_u32_f32_e32 v7, v7
	v_mul_lo_u32 v10, s2, v9
	v_mul_hi_u32 v15, s2, v7
	v_mul_lo_u32 v11, s3, v7
	v_add_u32_e32 v10, v15, v10
	v_mul_lo_u32 v19, s2, v7
	v_add_u32_e32 v10, v10, v11
	v_mul_hi_u32 v15, v7, v19
	v_mul_lo_u32 v43, v7, v10
	v_mul_hi_u32 v11, v7, v10
	v_add_co_u32_e32 v15, vcc, v15, v43
	v_addc_co_u32_e32 v11, vcc, 0, v11, vcc
	v_mul_hi_u32 v44, v9, v19
	v_mul_lo_u32 v19, v9, v19
	v_add_co_u32_e32 v15, vcc, v15, v19
	v_mul_hi_u32 v43, v9, v10
	v_addc_co_u32_e32 v11, vcc, v11, v44, vcc
	v_addc_co_u32_e32 v15, vcc, 0, v43, vcc
	v_mul_lo_u32 v10, v9, v10
	v_add_co_u32_e32 v10, vcc, v11, v10
	v_addc_co_u32_e32 v11, vcc, 0, v15, vcc
	v_add_co_u32_e32 v7, vcc, v7, v10
	v_addc_co_u32_e32 v9, vcc, v9, v11, vcc
	v_mul_lo_u32 v10, s2, v9
	v_mul_hi_u32 v11, s2, v7
	v_add_u32_e32 v10, v11, v10
	v_mul_lo_u32 v11, s3, v7
	v_add_u32_e32 v10, v10, v11
	v_mul_lo_u32 v15, s2, v7
	v_mul_hi_u32 v19, v9, v15
	v_mul_lo_u32 v43, v9, v15
	v_mul_lo_u32 v45, v7, v10
	v_mul_hi_u32 v15, v7, v15
	v_mul_hi_u32 v44, v7, v10
	v_add_co_u32_e32 v15, vcc, v15, v45
	v_addc_co_u32_e32 v44, vcc, 0, v44, vcc
	v_add_co_u32_e32 v15, vcc, v15, v43
	v_mul_hi_u32 v11, v9, v10
	v_addc_co_u32_e32 v15, vcc, v44, v19, vcc
	v_addc_co_u32_e32 v11, vcc, 0, v11, vcc
	v_mul_lo_u32 v10, v9, v10
	v_add_co_u32_e32 v10, vcc, v15, v10
	v_addc_co_u32_e32 v11, vcc, 0, v11, vcc
	v_add_co_u32_e32 v7, vcc, v7, v10
	v_addc_co_u32_e32 v9, vcc, v9, v11, vcc
	v_mad_u64_u32 v[10:11], s[2:3], v1, v9, 0
	v_mul_hi_u32 v15, v1, v7
	v_add_co_u32_e32 v15, vcc, v15, v10
	v_addc_co_u32_e32 v19, vcc, 0, v11, vcc
	v_mad_u64_u32 v[44:45], s[2:3], v0, v7, 0
	v_add_co_u32_e32 v7, vcc, v15, v44
	v_mad_u64_u32 v[10:11], s[2:3], v0, v9, 0
	v_addc_co_u32_e32 v7, vcc, v19, v45, vcc
	v_addc_co_u32_e32 v9, vcc, 0, v11, vcc
	v_add_co_u32_e32 v7, vcc, v7, v10
	v_addc_co_u32_e32 v9, vcc, 0, v9, vcc
	v_mul_lo_u32 v15, s31, v7
	v_mul_lo_u32 v9, s30, v9
	v_mad_u64_u32 v[10:11], s[2:3], s30, v7, 0
	v_add3_u32 v7, v11, v9, v15
	v_sub_u32_e32 v9, v0, v7
	v_mov_b32_e32 v11, s31
	v_sub_co_u32_e32 v10, vcc, v1, v10
	v_subb_co_u32_e64 v9, s[2:3], v9, v11, vcc
	v_subrev_co_u32_e64 v11, s[2:3], s30, v10
	v_subbrev_co_u32_e64 v9, s[2:3], 0, v9, s[2:3]
	v_cmp_le_u32_e64 s[2:3], s31, v9
	v_subb_co_u32_e32 v0, vcc, v0, v7, vcc
	v_cndmask_b32_e64 v15, 0, -1, s[2:3]
	v_cmp_le_u32_e64 s[2:3], s30, v11
	v_cmp_le_u32_e32 vcc, s31, v0
	v_cndmask_b32_e64 v19, 0, -1, s[2:3]
	v_cmp_eq_u32_e64 s[2:3], s31, v9
	v_cndmask_b32_e64 v7, 0, -1, vcc
	v_cmp_le_u32_e32 vcc, s30, v10
	v_cndmask_b32_e64 v9, v15, v19, s[2:3]
	v_cndmask_b32_e64 v19, 0, -1, vcc
	v_cmp_eq_u32_e32 vcc, s31, v0
	v_subrev_co_u32_e64 v15, s[2:3], s30, v11
	v_cndmask_b32_e32 v0, v7, v19, vcc
	v_cmp_ne_u32_e32 vcc, 0, v9
	v_cndmask_b32_e32 v7, v11, v15, vcc
	v_cmp_ne_u32_e32 vcc, 0, v0
	v_cndmask_b32_e32 v10, v10, v7, vcc
.LBB17_36:                              ;   in Loop: Header=BB17_9 Depth=1
	s_andn2_saveexec_b64 s[2:3], s[4:5]
	s_cbranch_execz .LBB17_38
; %bb.37:                               ;   in Loop: Header=BB17_9 Depth=1
	v_cvt_f32_u32_e32 v0, s30
	s_sub_i32 s4, 0, s30
	v_rcp_iflag_f32_e32 v0, v0
	v_mul_f32_e32 v0, 0x4f7ffffe, v0
	v_cvt_u32_f32_e32 v0, v0
	v_mul_lo_u32 v7, s4, v0
	v_mul_hi_u32 v7, v0, v7
	v_add_u32_e32 v0, v0, v7
	v_mul_hi_u32 v0, v1, v0
	v_mul_lo_u32 v0, v0, s30
	v_sub_u32_e32 v0, v1, v0
	v_subrev_u32_e32 v1, s30, v0
	v_cmp_le_u32_e32 vcc, s30, v0
	v_cndmask_b32_e32 v0, v0, v1, vcc
	v_subrev_u32_e32 v1, s30, v0
	v_cmp_le_u32_e32 vcc, s30, v0
	v_cndmask_b32_e32 v10, v0, v1, vcc
.LBB17_38:                              ;   in Loop: Header=BB17_9 Depth=1
	s_or_b64 exec, exec, s[2:3]
	v_add_u32_e32 v0, s48, v10
	global_store_short v8, v0, s[28:29]
.LBB17_39:                              ;   in Loop: Header=BB17_9 Depth=1
	s_or_b64 exec, exec, s[58:59]
	v_mov_b32_e32 v1, s63
	v_add_co_u32_e32 v0, vcc, s33, v16
	v_addc_co_u32_e32 v1, vcc, v17, v1, vcc
	v_cmp_gt_i64_e32 vcc, s[24:25], v[0:1]
	s_and_saveexec_b64 s[36:37], vcc
	s_cbranch_execz .LBB17_8
; %bb.40:                               ;   in Loop: Header=BB17_9 Depth=1
	s_and_b64 vcc, exec, s[0:1]
	s_cbranch_vccnz .LBB17_46
; %bb.41:                               ;   in Loop: Header=BB17_9 Depth=1
	s_andn2_b64 vcc, exec, s[42:43]
	s_cbranch_vccnz .LBB17_47
; %bb.42:                               ;   in Loop: Header=BB17_9 Depth=1
	s_mov_b32 s2, 0
	s_andn2_b64 vcc, exec, s[52:53]
	v_mov_b32_e32 v8, 0
	s_cbranch_vccnz .LBB17_48
; %bb.43:                               ;   in Loop: Header=BB17_9 Depth=1
	s_waitcnt lgkmcnt(0)
	s_mov_b32 s49, 0
	v_mov_b32_e32 v8, 0
	s_mov_b64 s[38:39], s[34:35]
	s_mov_b64 s[58:59], s[44:45]
	v_mov_b32_e32 v1, v0
.LBB17_44:                              ;   Parent Loop BB17_9 Depth=1
                                        ; =>  This Inner Loop Header: Depth=2
	s_load_dwordx8 s[0:7], s[38:39], 0x4
	s_load_dwordx4 s[16:19], s[38:39], 0x24
	s_load_dwordx4 s[20:23], s[58:59], 0x0
	s_add_u32 s38, s38, 48
	s_addc_u32 s39, s39, 0
	s_waitcnt lgkmcnt(0)
	v_mul_hi_u32 v7, s1, v1
	v_add_u32_e32 v7, v1, v7
	v_lshrrev_b32_e32 v7, s2, v7
	v_mul_lo_u32 v9, v7, s0
	v_mul_hi_u32 v10, s4, v7
	v_sub_u32_e32 v1, v1, v9
	v_add_u32_e32 v9, v7, v10
	v_lshrrev_b32_e32 v9, s5, v9
	v_mul_lo_u32 v10, v9, s3
	v_mul_hi_u32 v11, s7, v9
	v_sub_u32_e32 v7, v7, v10
	v_add_u32_e32 v10, v9, v11
	v_mul_lo_u32 v1, v1, s20
	v_mul_lo_u32 v7, v7, s21
	v_lshrrev_b32_e32 v10, s16, v10
	v_add3_u32 v7, v1, v8, v7
	v_mul_lo_u32 v1, v10, s6
	v_mul_hi_u32 v8, s18, v10
	v_sub_u32_e32 v1, v9, v1
	v_add_u32_e32 v8, v10, v8
	v_mul_lo_u32 v9, v1, s22
	v_lshrrev_b32_e32 v1, s19, v8
	s_add_i32 s49, s49, 4
	v_mul_lo_u32 v8, v1, s17
	s_add_u32 s58, s58, 16
	v_sub_u32_e32 v8, v10, v8
	s_addc_u32 s59, s59, 0
	v_mul_lo_u32 v8, v8, s23
	s_cmp_eq_u32 s15, s49
	v_add3_u32 v8, v9, v7, v8
	s_cbranch_scc0 .LBB17_44
; %bb.45:                               ;   in Loop: Header=BB17_9 Depth=1
	s_mov_b32 s2, s15
	s_andn2_b64 vcc, exec, s[56:57]
	s_cbranch_vccz .LBB17_49
	s_branch .LBB17_51
.LBB17_46:                              ;   in Loop: Header=BB17_9 Depth=1
                                        ; implicit-def: $vgpr8
	s_branch .LBB17_52
.LBB17_47:                              ;   in Loop: Header=BB17_9 Depth=1
	v_mov_b32_e32 v8, 0
	s_branch .LBB17_51
.LBB17_48:                              ;   in Loop: Header=BB17_9 Depth=1
	v_mov_b32_e32 v1, v0
	s_andn2_b64 vcc, exec, s[56:57]
	s_cbranch_vccnz .LBB17_51
.LBB17_49:                              ;   in Loop: Header=BB17_9 Depth=1
	s_lshl_b32 s0, s2, 2
	s_add_u32 s0, s44, s0
	s_addc_u32 s1, s45, 0
	s_mul_i32 s2, s2, 12
	s_add_u32 s2, s34, s2
	s_addc_u32 s3, s35, 0
	s_mov_b32 s4, s13
.LBB17_50:                              ;   Parent Loop BB17_9 Depth=1
                                        ; =>  This Inner Loop Header: Depth=2
	s_load_dwordx2 s[6:7], s[2:3], 0x4
	s_load_dword s5, s[2:3], 0xc
	s_load_dword s16, s[0:1], 0x0
	s_add_u32 s2, s2, 12
	s_addc_u32 s3, s3, 0
	s_waitcnt lgkmcnt(0)
	v_mul_hi_u32 v7, s7, v1
	v_add_u32_e32 v7, v1, v7
	v_lshrrev_b32_e32 v7, s5, v7
	s_add_u32 s0, s0, 4
	v_mul_lo_u32 v9, v7, s6
	s_addc_u32 s1, s1, 0
	s_add_i32 s4, s4, -1
	v_sub_u32_e32 v9, v1, v9
	s_cmp_lg_u32 s4, 0
	v_mov_b32_e32 v1, v7
	v_mad_u64_u32 v[8:9], s[6:7], v9, s16, v[8:9]
	s_cbranch_scc1 .LBB17_50
.LBB17_51:                              ;   in Loop: Header=BB17_9 Depth=1
	s_cbranch_execnz .LBB17_54
.LBB17_52:                              ;   in Loop: Header=BB17_9 Depth=1
	v_mul_hi_u32 v1, v0, s10
	v_add_u32_e32 v1, v1, v0
	v_lshrrev_b32_e32 v1, s11, v1
	v_mul_lo_u32 v7, v1, s9
	v_sub_u32_e32 v0, v0, v7
	s_andn2_b64 vcc, exec, s[46:47]
	s_waitcnt lgkmcnt(0)
	v_mul_lo_u32 v8, v0, s50
	s_cbranch_vccnz .LBB17_54
; %bb.53:                               ;   in Loop: Header=BB17_9 Depth=1
	v_mul_hi_u32 v0, s8, v1
	v_add_u32_e32 v0, v1, v0
	v_lshrrev_b32_e32 v0, s14, v0
	v_mul_lo_u32 v0, v0, s12
	v_sub_u32_e32 v0, v1, v0
	v_mad_u64_u32 v[8:9], s[0:1], v0, s51, v[8:9]
.LBB17_54:                              ;   in Loop: Header=BB17_9 Depth=1
	s_waitcnt lgkmcnt(0)
	v_or_b32_e32 v15, s31, v2
	v_cmp_ne_u64_e32 vcc, 0, v[14:15]
                                        ; implicit-def: $vgpr10_vgpr11
	s_and_saveexec_b64 s[0:1], vcc
	s_xor_b64 s[2:3], exec, s[0:1]
	s_cbranch_execz .LBB17_56
; %bb.55:                               ;   in Loop: Header=BB17_9 Depth=1
	v_cvt_f32_u32_e32 v0, s30
	v_cvt_f32_u32_e32 v1, s31
	s_sub_u32 s0, 0, s30
	s_subb_u32 s1, 0, s31
	v_mac_f32_e32 v0, 0x4f800000, v1
	v_rcp_f32_e32 v0, v0
	v_mul_f32_e32 v0, 0x5f7ffffc, v0
	v_mul_f32_e32 v1, 0x2f800000, v0
	v_trunc_f32_e32 v1, v1
	v_mac_f32_e32 v0, 0xcf800000, v1
	v_cvt_u32_f32_e32 v1, v1
	v_cvt_u32_f32_e32 v0, v0
	v_mul_lo_u32 v7, s0, v1
	v_mul_hi_u32 v10, s0, v0
	v_mul_lo_u32 v9, s1, v0
	v_add_u32_e32 v7, v10, v7
	v_mul_lo_u32 v11, s0, v0
	v_add_u32_e32 v7, v7, v9
	v_mul_hi_u32 v10, v0, v11
	v_mul_lo_u32 v15, v0, v7
	v_mul_hi_u32 v9, v0, v7
	v_add_co_u32_e32 v10, vcc, v10, v15
	v_addc_co_u32_e32 v9, vcc, 0, v9, vcc
	v_mul_hi_u32 v19, v1, v11
	v_mul_lo_u32 v11, v1, v11
	v_add_co_u32_e32 v10, vcc, v10, v11
	v_mul_hi_u32 v15, v1, v7
	v_addc_co_u32_e32 v9, vcc, v9, v19, vcc
	v_addc_co_u32_e32 v10, vcc, 0, v15, vcc
	v_mul_lo_u32 v7, v1, v7
	v_add_co_u32_e32 v7, vcc, v9, v7
	v_addc_co_u32_e32 v9, vcc, 0, v10, vcc
	v_add_co_u32_e32 v0, vcc, v0, v7
	v_addc_co_u32_e32 v1, vcc, v1, v9, vcc
	v_mul_lo_u32 v7, s0, v1
	v_mul_hi_u32 v9, s0, v0
	v_add_u32_e32 v7, v9, v7
	v_mul_lo_u32 v9, s1, v0
	v_add_u32_e32 v7, v7, v9
	v_mul_lo_u32 v10, s0, v0
	v_mul_hi_u32 v11, v1, v10
	v_mul_lo_u32 v15, v1, v10
	v_mul_lo_u32 v43, v0, v7
	v_mul_hi_u32 v10, v0, v10
	v_mul_hi_u32 v19, v0, v7
	v_add_co_u32_e32 v10, vcc, v10, v43
	v_addc_co_u32_e32 v19, vcc, 0, v19, vcc
	v_add_co_u32_e32 v10, vcc, v10, v15
	v_mul_hi_u32 v9, v1, v7
	v_addc_co_u32_e32 v10, vcc, v19, v11, vcc
	v_addc_co_u32_e32 v9, vcc, 0, v9, vcc
	v_mul_lo_u32 v7, v1, v7
	v_add_co_u32_e32 v7, vcc, v10, v7
	v_addc_co_u32_e32 v9, vcc, 0, v9, vcc
	v_add_co_u32_e32 v7, vcc, v0, v7
	v_addc_co_u32_e32 v9, vcc, v1, v9, vcc
	v_mad_u64_u32 v[0:1], s[0:1], v3, v9, 0
	v_mul_hi_u32 v10, v3, v7
	v_add_co_u32_e32 v15, vcc, v10, v0
	v_addc_co_u32_e32 v19, vcc, 0, v1, vcc
	v_mad_u64_u32 v[10:11], s[0:1], v2, v7, 0
	v_add_co_u32_e32 v7, vcc, v15, v10
	v_mad_u64_u32 v[0:1], s[0:1], v2, v9, 0
	v_addc_co_u32_e32 v7, vcc, v19, v11, vcc
	v_addc_co_u32_e32 v1, vcc, 0, v1, vcc
	v_add_co_u32_e32 v0, vcc, v7, v0
	v_addc_co_u32_e32 v1, vcc, 0, v1, vcc
	v_mul_lo_u32 v7, s31, v0
	v_mul_lo_u32 v9, s30, v1
	v_mad_u64_u32 v[0:1], s[0:1], s30, v0, 0
	v_add3_u32 v1, v1, v9, v7
	v_sub_u32_e32 v7, v2, v1
	v_mov_b32_e32 v9, s31
	v_sub_co_u32_e32 v0, vcc, v3, v0
	v_subb_co_u32_e64 v3, s[0:1], v7, v9, vcc
	v_subrev_co_u32_e64 v7, s[0:1], s30, v0
	v_subbrev_co_u32_e64 v3, s[0:1], 0, v3, s[0:1]
	v_cmp_le_u32_e64 s[0:1], s31, v3
	v_subb_co_u32_e32 v1, vcc, v2, v1, vcc
	v_cndmask_b32_e64 v9, 0, -1, s[0:1]
	v_cmp_le_u32_e64 s[0:1], s30, v7
	v_cmp_le_u32_e32 vcc, s31, v1
	v_cndmask_b32_e64 v10, 0, -1, s[0:1]
	v_cmp_eq_u32_e64 s[0:1], s31, v3
	v_cndmask_b32_e64 v2, 0, -1, vcc
	v_cmp_le_u32_e32 vcc, s30, v0
	v_cndmask_b32_e64 v3, v9, v10, s[0:1]
	v_cndmask_b32_e64 v10, 0, -1, vcc
	v_cmp_eq_u32_e32 vcc, s31, v1
	v_subrev_co_u32_e64 v9, s[0:1], s30, v7
	v_cndmask_b32_e32 v1, v2, v10, vcc
	v_cmp_ne_u32_e32 vcc, 0, v3
	v_cndmask_b32_e32 v2, v7, v9, vcc
	v_cmp_ne_u32_e32 vcc, 0, v1
	v_cndmask_b32_e32 v10, v0, v2, vcc
                                        ; implicit-def: $vgpr0_vgpr1_vgpr2_vgpr3
.LBB17_56:                              ;   in Loop: Header=BB17_9 Depth=1
	s_andn2_saveexec_b64 s[0:1], s[2:3]
	s_cbranch_execz .LBB17_7
; %bb.57:                               ;   in Loop: Header=BB17_9 Depth=1
	v_cvt_f32_u32_e32 v0, s30
	s_sub_i32 s2, 0, s30
	v_rcp_iflag_f32_e32 v0, v0
	v_mul_f32_e32 v0, 0x4f7ffffe, v0
	v_cvt_u32_f32_e32 v0, v0
	v_mul_lo_u32 v1, s2, v0
	v_mul_hi_u32 v1, v0, v1
	v_add_u32_e32 v0, v0, v1
	v_mul_hi_u32 v0, v3, v0
	v_mul_lo_u32 v0, v0, s30
	v_sub_u32_e32 v0, v3, v0
	v_subrev_u32_e32 v1, s30, v0
	v_cmp_le_u32_e32 vcc, s30, v0
	v_cndmask_b32_e32 v0, v0, v1, vcc
	v_subrev_u32_e32 v1, s30, v0
	v_cmp_le_u32_e32 vcc, s30, v0
	v_cndmask_b32_e32 v10, v0, v1, vcc
	s_branch .LBB17_7
.LBB17_58:
	s_endpgm
.LBB17_59:
                                        ; implicit-def: $sgpr2_sgpr3
	s_andn2_b64 vcc, exec, s[0:1]
	s_cbranch_vccz .LBB17_4
	s_branch .LBB17_5
	.section	.rodata,"a",@progbits
	.p2align	6, 0x0
	.amdhsa_kernel _ZN2at6native12_GLOBAL__N_143distribution_elementwise_grid_stride_kernelImLi2EZZZNS0_9templates4cuda21random_from_to_kernelIPNS_17CUDAGeneratorImplEEEvRNS_18TensorIteratorBaseEmlT_ENKUlvE_clEvENKUlvE3_clEvEUlP25hiprandStatePhilox4_32_10E_ZNS1_27distribution_nullary_kernelIsm15HIP_vector_typeIyLj2EES7_SF_ZZZNS5_IS7_EEvS9_mlSA_ENKSB_clEvENKSC_clEvEUlmE_EEvS9_T2_RKT3_T4_EUlimE0_EEvlNS_15PhiloxCudaStateET1_SK_
		.amdhsa_group_segment_fixed_size 0
		.amdhsa_private_segment_fixed_size 0
		.amdhsa_kernarg_size 592
		.amdhsa_user_sgpr_count 6
		.amdhsa_user_sgpr_private_segment_buffer 1
		.amdhsa_user_sgpr_dispatch_ptr 0
		.amdhsa_user_sgpr_queue_ptr 0
		.amdhsa_user_sgpr_kernarg_segment_ptr 1
		.amdhsa_user_sgpr_dispatch_id 0
		.amdhsa_user_sgpr_flat_scratch_init 0
		.amdhsa_user_sgpr_kernarg_preload_length 0
		.amdhsa_user_sgpr_kernarg_preload_offset 0
		.amdhsa_user_sgpr_private_segment_size 0
		.amdhsa_uses_dynamic_stack 0
		.amdhsa_system_sgpr_private_segment_wavefront_offset 0
		.amdhsa_system_sgpr_workgroup_id_x 1
		.amdhsa_system_sgpr_workgroup_id_y 0
		.amdhsa_system_sgpr_workgroup_id_z 0
		.amdhsa_system_sgpr_workgroup_info 0
		.amdhsa_system_vgpr_workitem_id 0
		.amdhsa_next_free_vgpr 46
		.amdhsa_next_free_sgpr 66
		.amdhsa_accum_offset 48
		.amdhsa_reserve_vcc 1
		.amdhsa_reserve_flat_scratch 0
		.amdhsa_float_round_mode_32 0
		.amdhsa_float_round_mode_16_64 0
		.amdhsa_float_denorm_mode_32 3
		.amdhsa_float_denorm_mode_16_64 3
		.amdhsa_dx10_clamp 1
		.amdhsa_ieee_mode 1
		.amdhsa_fp16_overflow 0
		.amdhsa_tg_split 0
		.amdhsa_exception_fp_ieee_invalid_op 0
		.amdhsa_exception_fp_denorm_src 0
		.amdhsa_exception_fp_ieee_div_zero 0
		.amdhsa_exception_fp_ieee_overflow 0
		.amdhsa_exception_fp_ieee_underflow 0
		.amdhsa_exception_fp_ieee_inexact 0
		.amdhsa_exception_int_div_zero 0
	.end_amdhsa_kernel
	.section	.text._ZN2at6native12_GLOBAL__N_143distribution_elementwise_grid_stride_kernelImLi2EZZZNS0_9templates4cuda21random_from_to_kernelIPNS_17CUDAGeneratorImplEEEvRNS_18TensorIteratorBaseEmlT_ENKUlvE_clEvENKUlvE3_clEvEUlP25hiprandStatePhilox4_32_10E_ZNS1_27distribution_nullary_kernelIsm15HIP_vector_typeIyLj2EES7_SF_ZZZNS5_IS7_EEvS9_mlSA_ENKSB_clEvENKSC_clEvEUlmE_EEvS9_T2_RKT3_T4_EUlimE0_EEvlNS_15PhiloxCudaStateET1_SK_,"axG",@progbits,_ZN2at6native12_GLOBAL__N_143distribution_elementwise_grid_stride_kernelImLi2EZZZNS0_9templates4cuda21random_from_to_kernelIPNS_17CUDAGeneratorImplEEEvRNS_18TensorIteratorBaseEmlT_ENKUlvE_clEvENKUlvE3_clEvEUlP25hiprandStatePhilox4_32_10E_ZNS1_27distribution_nullary_kernelIsm15HIP_vector_typeIyLj2EES7_SF_ZZZNS5_IS7_EEvS9_mlSA_ENKSB_clEvENKSC_clEvEUlmE_EEvS9_T2_RKT3_T4_EUlimE0_EEvlNS_15PhiloxCudaStateET1_SK_,comdat
.Lfunc_end17:
	.size	_ZN2at6native12_GLOBAL__N_143distribution_elementwise_grid_stride_kernelImLi2EZZZNS0_9templates4cuda21random_from_to_kernelIPNS_17CUDAGeneratorImplEEEvRNS_18TensorIteratorBaseEmlT_ENKUlvE_clEvENKUlvE3_clEvEUlP25hiprandStatePhilox4_32_10E_ZNS1_27distribution_nullary_kernelIsm15HIP_vector_typeIyLj2EES7_SF_ZZZNS5_IS7_EEvS9_mlSA_ENKSB_clEvENKSC_clEvEUlmE_EEvS9_T2_RKT3_T4_EUlimE0_EEvlNS_15PhiloxCudaStateET1_SK_, .Lfunc_end17-_ZN2at6native12_GLOBAL__N_143distribution_elementwise_grid_stride_kernelImLi2EZZZNS0_9templates4cuda21random_from_to_kernelIPNS_17CUDAGeneratorImplEEEvRNS_18TensorIteratorBaseEmlT_ENKUlvE_clEvENKUlvE3_clEvEUlP25hiprandStatePhilox4_32_10E_ZNS1_27distribution_nullary_kernelIsm15HIP_vector_typeIyLj2EES7_SF_ZZZNS5_IS7_EEvS9_mlSA_ENKSB_clEvENKSC_clEvEUlmE_EEvS9_T2_RKT3_T4_EUlimE0_EEvlNS_15PhiloxCudaStateET1_SK_
                                        ; -- End function
	.section	.AMDGPU.csdata,"",@progbits
; Kernel info:
; codeLenInByte = 4592
; NumSgprs: 70
; NumVgprs: 46
; NumAgprs: 0
; TotalNumVgprs: 46
; ScratchSize: 0
; MemoryBound: 0
; FloatMode: 240
; IeeeMode: 1
; LDSByteSize: 0 bytes/workgroup (compile time only)
; SGPRBlocks: 8
; VGPRBlocks: 5
; NumSGPRsForWavesPerEU: 70
; NumVGPRsForWavesPerEU: 46
; AccumOffset: 48
; Occupancy: 8
; WaveLimiterHint : 1
; COMPUTE_PGM_RSRC2:SCRATCH_EN: 0
; COMPUTE_PGM_RSRC2:USER_SGPR: 6
; COMPUTE_PGM_RSRC2:TRAP_HANDLER: 0
; COMPUTE_PGM_RSRC2:TGID_X_EN: 1
; COMPUTE_PGM_RSRC2:TGID_Y_EN: 0
; COMPUTE_PGM_RSRC2:TGID_Z_EN: 0
; COMPUTE_PGM_RSRC2:TIDIG_COMP_CNT: 0
; COMPUTE_PGM_RSRC3_GFX90A:ACCUM_OFFSET: 11
; COMPUTE_PGM_RSRC3_GFX90A:TG_SPLIT: 0
	.section	.text._ZN2at6native12_GLOBAL__N_143distribution_elementwise_grid_stride_kernelIjLi4EZZZNS0_9templates4cuda21random_from_to_kernelIPNS_17CUDAGeneratorImplEEEvRNS_18TensorIteratorBaseEmlT_ENKUlvE_clEvENKUlvE3_clEvEUlP25hiprandStatePhilox4_32_10E0_ZNS1_27distribution_nullary_kernelIsj15HIP_vector_typeIjLj4EES7_SF_ZZZNS5_IS7_EEvS9_mlSA_ENKSB_clEvENKSC_clEvEUljE_EEvS9_T2_RKT3_T4_EUlijE_EEvlNS_15PhiloxCudaStateET1_SK_,"axG",@progbits,_ZN2at6native12_GLOBAL__N_143distribution_elementwise_grid_stride_kernelIjLi4EZZZNS0_9templates4cuda21random_from_to_kernelIPNS_17CUDAGeneratorImplEEEvRNS_18TensorIteratorBaseEmlT_ENKUlvE_clEvENKUlvE3_clEvEUlP25hiprandStatePhilox4_32_10E0_ZNS1_27distribution_nullary_kernelIsj15HIP_vector_typeIjLj4EES7_SF_ZZZNS5_IS7_EEvS9_mlSA_ENKSB_clEvENKSC_clEvEUljE_EEvS9_T2_RKT3_T4_EUlijE_EEvlNS_15PhiloxCudaStateET1_SK_,comdat
	.globl	_ZN2at6native12_GLOBAL__N_143distribution_elementwise_grid_stride_kernelIjLi4EZZZNS0_9templates4cuda21random_from_to_kernelIPNS_17CUDAGeneratorImplEEEvRNS_18TensorIteratorBaseEmlT_ENKUlvE_clEvENKUlvE3_clEvEUlP25hiprandStatePhilox4_32_10E0_ZNS1_27distribution_nullary_kernelIsj15HIP_vector_typeIjLj4EES7_SF_ZZZNS5_IS7_EEvS9_mlSA_ENKSB_clEvENKSC_clEvEUljE_EEvS9_T2_RKT3_T4_EUlijE_EEvlNS_15PhiloxCudaStateET1_SK_ ; -- Begin function _ZN2at6native12_GLOBAL__N_143distribution_elementwise_grid_stride_kernelIjLi4EZZZNS0_9templates4cuda21random_from_to_kernelIPNS_17CUDAGeneratorImplEEEvRNS_18TensorIteratorBaseEmlT_ENKUlvE_clEvENKUlvE3_clEvEUlP25hiprandStatePhilox4_32_10E0_ZNS1_27distribution_nullary_kernelIsj15HIP_vector_typeIjLj4EES7_SF_ZZZNS5_IS7_EEvS9_mlSA_ENKSB_clEvENKSC_clEvEUljE_EEvS9_T2_RKT3_T4_EUlijE_EEvlNS_15PhiloxCudaStateET1_SK_
	.p2align	8
	.type	_ZN2at6native12_GLOBAL__N_143distribution_elementwise_grid_stride_kernelIjLi4EZZZNS0_9templates4cuda21random_from_to_kernelIPNS_17CUDAGeneratorImplEEEvRNS_18TensorIteratorBaseEmlT_ENKUlvE_clEvENKUlvE3_clEvEUlP25hiprandStatePhilox4_32_10E0_ZNS1_27distribution_nullary_kernelIsj15HIP_vector_typeIjLj4EES7_SF_ZZZNS5_IS7_EEvS9_mlSA_ENKSB_clEvENKSC_clEvEUljE_EEvS9_T2_RKT3_T4_EUlijE_EEvlNS_15PhiloxCudaStateET1_SK_,@function
_ZN2at6native12_GLOBAL__N_143distribution_elementwise_grid_stride_kernelIjLi4EZZZNS0_9templates4cuda21random_from_to_kernelIPNS_17CUDAGeneratorImplEEEvRNS_18TensorIteratorBaseEmlT_ENKUlvE_clEvENKUlvE3_clEvEUlP25hiprandStatePhilox4_32_10E0_ZNS1_27distribution_nullary_kernelIsj15HIP_vector_typeIjLj4EES7_SF_ZZZNS5_IS7_EEvS9_mlSA_ENKSB_clEvENKSC_clEvEUljE_EEvS9_T2_RKT3_T4_EUlijE_EEvlNS_15PhiloxCudaStateET1_SK_: ; @_ZN2at6native12_GLOBAL__N_143distribution_elementwise_grid_stride_kernelIjLi4EZZZNS0_9templates4cuda21random_from_to_kernelIPNS_17CUDAGeneratorImplEEEvRNS_18TensorIteratorBaseEmlT_ENKUlvE_clEvENKUlvE3_clEvEUlP25hiprandStatePhilox4_32_10E0_ZNS1_27distribution_nullary_kernelIsj15HIP_vector_typeIjLj4EES7_SF_ZZZNS5_IS7_EEvS9_mlSA_ENKSB_clEvENKSC_clEvEUljE_EEvS9_T2_RKT3_T4_EUlijE_EEvlNS_15PhiloxCudaStateET1_SK_
; %bb.0:
	s_load_dword s7, s[4:5], 0x20
	s_load_dwordx2 s[10:11], s[4:5], 0x10
	s_load_dwordx4 s[0:3], s[4:5], 0x0
	s_mov_b32 s8, 0
	s_waitcnt lgkmcnt(0)
	s_bitcmp0_b32 s7, 0
	v_pk_mov_b32 v[2:3], s[10:11], s[10:11] op_sel:[0,1]
	v_pk_mov_b32 v[14:15], s[2:3], s[2:3] op_sel:[0,1]
	s_cbranch_scc1 .LBB18_2
; %bb.1:
	v_pk_mov_b32 v[2:3], s[10:11], s[10:11] op_sel:[0,1]
	flat_load_dwordx2 v[2:3], v[2:3]
	v_pk_mov_b32 v[4:5], s[2:3], s[2:3] op_sel:[0,1]
	flat_load_dwordx2 v[14:15], v[4:5]
	s_load_dwordx2 s[2:3], s[4:5], 0x18
	s_waitcnt lgkmcnt(0)
	v_mov_b32_e32 v1, s3
	s_waitcnt vmcnt(0)
	v_add_co_u32_e32 v2, vcc, s2, v2
	v_addc_co_u32_e32 v3, vcc, v3, v1, vcc
.LBB18_2:
	s_load_dword s2, s[4:5], 0x5c
	s_load_dword s14, s[4:5], 0x50
	s_waitcnt lgkmcnt(0)
	s_and_b32 s7, s2, 0xffff
	s_add_u32 s10, s0, -1
	s_mul_i32 s16, s14, s7
	s_addc_u32 s9, s1, -1
	s_lshl_b32 s17, s16, 2
	s_cmp_lg_u64 s[8:9], 0
	s_mov_b64 s[2:3], -1
	s_cbranch_scc0 .LBB18_35
; %bb.3:
	v_cvt_f32_u32_e32 v1, s17
	v_cvt_f32_ubyte0_e32 v4, 0
	s_sub_u32 s8, 0, s17
	s_subb_u32 s11, 0, 0
	v_madmk_f32 v1, v4, 0x4f800000, v1
	v_rcp_f32_e32 v1, v1
	v_mul_f32_e32 v1, 0x5f7ffffc, v1
	v_mul_f32_e32 v4, 0x2f800000, v1
	v_trunc_f32_e32 v4, v4
	v_madmk_f32 v1, v4, 0xcf800000, v1
	v_cvt_u32_f32_e32 v4, v4
	v_cvt_u32_f32_e32 v1, v1
	v_readfirstlane_b32 s12, v4
	v_readfirstlane_b32 s13, v1
	s_mul_i32 s15, s8, s12
	s_mul_hi_u32 s19, s8, s13
	s_mul_i32 s18, s11, s13
	s_add_i32 s15, s19, s15
	s_add_i32 s15, s15, s18
	s_mul_i32 s20, s8, s13
	s_mul_hi_u32 s18, s13, s15
	s_mul_i32 s19, s13, s15
	s_mul_hi_u32 s13, s13, s20
	s_add_u32 s13, s13, s19
	s_addc_u32 s18, 0, s18
	s_mul_hi_u32 s21, s12, s20
	s_mul_i32 s20, s12, s20
	s_add_u32 s13, s13, s20
	s_mul_hi_u32 s19, s12, s15
	s_addc_u32 s13, s18, s21
	s_addc_u32 s18, s19, 0
	s_mul_i32 s15, s12, s15
	s_add_u32 s13, s13, s15
	s_addc_u32 s15, 0, s18
	v_add_co_u32_e32 v1, vcc, s13, v1
	s_cmp_lg_u64 vcc, 0
	s_addc_u32 s12, s12, s15
	v_readfirstlane_b32 s15, v1
	s_mul_i32 s13, s8, s12
	s_mul_hi_u32 s18, s8, s15
	s_add_i32 s13, s18, s13
	s_mul_i32 s11, s11, s15
	s_add_i32 s13, s13, s11
	s_mul_i32 s8, s8, s15
	s_mul_hi_u32 s18, s12, s8
	s_mul_i32 s19, s12, s8
	s_mul_i32 s21, s15, s13
	s_mul_hi_u32 s8, s15, s8
	s_mul_hi_u32 s20, s15, s13
	s_add_u32 s8, s8, s21
	s_addc_u32 s15, 0, s20
	s_add_u32 s8, s8, s19
	s_mul_hi_u32 s11, s12, s13
	s_addc_u32 s8, s15, s18
	s_addc_u32 s11, s11, 0
	s_mul_i32 s13, s12, s13
	s_add_u32 s8, s8, s13
	s_addc_u32 s11, 0, s11
	v_add_co_u32_e32 v1, vcc, s8, v1
	s_cmp_lg_u64 vcc, 0
	s_addc_u32 s11, s12, s11
	s_ashr_i32 s12, s9, 31
	s_add_u32 s8, s10, s12
	s_mov_b32 s13, s12
	s_addc_u32 s9, s9, s12
	s_xor_b64 s[8:9], s[8:9], s[12:13]
	v_readfirstlane_b32 s19, v1
	s_mul_i32 s18, s8, s11
	s_mul_hi_u32 s20, s8, s19
	s_mul_hi_u32 s15, s8, s11
	s_add_u32 s18, s20, s18
	s_addc_u32 s15, 0, s15
	s_mul_hi_u32 s21, s9, s19
	s_mul_i32 s19, s9, s19
	s_add_u32 s18, s18, s19
	s_mul_hi_u32 s20, s9, s11
	s_addc_u32 s15, s15, s21
	s_addc_u32 s18, s20, 0
	s_mul_i32 s11, s9, s11
	s_add_u32 s11, s15, s11
	s_addc_u32 s15, 0, s18
	s_add_u32 s18, s11, 1
	s_addc_u32 s19, s15, 0
	s_add_u32 s20, s11, 2
	s_mul_i32 s22, s17, s15
	s_mul_hi_u32 s23, s17, s11
	s_addc_u32 s21, s15, 0
	s_add_i32 s23, s23, s22
	s_mul_i32 s22, s17, s11
	v_mov_b32_e32 v1, s22
	v_sub_co_u32_e32 v1, vcc, s8, v1
	s_cmp_lg_u64 vcc, 0
	s_subb_u32 s8, s9, s23
	v_subrev_co_u32_e32 v4, vcc, s17, v1
	s_cmp_lg_u64 vcc, 0
	s_subb_u32 s9, s8, 0
	v_readfirstlane_b32 s22, v4
	s_cmp_ge_u32 s22, s17
	s_cselect_b32 s22, -1, 0
	s_cmp_eq_u32 s9, 0
	s_cselect_b32 s9, s22, -1
	s_cmp_lg_u32 s9, 0
	s_cselect_b32 s9, s21, s19
	v_readfirstlane_b32 s19, v1
	s_cselect_b32 s18, s20, s18
	s_cmp_ge_u32 s19, s17
	s_cselect_b32 s19, -1, 0
	s_cmp_eq_u32 s8, 0
	s_cselect_b32 s8, s19, -1
	s_cmp_lg_u32 s8, 0
	s_cselect_b32 s9, s9, s15
	s_cselect_b32 s8, s18, s11
	s_xor_b64 s[8:9], s[8:9], s[12:13]
	s_sub_u32 s8, s8, s12
	s_subb_u32 s9, s9, s12
	s_cbranch_execnz .LBB18_5
.LBB18_4:
	v_cvt_f32_u32_e32 v1, s17
	s_sub_i32 s2, 0, s17
	s_mov_b32 s9, 0
	v_rcp_iflag_f32_e32 v1, v1
	v_mul_f32_e32 v1, 0x4f7ffffe, v1
	v_cvt_u32_f32_e32 v1, v1
	v_readfirstlane_b32 s3, v1
	s_mul_i32 s2, s2, s3
	s_mul_hi_u32 s2, s3, s2
	s_add_i32 s3, s3, s2
	s_mul_hi_u32 s2, s10, s3
	s_mul_i32 s8, s2, s17
	s_sub_i32 s8, s10, s8
	s_add_i32 s3, s2, 1
	s_sub_i32 s10, s8, s17
	s_cmp_ge_u32 s8, s17
	s_cselect_b32 s2, s3, s2
	s_cselect_b32 s8, s10, s8
	s_add_i32 s3, s2, 1
	s_cmp_ge_u32 s8, s17
	s_cselect_b32 s8, s3, s2
.LBB18_5:
	v_mov_b32_e32 v1, 0
	v_mov_b32_e32 v4, s6
	v_mad_u64_u32 v[16:17], s[2:3], s7, v4, v[0:1]
	s_add_u32 s2, s8, 1
	s_addc_u32 s3, s9, 0
	s_mul_hi_u32 s8, s14, s7
	s_mul_i32 s3, s16, s3
	s_mul_hi_u32 s9, s16, s2
	s_add_i32 s3, s9, s3
	s_mul_i32 s8, s8, s2
	s_add_i32 s3, s3, s8
	s_mul_i32 s2, s16, s2
	s_lshl_b64 s[2:3], s[2:3], 2
	v_cmp_gt_i64_e32 vcc, s[2:3], v[16:17]
	s_and_saveexec_b64 s[8:9], vcc
	s_cbranch_execz .LBB18_34
; %bb.6:
	s_load_dwordx2 s[12:13], s[4:5], 0x30
	s_load_dword s15, s[4:5], 0x38
	s_load_dwordx4 s[8:11], s[4:5], 0x40
	v_mov_b32_e32 v4, v15
	s_mov_b32 s4, 0xdb3d7428
	v_add_co_u32_e32 v23, vcc, s4, v4
	s_mov_b32 s4, 0x5384540f
	v_add_co_u32_e32 v24, vcc, s4, v14
	;; [unrolled: 2-line block ×7, first 2 shown]
	s_mov_b32 s4, 0x9e3779b9
	v_alignbit_b32 v31, v3, v2, 2
	s_mov_b32 s18, 0xd2511f53
	v_add_co_u32_e32 v30, vcc, s4, v14
	v_mad_u64_u32 v[6:7], s[4:5], v31, s18, 0
	v_and_b32_e32 v20, 3, v2
	v_xor_b32_e32 v2, v7, v15
	v_xor_b32_e32 v2, v2, v17
	s_mov_b32 s19, 0xcd9e8d57
	v_mad_u64_u32 v[8:9], s[4:5], v2, s19, 0
	v_xor_b32_e32 v2, v30, v9
	v_mad_u64_u32 v[10:11], s[4:5], v16, s19, 0
	v_xor_b32_e32 v2, v2, v10
	;; [unrolled: 2-line block ×3, first 2 shown]
	v_lshrrev_b32_e32 v32, 2, v3
	v_xor_b32_e32 v2, v2, v32
	v_xor_b32_e32 v5, v29, v13
	v_mad_u64_u32 v[2:3], s[4:5], v2, s18, 0
	v_xor_b32_e32 v2, v5, v2
	v_mad_u64_u32 v[10:11], s[4:5], v2, s19, 0
	s_mov_b32 s4, 0xbb67ae85
	v_add_co_u32_e32 v33, vcc, s4, v4
	v_xor_b32_e32 v2, v33, v3
	v_xor_b32_e32 v2, v2, v6
	v_xor_b32_e32 v5, v28, v11
	v_mad_u64_u32 v[2:3], s[4:5], v2, s19, 0
	v_xor_b32_e32 v2, v5, v2
	v_mad_u64_u32 v[6:7], s[4:5], v2, s18, 0
	s_mov_b32 s4, 0x3c6ef372
	v_add_co_u32_e32 v34, vcc, s4, v14
	v_xor_b32_e32 v2, v34, v3
	;; [unrolled: 8-line block ×7, first 2 shown]
	v_xor_b32_e32 v2, v2, v12
	v_mad_u64_u32 v[2:3], s[4:5], v2, s19, 0
	s_mov_b32 s4, 0xf1bbcdc8
	v_add_co_u32_e32 v40, vcc, s4, v14
	v_xor_b32_e32 v3, v40, v3
	v_xor_b32_e32 v3, v3, v10
	v_mad_u64_u32 v[10:11], s[4:5], v3, s18, 0
	s_mul_i32 s4, s6, s7
	v_xor_b32_e32 v3, v11, v6
	v_add_u32_e32 v6, s4, v0
	s_waitcnt lgkmcnt(0)
	s_mul_i32 s4, s14, s15
	s_mul_i32 s4, s4, s7
	s_lshl_b32 s24, s4, 2
	s_mul_i32 s4, s14, 3
	s_add_i32 s4, s6, s4
	s_mul_i32 s4, s4, s7
	v_mul_lo_u32 v41, s15, v6
	v_add_u32_e32 v6, s4, v0
	s_lshl_b32 s4, s14, 1
	s_add_i32 s4, s6, s4
	s_mul_i32 s4, s4, s7
	v_mul_lo_u32 v42, s15, v6
	v_add_u32_e32 v6, s4, v0
	s_add_i32 s4, s6, s14
	s_mul_i32 s4, s4, s7
	s_mov_b32 s11, 0
	v_add_u32_e32 v21, 0x8ff34781, v14
	v_add_u32_e32 v22, 0x96a522ad, v15
	v_xor_b32_e32 v2, v9, v2
	v_add_u32_e32 v0, s4, v0
	v_xor_b32_e32 v2, v21, v2
	v_xor_b32_e32 v4, v22, v3
	v_mov_b32_e32 v3, v8
	v_mov_b32_e32 v5, v10
	s_lshl_b32 s20, s16, 1
	s_mov_b32 s21, s11
	s_mul_i32 s22, s16, 3
	s_mov_b32 s23, s11
	v_mul_lo_u32 v43, s15, v6
	v_mul_lo_u32 v44, s15, v0
	s_mov_b64 s[4:5], 0
	s_mov_b32 s25, s11
	v_mov_b32_e32 v45, v16
	v_mov_b32_e32 v46, v17
	s_branch .LBB18_9
.LBB18_7:                               ;   in Loop: Header=BB18_9 Depth=1
	s_or_b64 exec, exec, s[14:15]
	v_add_u32_e32 v2, s25, v42
	v_ashrrev_i32_e32 v3, 31, v2
	v_mov_b32_e32 v4, s13
	v_add_co_u32_e32 v2, vcc, s12, v2
	v_addc_co_u32_e32 v3, vcc, v4, v3, vcc
	v_add_u32_e32 v0, s10, v0
	global_store_short v[2:3], v0, off
.LBB18_8:                               ;   in Loop: Header=BB18_9 Depth=1
	s_or_b64 exec, exec, s[6:7]
	v_add_co_u32_e32 v16, vcc, s17, v16
	v_addc_co_u32_e32 v17, vcc, 0, v17, vcc
	v_mov_b32_e32 v9, v18
	s_add_i32 s25, s25, s24
	v_cmp_le_i64_e32 vcc, s[2:3], v[16:17]
	v_pk_mov_b32 v[2:3], v[6:7], v[6:7] op_sel:[0,1]
	s_or_b64 s[4:5], vcc, s[4:5]
	v_pk_mov_b32 v[4:5], v[8:9], v[8:9] op_sel:[0,1]
	s_barrier
	s_andn2_b64 exec, exec, s[4:5]
	s_cbranch_execz .LBB18_34
.LBB18_9:                               ; =>This Inner Loop Header: Depth=1
	v_add_co_u32_e32 v31, vcc, 1, v31
	v_cndmask_b32_e64 v0, 0, 1, vcc
	v_addc_co_u32_e32 v32, vcc, 0, v32, vcc
	v_cmp_eq_u32_e32 vcc, 0, v32
	v_cndmask_b32_e32 v0, 0, v0, vcc
	v_add_u32_e32 v45, v0, v45
	v_cmp_eq_u32_e32 vcc, 0, v45
	v_cndmask_b32_e32 v0, 0, v0, vcc
	v_mad_u64_u32 v[6:7], s[6:7], v31, s18, 0
	v_mad_u64_u32 v[8:9], s[6:7], v45, s19, 0
	v_add_u32_e32 v46, v0, v46
	v_xor_b32_e32 v0, v9, v14
	v_xor_b32_e32 v7, v7, v15
	v_xor_b32_e32 v0, v32, v0
	v_xor_b32_e32 v7, v46, v7
	v_mad_u64_u32 v[10:11], s[6:7], v0, s18, 0
	v_mad_u64_u32 v[12:13], s[6:7], v7, s19, 0
	v_xor_b32_e32 v0, v30, v13
	v_xor_b32_e32 v7, v33, v11
	v_xor_b32_e32 v0, v0, v8
	v_xor_b32_e32 v8, v7, v6
	v_mad_u64_u32 v[6:7], s[6:7], v0, s18, 0
	v_mad_u64_u32 v[8:9], s[6:7], v8, s19, 0
	;; [unrolled: 6-line block ×9, first 2 shown]
	v_xor_b32_e32 v0, v13, v6
	v_xor_b32_e32 v6, v21, v0
	;; [unrolled: 1-line block ×4, first 2 shown]
	v_mov_b32_e32 v7, v12
	v_mov_b32_e32 v8, v13
	v_cmp_lt_i32_e32 vcc, 1, v20
	s_and_saveexec_b64 s[6:7], vcc
	s_xor_b64 s[6:7], exec, s[6:7]
	s_cbranch_execnz .LBB18_12
; %bb.10:                               ;   in Loop: Header=BB18_9 Depth=1
	s_andn2_saveexec_b64 s[6:7], s[6:7]
	s_cbranch_execnz .LBB18_17
.LBB18_11:                              ;   in Loop: Header=BB18_9 Depth=1
	s_or_b64 exec, exec, s[6:7]
	v_cmp_gt_i64_e32 vcc, s[0:1], v[16:17]
	s_and_saveexec_b64 s[6:7], vcc
	s_cbranch_execnz .LBB18_20
	s_branch .LBB18_23
.LBB18_12:                              ;   in Loop: Header=BB18_9 Depth=1
	v_cmp_lt_i32_e32 vcc, 2, v20
	s_and_saveexec_b64 s[14:15], vcc
	s_xor_b64 s[14:15], exec, s[14:15]
; %bb.13:                               ;   in Loop: Header=BB18_9 Depth=1
	v_mov_b32_e32 v10, v5
	v_mov_b32_e32 v11, v6
	v_pk_mov_b32 v[2:3], v[10:11], v[10:11] op_sel:[0,1]
	v_pk_mov_b32 v[4:5], v[12:13], v[12:13] op_sel:[0,1]
                                        ; implicit-def: $vgpr12_vgpr13
; %bb.14:                               ;   in Loop: Header=BB18_9 Depth=1
	s_andn2_saveexec_b64 s[14:15], s[14:15]
; %bb.15:                               ;   in Loop: Header=BB18_9 Depth=1
	v_mov_b32_e32 v2, v4
	v_mov_b32_e32 v3, v5
	;; [unrolled: 1-line block ×4, first 2 shown]
; %bb.16:                               ;   in Loop: Header=BB18_9 Depth=1
	s_or_b64 exec, exec, s[14:15]
	s_andn2_saveexec_b64 s[6:7], s[6:7]
	s_cbranch_execz .LBB18_11
.LBB18_17:                              ;   in Loop: Header=BB18_9 Depth=1
	v_cmp_eq_u32_e32 vcc, 1, v20
	s_and_saveexec_b64 s[14:15], vcc
; %bb.18:                               ;   in Loop: Header=BB18_9 Depth=1
	v_mov_b32_e32 v2, v3
	v_mov_b32_e32 v3, v4
	;; [unrolled: 1-line block ×4, first 2 shown]
; %bb.19:                               ;   in Loop: Header=BB18_9 Depth=1
	s_or_b64 exec, exec, s[14:15]
	s_or_b64 exec, exec, s[6:7]
	v_cmp_gt_i64_e32 vcc, s[0:1], v[16:17]
	s_and_saveexec_b64 s[6:7], vcc
	s_cbranch_execz .LBB18_23
.LBB18_20:                              ;   in Loop: Header=BB18_9 Depth=1
	v_mov_b32_e32 v0, v2
	v_cmp_le_u64_e32 vcc, s[8:9], v[0:1]
	s_and_saveexec_b64 s[14:15], vcc
	s_cbranch_execz .LBB18_22
; %bb.21:                               ;   in Loop: Header=BB18_9 Depth=1
	v_cvt_f32_u32_e32 v2, s8
	s_sub_i32 s26, 0, s8
	v_rcp_iflag_f32_e32 v2, v2
	v_mul_f32_e32 v2, 0x4f7ffffe, v2
	v_cvt_u32_f32_e32 v2, v2
	v_mul_lo_u32 v9, s26, v2
	v_mul_hi_u32 v9, v2, v9
	v_add_u32_e32 v2, v2, v9
	v_mul_hi_u32 v2, v0, v2
	v_mul_lo_u32 v2, v2, s8
	v_sub_u32_e32 v0, v0, v2
	v_subrev_u32_e32 v2, s8, v0
	v_cmp_le_u32_e32 vcc, s8, v0
	v_cndmask_b32_e32 v0, v0, v2, vcc
	v_subrev_u32_e32 v2, s8, v0
	v_cmp_le_u32_e32 vcc, s8, v0
	v_cndmask_b32_e32 v0, v0, v2, vcc
.LBB18_22:                              ;   in Loop: Header=BB18_9 Depth=1
	s_or_b64 exec, exec, s[14:15]
	v_add_u32_e32 v2, s25, v41
	v_ashrrev_i32_e32 v9, 31, v2
	v_mov_b32_e32 v11, s13
	v_add_co_u32_e32 v10, vcc, s12, v2
	v_addc_co_u32_e32 v11, vcc, v11, v9, vcc
	v_add_u32_e32 v0, s10, v0
	global_store_short v[10:11], v0, off
.LBB18_23:                              ;   in Loop: Header=BB18_9 Depth=1
	s_or_b64 exec, exec, s[6:7]
	v_mov_b32_e32 v0, s11
	v_add_co_u32_e32 v10, vcc, s16, v16
	v_addc_co_u32_e32 v11, vcc, v0, v17, vcc
	v_cmp_gt_i64_e32 vcc, s[0:1], v[10:11]
	s_and_saveexec_b64 s[6:7], vcc
	s_cbranch_execz .LBB18_27
; %bb.24:                               ;   in Loop: Header=BB18_9 Depth=1
	v_mov_b32_e32 v0, v3
	v_cmp_le_u64_e32 vcc, s[8:9], v[0:1]
	s_and_saveexec_b64 s[14:15], vcc
	s_cbranch_execz .LBB18_26
; %bb.25:                               ;   in Loop: Header=BB18_9 Depth=1
	v_cvt_f32_u32_e32 v2, s8
	s_sub_i32 s26, 0, s8
	v_rcp_iflag_f32_e32 v2, v2
	v_mul_f32_e32 v2, 0x4f7ffffe, v2
	v_cvt_u32_f32_e32 v2, v2
	v_mul_lo_u32 v3, s26, v2
	v_mul_hi_u32 v3, v2, v3
	v_add_u32_e32 v2, v2, v3
	v_mul_hi_u32 v2, v0, v2
	v_mul_lo_u32 v2, v2, s8
	v_sub_u32_e32 v0, v0, v2
	v_subrev_u32_e32 v2, s8, v0
	v_cmp_le_u32_e32 vcc, s8, v0
	v_cndmask_b32_e32 v0, v0, v2, vcc
	v_subrev_u32_e32 v2, s8, v0
	v_cmp_le_u32_e32 vcc, s8, v0
	v_cndmask_b32_e32 v0, v0, v2, vcc
.LBB18_26:                              ;   in Loop: Header=BB18_9 Depth=1
	s_or_b64 exec, exec, s[14:15]
	v_add_u32_e32 v2, s25, v44
	v_ashrrev_i32_e32 v3, 31, v2
	v_mov_b32_e32 v9, s13
	v_add_co_u32_e32 v2, vcc, s12, v2
	v_addc_co_u32_e32 v3, vcc, v9, v3, vcc
	v_add_u32_e32 v0, s10, v0
	global_store_short v[2:3], v0, off
.LBB18_27:                              ;   in Loop: Header=BB18_9 Depth=1
	s_or_b64 exec, exec, s[6:7]
	v_mov_b32_e32 v0, s21
	v_add_co_u32_e32 v2, vcc, s20, v16
	v_addc_co_u32_e32 v3, vcc, v0, v17, vcc
	v_cmp_gt_i64_e32 vcc, s[0:1], v[2:3]
	s_and_saveexec_b64 s[6:7], vcc
	s_cbranch_execz .LBB18_31
; %bb.28:                               ;   in Loop: Header=BB18_9 Depth=1
	v_mov_b32_e32 v0, v4
	v_cmp_le_u64_e32 vcc, s[8:9], v[0:1]
	s_and_saveexec_b64 s[14:15], vcc
	s_cbranch_execz .LBB18_30
; %bb.29:                               ;   in Loop: Header=BB18_9 Depth=1
	v_cvt_f32_u32_e32 v2, s8
	s_sub_i32 s26, 0, s8
	v_rcp_iflag_f32_e32 v2, v2
	v_mul_f32_e32 v2, 0x4f7ffffe, v2
	v_cvt_u32_f32_e32 v2, v2
	v_mul_lo_u32 v3, s26, v2
	v_mul_hi_u32 v3, v2, v3
	v_add_u32_e32 v2, v2, v3
	v_mul_hi_u32 v2, v0, v2
	v_mul_lo_u32 v2, v2, s8
	v_sub_u32_e32 v0, v0, v2
	v_subrev_u32_e32 v2, s8, v0
	v_cmp_le_u32_e32 vcc, s8, v0
	v_cndmask_b32_e32 v0, v0, v2, vcc
	v_subrev_u32_e32 v2, s8, v0
	v_cmp_le_u32_e32 vcc, s8, v0
	v_cndmask_b32_e32 v0, v0, v2, vcc
.LBB18_30:                              ;   in Loop: Header=BB18_9 Depth=1
	s_or_b64 exec, exec, s[14:15]
	v_add_u32_e32 v2, s25, v43
	v_ashrrev_i32_e32 v3, 31, v2
	v_mov_b32_e32 v4, s13
	v_add_co_u32_e32 v2, vcc, s12, v2
	v_addc_co_u32_e32 v3, vcc, v4, v3, vcc
	v_add_u32_e32 v0, s10, v0
	global_store_short v[2:3], v0, off
.LBB18_31:                              ;   in Loop: Header=BB18_9 Depth=1
	s_or_b64 exec, exec, s[6:7]
	v_mov_b32_e32 v0, s23
	v_add_co_u32_e32 v2, vcc, s22, v16
	v_addc_co_u32_e32 v3, vcc, v0, v17, vcc
	v_cmp_gt_i64_e32 vcc, s[0:1], v[2:3]
	s_and_saveexec_b64 s[6:7], vcc
	s_cbranch_execz .LBB18_8
; %bb.32:                               ;   in Loop: Header=BB18_9 Depth=1
	v_mov_b32_e32 v0, v5
	v_cmp_le_u64_e32 vcc, s[8:9], v[0:1]
	s_and_saveexec_b64 s[14:15], vcc
	s_cbranch_execz .LBB18_7
; %bb.33:                               ;   in Loop: Header=BB18_9 Depth=1
	v_cvt_f32_u32_e32 v2, s8
	s_sub_i32 s26, 0, s8
	v_rcp_iflag_f32_e32 v2, v2
	v_mul_f32_e32 v2, 0x4f7ffffe, v2
	v_cvt_u32_f32_e32 v2, v2
	v_mul_lo_u32 v3, s26, v2
	v_mul_hi_u32 v3, v2, v3
	v_add_u32_e32 v2, v2, v3
	v_mul_hi_u32 v2, v0, v2
	v_mul_lo_u32 v2, v2, s8
	v_sub_u32_e32 v0, v0, v2
	v_subrev_u32_e32 v2, s8, v0
	v_cmp_le_u32_e32 vcc, s8, v0
	v_cndmask_b32_e32 v0, v0, v2, vcc
	v_subrev_u32_e32 v2, s8, v0
	v_cmp_le_u32_e32 vcc, s8, v0
	v_cndmask_b32_e32 v0, v0, v2, vcc
	s_branch .LBB18_7
.LBB18_34:
	s_endpgm
.LBB18_35:
                                        ; implicit-def: $sgpr8_sgpr9
	s_andn2_b64 vcc, exec, s[2:3]
	s_cbranch_vccz .LBB18_4
	s_branch .LBB18_5
	.section	.rodata,"a",@progbits
	.p2align	6, 0x0
	.amdhsa_kernel _ZN2at6native12_GLOBAL__N_143distribution_elementwise_grid_stride_kernelIjLi4EZZZNS0_9templates4cuda21random_from_to_kernelIPNS_17CUDAGeneratorImplEEEvRNS_18TensorIteratorBaseEmlT_ENKUlvE_clEvENKUlvE3_clEvEUlP25hiprandStatePhilox4_32_10E0_ZNS1_27distribution_nullary_kernelIsj15HIP_vector_typeIjLj4EES7_SF_ZZZNS5_IS7_EEvS9_mlSA_ENKSB_clEvENKSC_clEvEUljE_EEvS9_T2_RKT3_T4_EUlijE_EEvlNS_15PhiloxCudaStateET1_SK_
		.amdhsa_group_segment_fixed_size 0
		.amdhsa_private_segment_fixed_size 0
		.amdhsa_kernarg_size 336
		.amdhsa_user_sgpr_count 6
		.amdhsa_user_sgpr_private_segment_buffer 1
		.amdhsa_user_sgpr_dispatch_ptr 0
		.amdhsa_user_sgpr_queue_ptr 0
		.amdhsa_user_sgpr_kernarg_segment_ptr 1
		.amdhsa_user_sgpr_dispatch_id 0
		.amdhsa_user_sgpr_flat_scratch_init 0
		.amdhsa_user_sgpr_kernarg_preload_length 0
		.amdhsa_user_sgpr_kernarg_preload_offset 0
		.amdhsa_user_sgpr_private_segment_size 0
		.amdhsa_uses_dynamic_stack 0
		.amdhsa_system_sgpr_private_segment_wavefront_offset 0
		.amdhsa_system_sgpr_workgroup_id_x 1
		.amdhsa_system_sgpr_workgroup_id_y 0
		.amdhsa_system_sgpr_workgroup_id_z 0
		.amdhsa_system_sgpr_workgroup_info 0
		.amdhsa_system_vgpr_workitem_id 0
		.amdhsa_next_free_vgpr 47
		.amdhsa_next_free_sgpr 27
		.amdhsa_accum_offset 48
		.amdhsa_reserve_vcc 1
		.amdhsa_reserve_flat_scratch 0
		.amdhsa_float_round_mode_32 0
		.amdhsa_float_round_mode_16_64 0
		.amdhsa_float_denorm_mode_32 3
		.amdhsa_float_denorm_mode_16_64 3
		.amdhsa_dx10_clamp 1
		.amdhsa_ieee_mode 1
		.amdhsa_fp16_overflow 0
		.amdhsa_tg_split 0
		.amdhsa_exception_fp_ieee_invalid_op 0
		.amdhsa_exception_fp_denorm_src 0
		.amdhsa_exception_fp_ieee_div_zero 0
		.amdhsa_exception_fp_ieee_overflow 0
		.amdhsa_exception_fp_ieee_underflow 0
		.amdhsa_exception_fp_ieee_inexact 0
		.amdhsa_exception_int_div_zero 0
	.end_amdhsa_kernel
	.section	.text._ZN2at6native12_GLOBAL__N_143distribution_elementwise_grid_stride_kernelIjLi4EZZZNS0_9templates4cuda21random_from_to_kernelIPNS_17CUDAGeneratorImplEEEvRNS_18TensorIteratorBaseEmlT_ENKUlvE_clEvENKUlvE3_clEvEUlP25hiprandStatePhilox4_32_10E0_ZNS1_27distribution_nullary_kernelIsj15HIP_vector_typeIjLj4EES7_SF_ZZZNS5_IS7_EEvS9_mlSA_ENKSB_clEvENKSC_clEvEUljE_EEvS9_T2_RKT3_T4_EUlijE_EEvlNS_15PhiloxCudaStateET1_SK_,"axG",@progbits,_ZN2at6native12_GLOBAL__N_143distribution_elementwise_grid_stride_kernelIjLi4EZZZNS0_9templates4cuda21random_from_to_kernelIPNS_17CUDAGeneratorImplEEEvRNS_18TensorIteratorBaseEmlT_ENKUlvE_clEvENKUlvE3_clEvEUlP25hiprandStatePhilox4_32_10E0_ZNS1_27distribution_nullary_kernelIsj15HIP_vector_typeIjLj4EES7_SF_ZZZNS5_IS7_EEvS9_mlSA_ENKSB_clEvENKSC_clEvEUljE_EEvS9_T2_RKT3_T4_EUlijE_EEvlNS_15PhiloxCudaStateET1_SK_,comdat
.Lfunc_end18:
	.size	_ZN2at6native12_GLOBAL__N_143distribution_elementwise_grid_stride_kernelIjLi4EZZZNS0_9templates4cuda21random_from_to_kernelIPNS_17CUDAGeneratorImplEEEvRNS_18TensorIteratorBaseEmlT_ENKUlvE_clEvENKUlvE3_clEvEUlP25hiprandStatePhilox4_32_10E0_ZNS1_27distribution_nullary_kernelIsj15HIP_vector_typeIjLj4EES7_SF_ZZZNS5_IS7_EEvS9_mlSA_ENKSB_clEvENKSC_clEvEUljE_EEvS9_T2_RKT3_T4_EUlijE_EEvlNS_15PhiloxCudaStateET1_SK_, .Lfunc_end18-_ZN2at6native12_GLOBAL__N_143distribution_elementwise_grid_stride_kernelIjLi4EZZZNS0_9templates4cuda21random_from_to_kernelIPNS_17CUDAGeneratorImplEEEvRNS_18TensorIteratorBaseEmlT_ENKUlvE_clEvENKUlvE3_clEvEUlP25hiprandStatePhilox4_32_10E0_ZNS1_27distribution_nullary_kernelIsj15HIP_vector_typeIjLj4EES7_SF_ZZZNS5_IS7_EEvS9_mlSA_ENKSB_clEvENKSC_clEvEUljE_EEvS9_T2_RKT3_T4_EUlijE_EEvlNS_15PhiloxCudaStateET1_SK_
                                        ; -- End function
	.section	.AMDGPU.csdata,"",@progbits
; Kernel info:
; codeLenInByte = 2796
; NumSgprs: 31
; NumVgprs: 47
; NumAgprs: 0
; TotalNumVgprs: 47
; ScratchSize: 0
; MemoryBound: 0
; FloatMode: 240
; IeeeMode: 1
; LDSByteSize: 0 bytes/workgroup (compile time only)
; SGPRBlocks: 3
; VGPRBlocks: 5
; NumSGPRsForWavesPerEU: 31
; NumVGPRsForWavesPerEU: 47
; AccumOffset: 48
; Occupancy: 8
; WaveLimiterHint : 0
; COMPUTE_PGM_RSRC2:SCRATCH_EN: 0
; COMPUTE_PGM_RSRC2:USER_SGPR: 6
; COMPUTE_PGM_RSRC2:TRAP_HANDLER: 0
; COMPUTE_PGM_RSRC2:TGID_X_EN: 1
; COMPUTE_PGM_RSRC2:TGID_Y_EN: 0
; COMPUTE_PGM_RSRC2:TGID_Z_EN: 0
; COMPUTE_PGM_RSRC2:TIDIG_COMP_CNT: 0
; COMPUTE_PGM_RSRC3_GFX90A:ACCUM_OFFSET: 11
; COMPUTE_PGM_RSRC3_GFX90A:TG_SPLIT: 0
	.section	.text._ZN2at6native12_GLOBAL__N_143distribution_elementwise_grid_stride_kernelIjLi4EZZZNS0_9templates4cuda21random_from_to_kernelIPNS_17CUDAGeneratorImplEEEvRNS_18TensorIteratorBaseEmlT_ENKUlvE_clEvENKUlvE3_clEvEUlP25hiprandStatePhilox4_32_10E0_ZNS1_27distribution_nullary_kernelIsj15HIP_vector_typeIjLj4EES7_SF_ZZZNS5_IS7_EEvS9_mlSA_ENKSB_clEvENKSC_clEvEUljE_EEvS9_T2_RKT3_T4_EUlijE0_EEvlNS_15PhiloxCudaStateET1_SK_,"axG",@progbits,_ZN2at6native12_GLOBAL__N_143distribution_elementwise_grid_stride_kernelIjLi4EZZZNS0_9templates4cuda21random_from_to_kernelIPNS_17CUDAGeneratorImplEEEvRNS_18TensorIteratorBaseEmlT_ENKUlvE_clEvENKUlvE3_clEvEUlP25hiprandStatePhilox4_32_10E0_ZNS1_27distribution_nullary_kernelIsj15HIP_vector_typeIjLj4EES7_SF_ZZZNS5_IS7_EEvS9_mlSA_ENKSB_clEvENKSC_clEvEUljE_EEvS9_T2_RKT3_T4_EUlijE0_EEvlNS_15PhiloxCudaStateET1_SK_,comdat
	.globl	_ZN2at6native12_GLOBAL__N_143distribution_elementwise_grid_stride_kernelIjLi4EZZZNS0_9templates4cuda21random_from_to_kernelIPNS_17CUDAGeneratorImplEEEvRNS_18TensorIteratorBaseEmlT_ENKUlvE_clEvENKUlvE3_clEvEUlP25hiprandStatePhilox4_32_10E0_ZNS1_27distribution_nullary_kernelIsj15HIP_vector_typeIjLj4EES7_SF_ZZZNS5_IS7_EEvS9_mlSA_ENKSB_clEvENKSC_clEvEUljE_EEvS9_T2_RKT3_T4_EUlijE0_EEvlNS_15PhiloxCudaStateET1_SK_ ; -- Begin function _ZN2at6native12_GLOBAL__N_143distribution_elementwise_grid_stride_kernelIjLi4EZZZNS0_9templates4cuda21random_from_to_kernelIPNS_17CUDAGeneratorImplEEEvRNS_18TensorIteratorBaseEmlT_ENKUlvE_clEvENKUlvE3_clEvEUlP25hiprandStatePhilox4_32_10E0_ZNS1_27distribution_nullary_kernelIsj15HIP_vector_typeIjLj4EES7_SF_ZZZNS5_IS7_EEvS9_mlSA_ENKSB_clEvENKSC_clEvEUljE_EEvS9_T2_RKT3_T4_EUlijE0_EEvlNS_15PhiloxCudaStateET1_SK_
	.p2align	8
	.type	_ZN2at6native12_GLOBAL__N_143distribution_elementwise_grid_stride_kernelIjLi4EZZZNS0_9templates4cuda21random_from_to_kernelIPNS_17CUDAGeneratorImplEEEvRNS_18TensorIteratorBaseEmlT_ENKUlvE_clEvENKUlvE3_clEvEUlP25hiprandStatePhilox4_32_10E0_ZNS1_27distribution_nullary_kernelIsj15HIP_vector_typeIjLj4EES7_SF_ZZZNS5_IS7_EEvS9_mlSA_ENKSB_clEvENKSC_clEvEUljE_EEvS9_T2_RKT3_T4_EUlijE0_EEvlNS_15PhiloxCudaStateET1_SK_,@function
_ZN2at6native12_GLOBAL__N_143distribution_elementwise_grid_stride_kernelIjLi4EZZZNS0_9templates4cuda21random_from_to_kernelIPNS_17CUDAGeneratorImplEEEvRNS_18TensorIteratorBaseEmlT_ENKUlvE_clEvENKUlvE3_clEvEUlP25hiprandStatePhilox4_32_10E0_ZNS1_27distribution_nullary_kernelIsj15HIP_vector_typeIjLj4EES7_SF_ZZZNS5_IS7_EEvS9_mlSA_ENKSB_clEvENKSC_clEvEUljE_EEvS9_T2_RKT3_T4_EUlijE0_EEvlNS_15PhiloxCudaStateET1_SK_: ; @_ZN2at6native12_GLOBAL__N_143distribution_elementwise_grid_stride_kernelIjLi4EZZZNS0_9templates4cuda21random_from_to_kernelIPNS_17CUDAGeneratorImplEEEvRNS_18TensorIteratorBaseEmlT_ENKUlvE_clEvENKUlvE3_clEvEUlP25hiprandStatePhilox4_32_10E0_ZNS1_27distribution_nullary_kernelIsj15HIP_vector_typeIjLj4EES7_SF_ZZZNS5_IS7_EEvS9_mlSA_ENKSB_clEvENKSC_clEvEUljE_EEvS9_T2_RKT3_T4_EUlijE0_EEvlNS_15PhiloxCudaStateET1_SK_
; %bb.0:
	s_load_dword s2, s[4:5], 0x20
	s_load_dwordx2 s[0:1], s[4:5], 0x10
	s_load_dwordx4 s[24:27], s[4:5], 0x0
	s_waitcnt lgkmcnt(0)
	s_bitcmp0_b32 s2, 0
	s_mov_b32 s2, 0
	v_pk_mov_b32 v[2:3], s[0:1], s[0:1] op_sel:[0,1]
	v_pk_mov_b32 v[14:15], s[26:27], s[26:27] op_sel:[0,1]
	s_cbranch_scc1 .LBB19_2
; %bb.1:
	v_pk_mov_b32 v[2:3], s[0:1], s[0:1] op_sel:[0,1]
	flat_load_dwordx2 v[2:3], v[2:3]
	v_pk_mov_b32 v[4:5], s[26:27], s[26:27] op_sel:[0,1]
	flat_load_dwordx2 v[14:15], v[4:5]
	s_load_dwordx2 s[0:1], s[4:5], 0x18
	s_waitcnt lgkmcnt(0)
	v_mov_b32_e32 v1, s1
	s_waitcnt vmcnt(0)
	v_add_co_u32_e32 v2, vcc, s0, v2
	v_addc_co_u32_e32 v3, vcc, v3, v1, vcc
.LBB19_2:
	s_load_dword s0, s[4:5], 0x15c
	s_load_dword s7, s[4:5], 0x150
	s_waitcnt lgkmcnt(0)
	s_and_b32 s8, s0, 0xffff
	s_add_u32 s9, s24, -1
	s_mul_i32 s33, s7, s8
	s_addc_u32 s3, s25, -1
	s_lshl_b32 s62, s33, 2
	s_cmp_lg_u64 s[2:3], 0
	s_mov_b64 s[0:1], -1
	s_cbranch_scc0 .LBB19_91
; %bb.3:
	v_cvt_f32_u32_e32 v1, s62
	v_cvt_f32_ubyte0_e32 v4, 0
	s_sub_u32 s2, 0, s62
	s_subb_u32 s10, 0, 0
	v_madmk_f32 v1, v4, 0x4f800000, v1
	v_rcp_f32_e32 v1, v1
	v_mul_f32_e32 v1, 0x5f7ffffc, v1
	v_mul_f32_e32 v4, 0x2f800000, v1
	v_trunc_f32_e32 v4, v4
	v_madmk_f32 v1, v4, 0xcf800000, v1
	v_cvt_u32_f32_e32 v4, v4
	v_cvt_u32_f32_e32 v1, v1
	v_readfirstlane_b32 s11, v4
	v_readfirstlane_b32 s12, v1
	s_mul_i32 s13, s2, s11
	s_mul_hi_u32 s15, s2, s12
	s_mul_i32 s14, s10, s12
	s_add_i32 s13, s15, s13
	s_add_i32 s13, s13, s14
	s_mul_i32 s16, s2, s12
	s_mul_hi_u32 s14, s12, s13
	s_mul_i32 s15, s12, s13
	s_mul_hi_u32 s12, s12, s16
	s_add_u32 s12, s12, s15
	s_addc_u32 s14, 0, s14
	s_mul_hi_u32 s17, s11, s16
	s_mul_i32 s16, s11, s16
	s_add_u32 s12, s12, s16
	s_mul_hi_u32 s15, s11, s13
	s_addc_u32 s12, s14, s17
	s_addc_u32 s14, s15, 0
	s_mul_i32 s13, s11, s13
	s_add_u32 s12, s12, s13
	s_addc_u32 s13, 0, s14
	v_add_co_u32_e32 v1, vcc, s12, v1
	s_cmp_lg_u64 vcc, 0
	s_addc_u32 s11, s11, s13
	v_readfirstlane_b32 s13, v1
	s_mul_i32 s12, s2, s11
	s_mul_hi_u32 s14, s2, s13
	s_add_i32 s12, s14, s12
	s_mul_i32 s10, s10, s13
	s_add_i32 s12, s12, s10
	s_mul_i32 s2, s2, s13
	s_mul_hi_u32 s14, s11, s2
	s_mul_i32 s15, s11, s2
	s_mul_i32 s17, s13, s12
	s_mul_hi_u32 s2, s13, s2
	s_mul_hi_u32 s16, s13, s12
	s_add_u32 s2, s2, s17
	s_addc_u32 s13, 0, s16
	s_add_u32 s2, s2, s15
	s_mul_hi_u32 s10, s11, s12
	s_addc_u32 s2, s13, s14
	s_addc_u32 s10, s10, 0
	s_mul_i32 s12, s11, s12
	s_add_u32 s2, s2, s12
	s_addc_u32 s10, 0, s10
	v_add_co_u32_e32 v1, vcc, s2, v1
	s_cmp_lg_u64 vcc, 0
	s_addc_u32 s12, s11, s10
	s_ashr_i32 s10, s3, 31
	s_add_u32 s2, s9, s10
	s_mov_b32 s11, s10
	s_addc_u32 s3, s3, s10
	s_xor_b64 s[2:3], s[2:3], s[10:11]
	v_readfirstlane_b32 s15, v1
	s_mul_i32 s14, s2, s12
	s_mul_hi_u32 s16, s2, s15
	s_mul_hi_u32 s13, s2, s12
	s_add_u32 s14, s16, s14
	s_addc_u32 s13, 0, s13
	s_mul_hi_u32 s17, s3, s15
	s_mul_i32 s15, s3, s15
	s_add_u32 s14, s14, s15
	s_mul_hi_u32 s16, s3, s12
	s_addc_u32 s13, s13, s17
	s_addc_u32 s14, s16, 0
	s_mul_i32 s12, s3, s12
	s_add_u32 s12, s13, s12
	s_addc_u32 s13, 0, s14
	s_add_u32 s14, s12, 1
	s_addc_u32 s15, s13, 0
	s_add_u32 s16, s12, 2
	s_mul_i32 s18, s62, s13
	s_mul_hi_u32 s19, s62, s12
	s_addc_u32 s17, s13, 0
	s_add_i32 s19, s19, s18
	s_mul_i32 s18, s62, s12
	v_mov_b32_e32 v1, s18
	v_sub_co_u32_e32 v1, vcc, s2, v1
	s_cmp_lg_u64 vcc, 0
	s_subb_u32 s2, s3, s19
	v_subrev_co_u32_e32 v4, vcc, s62, v1
	s_cmp_lg_u64 vcc, 0
	s_subb_u32 s3, s2, 0
	v_readfirstlane_b32 s18, v4
	s_cmp_ge_u32 s18, s62
	s_cselect_b32 s18, -1, 0
	s_cmp_eq_u32 s3, 0
	s_cselect_b32 s3, s18, -1
	s_cmp_lg_u32 s3, 0
	s_cselect_b32 s3, s17, s15
	v_readfirstlane_b32 s15, v1
	s_cselect_b32 s14, s16, s14
	s_cmp_ge_u32 s15, s62
	s_cselect_b32 s15, -1, 0
	s_cmp_eq_u32 s2, 0
	s_cselect_b32 s2, s15, -1
	s_cmp_lg_u32 s2, 0
	s_cselect_b32 s3, s3, s13
	s_cselect_b32 s2, s14, s12
	s_xor_b64 s[2:3], s[2:3], s[10:11]
	s_sub_u32 s2, s2, s10
	s_subb_u32 s3, s3, s10
	s_cbranch_execnz .LBB19_5
.LBB19_4:
	v_cvt_f32_u32_e32 v1, s62
	s_sub_i32 s0, 0, s62
	s_mov_b32 s3, 0
	v_rcp_iflag_f32_e32 v1, v1
	v_mul_f32_e32 v1, 0x4f7ffffe, v1
	v_cvt_u32_f32_e32 v1, v1
	v_readfirstlane_b32 s1, v1
	s_mul_i32 s0, s0, s1
	s_mul_hi_u32 s0, s1, s0
	s_add_i32 s1, s1, s0
	s_mul_hi_u32 s0, s9, s1
	s_mul_i32 s2, s0, s62
	s_sub_i32 s2, s9, s2
	s_add_i32 s1, s0, 1
	s_sub_i32 s9, s2, s62
	s_cmp_ge_u32 s2, s62
	s_cselect_b32 s0, s1, s0
	s_cselect_b32 s2, s9, s2
	s_add_i32 s1, s0, 1
	s_cmp_ge_u32 s2, s62
	s_cselect_b32 s2, s1, s0
.LBB19_5:
	v_mov_b32_e32 v1, 0
	v_mov_b32_e32 v4, s6
	v_mad_u64_u32 v[16:17], s[0:1], s8, v4, v[0:1]
	s_add_u32 s0, s2, 1
	s_addc_u32 s1, s3, 0
	s_mul_hi_u32 s2, s7, s8
	s_mul_i32 s1, s33, s1
	s_mul_hi_u32 s3, s33, s0
	s_add_i32 s1, s3, s1
	s_mul_i32 s2, s2, s0
	s_add_i32 s1, s1, s2
	s_mul_i32 s0, s33, s0
	s_lshl_b64 s[26:27], s[0:1], 2
	v_cmp_gt_i64_e32 vcc, s[26:27], v[16:17]
	s_and_saveexec_b64 s[0:1], vcc
	s_cbranch_execz .LBB19_90
; %bb.6:
	s_mov_b32 s0, 0x5384540f
	v_mov_b32_e32 v0, v15
	v_add_co_u32_e32 v24, vcc, s0, v14
	s_mov_b32 s0, 0x646e171e
	v_add_co_u32_e32 v25, vcc, s0, v0
	s_mov_b32 s0, 0x1715609d
	;; [unrolled: 2-line block ×6, first 2 shown]
	v_alignbit_b32 v31, v3, v2, 2
	s_mov_b32 s64, 0xd2511f53
	v_add_co_u32_e32 v30, vcc, s0, v14
	v_mad_u64_u32 v[4:5], s[0:1], v31, s64, 0
	v_and_b32_e32 v20, 3, v2
	v_xor_b32_e32 v2, v5, v15
	v_xor_b32_e32 v2, v2, v17
	s_mov_b32 s65, 0xcd9e8d57
	v_mad_u64_u32 v[6:7], s[0:1], v2, s65, 0
	v_xor_b32_e32 v2, v30, v7
	v_mad_u64_u32 v[8:9], s[0:1], v16, s65, 0
	v_xor_b32_e32 v2, v2, v8
	v_mad_u64_u32 v[10:11], s[0:1], v2, s64, 0
	v_xor_b32_e32 v2, v14, v9
	v_lshrrev_b32_e32 v32, 2, v3
	v_xor_b32_e32 v2, v2, v32
	v_xor_b32_e32 v5, v29, v11
	v_mad_u64_u32 v[2:3], s[0:1], v2, s64, 0
	v_xor_b32_e32 v2, v5, v2
	v_mad_u64_u32 v[8:9], s[0:1], v2, s65, 0
	s_mov_b32 s0, 0xbb67ae85
	v_add_co_u32_e32 v33, vcc, s0, v0
	v_xor_b32_e32 v2, v33, v3
	v_xor_b32_e32 v2, v2, v4
	v_xor_b32_e32 v5, v28, v9
	v_mad_u64_u32 v[2:3], s[0:1], v2, s65, 0
	v_xor_b32_e32 v2, v5, v2
	v_mad_u64_u32 v[4:5], s[0:1], v2, s64, 0
	s_mov_b32 s0, 0x3c6ef372
	v_add_co_u32_e32 v34, vcc, s0, v14
	v_xor_b32_e32 v2, v34, v3
	;; [unrolled: 8-line block ×6, first 2 shown]
	v_add_co_u32_e32 v23, vcc, 0xdb3d7428, v0
	v_xor_b32_e32 v2, v2, v6
	v_xor_b32_e32 v5, v23, v5
	v_mad_u64_u32 v[2:3], s[0:1], v2, s64, 0
	v_xor_b32_e32 v2, v5, v2
	v_mad_u64_u32 v[6:7], s[0:1], v2, s65, 0
	s_mov_b32 s0, 0x1fd5c5a3
	v_add_co_u32_e32 v39, vcc, s0, v0
	v_xor_b32_e32 v0, v39, v3
	v_xor_b32_e32 v0, v0, v10
	v_mad_u64_u32 v[2:3], s[0:1], v0, s65, 0
	s_mov_b32 s0, 0xf1bbcdc8
	s_load_dwordx8 s[8:15], s[4:5], 0x30
	v_add_u32_e32 v21, 0x8ff34781, v14
	v_xor_b32_e32 v0, v7, v2
	v_add_co_u32_e32 v40, vcc, s0, v14
	v_xor_b32_e32 v2, v21, v0
	v_xor_b32_e32 v0, v40, v3
	;; [unrolled: 1-line block ×3, first 2 shown]
	s_add_u32 s34, s4, 48
	v_mad_u64_u32 v[8:9], s[0:1], v0, s64, 0
	s_addc_u32 s35, s5, 0
	s_waitcnt lgkmcnt(0)
	s_add_i32 s0, s8, -1
	s_cmp_gt_u32 s0, 1
	s_cselect_b64 s[40:41], -1, 0
	s_cmp_lg_u32 s8, 0
	s_cselect_b64 s[42:43], -1, 0
	s_add_u32 s44, s4, 0xf4
	s_addc_u32 s45, s5, 0
	s_min_u32 s1, s0, 15
	s_cmp_gt_u32 s8, 1
	s_cselect_b64 s[46:47], -1, 0
	s_load_dwordx2 s[48:49], s[4:5], 0x148
	s_load_dwordx2 s[50:51], s[4:5], 0xf4
	s_load_dwordx4 s[28:31], s[4:5], 0x138
	s_add_i32 s1, s1, 1
	s_mov_b32 s8, s13
	s_lshl_b32 s13, s33, 1
	s_and_b32 s67, s1, 3
	s_cmp_lg_u32 s0, 2
	s_cselect_b64 s[52:53], -1, 0
	s_and_b32 s68, s1, 28
	s_mov_b32 s63, 0
	v_add_u32_e32 v22, 0x96a522ad, v15
	v_xor_b32_e32 v0, v9, v4
	s_cmp_lg_u32 s67, 0
	v_xor_b32_e32 v4, v22, v0
	v_mov_b32_e32 v3, v6
	v_mov_b32_e32 v5, v8
	s_mov_b32 s15, s63
	s_waitcnt lgkmcnt(0)
	s_mul_i32 s49, s33, 3
	s_mov_b32 s66, s63
	s_mov_b64 s[54:55], 0
	s_cselect_b64 s[56:57], -1, 0
	v_mov_b32_e32 v41, v16
	v_mov_b32_e32 v42, v17
	s_branch .LBB19_9
.LBB19_7:                               ;   in Loop: Header=BB19_9 Depth=1
	s_or_b64 exec, exec, s[0:1]
	v_add_u32_e32 v0, s48, v0
	global_store_short v2, v0, s[28:29]
.LBB19_8:                               ;   in Loop: Header=BB19_9 Depth=1
	s_or_b64 exec, exec, s[36:37]
	v_add_co_u32_e32 v16, vcc, s62, v16
	v_addc_co_u32_e32 v17, vcc, 0, v17, vcc
	v_mov_b32_e32 v9, v18
	v_cmp_le_i64_e32 vcc, s[26:27], v[16:17]
	v_pk_mov_b32 v[2:3], v[6:7], v[6:7] op_sel:[0,1]
	s_or_b64 s[54:55], vcc, s[54:55]
	v_pk_mov_b32 v[4:5], v[8:9], v[8:9] op_sel:[0,1]
	s_barrier
	s_andn2_b64 exec, exec, s[54:55]
	s_cbranch_execz .LBB19_90
.LBB19_9:                               ; =>This Loop Header: Depth=1
                                        ;     Child Loop BB19_24 Depth 2
                                        ;     Child Loop BB19_30 Depth 2
	;; [unrolled: 1-line block ×8, first 2 shown]
	v_add_co_u32_e32 v31, vcc, 1, v31
	v_cndmask_b32_e64 v0, 0, 1, vcc
	v_addc_co_u32_e32 v32, vcc, 0, v32, vcc
	v_cmp_eq_u32_e32 vcc, 0, v32
	v_cndmask_b32_e32 v0, 0, v0, vcc
	v_add_u32_e32 v41, v0, v41
	v_cmp_eq_u32_e32 vcc, 0, v41
	v_cndmask_b32_e32 v0, 0, v0, vcc
	v_mad_u64_u32 v[6:7], s[0:1], v31, s64, 0
	v_mad_u64_u32 v[8:9], s[0:1], v41, s65, 0
	v_add_u32_e32 v42, v0, v42
	v_xor_b32_e32 v0, v9, v14
	v_xor_b32_e32 v7, v7, v15
	v_xor_b32_e32 v0, v32, v0
	v_xor_b32_e32 v7, v42, v7
	v_mad_u64_u32 v[10:11], s[0:1], v0, s64, 0
	v_mad_u64_u32 v[12:13], s[0:1], v7, s65, 0
	v_xor_b32_e32 v0, v30, v13
	v_xor_b32_e32 v7, v33, v11
	v_xor_b32_e32 v0, v0, v8
	v_xor_b32_e32 v8, v7, v6
	v_mad_u64_u32 v[6:7], s[0:1], v0, s64, 0
	v_mad_u64_u32 v[8:9], s[0:1], v8, s65, 0
	;; [unrolled: 6-line block ×9, first 2 shown]
	v_xor_b32_e32 v0, v13, v6
	v_xor_b32_e32 v6, v21, v0
	;; [unrolled: 1-line block ×4, first 2 shown]
	v_mov_b32_e32 v7, v12
	v_mov_b32_e32 v8, v13
	v_cmp_lt_i32_e32 vcc, 1, v20
	s_and_saveexec_b64 s[0:1], vcc
	s_xor_b64 s[0:1], exec, s[0:1]
	s_cbranch_execz .LBB19_15
; %bb.10:                               ;   in Loop: Header=BB19_9 Depth=1
	v_cmp_lt_i32_e32 vcc, 2, v20
	s_and_saveexec_b64 s[2:3], vcc
	s_xor_b64 s[2:3], exec, s[2:3]
; %bb.11:                               ;   in Loop: Header=BB19_9 Depth=1
	v_mov_b32_e32 v10, v5
	v_mov_b32_e32 v11, v6
	v_pk_mov_b32 v[2:3], v[10:11], v[10:11] op_sel:[0,1]
	v_pk_mov_b32 v[4:5], v[12:13], v[12:13] op_sel:[0,1]
                                        ; implicit-def: $vgpr12_vgpr13
; %bb.12:                               ;   in Loop: Header=BB19_9 Depth=1
	s_andn2_saveexec_b64 s[2:3], s[2:3]
; %bb.13:                               ;   in Loop: Header=BB19_9 Depth=1
	v_mov_b32_e32 v2, v4
	v_mov_b32_e32 v3, v5
	;; [unrolled: 1-line block ×4, first 2 shown]
; %bb.14:                               ;   in Loop: Header=BB19_9 Depth=1
	s_or_b64 exec, exec, s[2:3]
.LBB19_15:                              ;   in Loop: Header=BB19_9 Depth=1
	s_andn2_saveexec_b64 s[0:1], s[0:1]
	s_cbranch_execz .LBB19_19
; %bb.16:                               ;   in Loop: Header=BB19_9 Depth=1
	v_cmp_eq_u32_e32 vcc, 1, v20
	s_and_saveexec_b64 s[2:3], vcc
; %bb.17:                               ;   in Loop: Header=BB19_9 Depth=1
	v_mov_b32_e32 v2, v3
	v_mov_b32_e32 v3, v4
	;; [unrolled: 1-line block ×4, first 2 shown]
; %bb.18:                               ;   in Loop: Header=BB19_9 Depth=1
	s_or_b64 exec, exec, s[2:3]
.LBB19_19:                              ;   in Loop: Header=BB19_9 Depth=1
	s_or_b64 exec, exec, s[0:1]
	v_cndmask_b32_e64 v0, 0, 1, s[40:41]
	v_cmp_gt_i64_e32 vcc, s[24:25], v[16:17]
	v_cmp_ne_u32_e64 s[0:1], 1, v0
	s_and_saveexec_b64 s[2:3], vcc
	s_cbranch_execz .LBB19_37
; %bb.20:                               ;   in Loop: Header=BB19_9 Depth=1
	s_and_b64 vcc, exec, s[0:1]
	s_cbranch_vccnz .LBB19_26
; %bb.21:                               ;   in Loop: Header=BB19_9 Depth=1
	s_andn2_b64 vcc, exec, s[42:43]
	s_cbranch_vccnz .LBB19_27
; %bb.22:                               ;   in Loop: Header=BB19_9 Depth=1
	s_mov_b32 s6, 0
	s_andn2_b64 vcc, exec, s[52:53]
	v_mov_b32_e32 v10, 0
	s_cbranch_vccnz .LBB19_28
; %bb.23:                               ;   in Loop: Header=BB19_9 Depth=1
	s_mov_b32 s69, 0
	v_mov_b32_e32 v10, 0
	s_mov_b64 s[58:59], s[34:35]
	s_mov_b64 s[60:61], s[44:45]
	v_mov_b32_e32 v0, v16
.LBB19_24:                              ;   Parent Loop BB19_9 Depth=1
                                        ; =>  This Inner Loop Header: Depth=2
	s_load_dwordx8 s[16:23], s[58:59], 0x4
	s_load_dwordx4 s[4:7], s[58:59], 0x24
	s_load_dwordx4 s[36:39], s[60:61], 0x0
	s_add_u32 s58, s58, 48
	s_addc_u32 s59, s59, 0
	s_waitcnt lgkmcnt(0)
	v_mul_hi_u32 v9, s17, v0
	v_add_u32_e32 v9, v0, v9
	v_lshrrev_b32_e32 v9, s18, v9
	v_mul_lo_u32 v11, v9, s16
	v_mul_hi_u32 v12, s20, v9
	v_sub_u32_e32 v0, v0, v11
	v_add_u32_e32 v11, v9, v12
	v_lshrrev_b32_e32 v11, s21, v11
	v_mul_lo_u32 v12, v11, s19
	v_mul_hi_u32 v13, s23, v11
	v_sub_u32_e32 v9, v9, v12
	v_add_u32_e32 v12, v11, v13
	v_mul_lo_u32 v0, v0, s36
	v_mul_lo_u32 v9, v9, s37
	v_lshrrev_b32_e32 v12, s4, v12
	v_add3_u32 v9, v0, v10, v9
	v_mul_lo_u32 v0, v12, s22
	v_mul_hi_u32 v10, s6, v12
	v_sub_u32_e32 v0, v11, v0
	v_add_u32_e32 v10, v12, v10
	v_mul_lo_u32 v11, v0, s38
	v_lshrrev_b32_e32 v0, s7, v10
	s_add_i32 s69, s69, 4
	v_mul_lo_u32 v10, v0, s5
	s_add_u32 s60, s60, 16
	v_sub_u32_e32 v10, v12, v10
	s_addc_u32 s61, s61, 0
	v_mul_lo_u32 v10, v10, s39
	s_cmp_lg_u32 s68, s69
	v_add3_u32 v10, v11, v9, v10
	s_cbranch_scc1 .LBB19_24
; %bb.25:                               ;   in Loop: Header=BB19_9 Depth=1
	s_mov_b32 s6, s68
	s_andn2_b64 vcc, exec, s[56:57]
	s_cbranch_vccz .LBB19_29
	s_branch .LBB19_31
.LBB19_26:                              ;   in Loop: Header=BB19_9 Depth=1
                                        ; implicit-def: $vgpr10
	s_branch .LBB19_32
.LBB19_27:                              ;   in Loop: Header=BB19_9 Depth=1
	v_mov_b32_e32 v10, 0
	s_branch .LBB19_31
.LBB19_28:                              ;   in Loop: Header=BB19_9 Depth=1
	v_mov_b32_e32 v0, v16
	s_andn2_b64 vcc, exec, s[56:57]
	s_cbranch_vccnz .LBB19_31
.LBB19_29:                              ;   in Loop: Header=BB19_9 Depth=1
	s_lshl_b32 s4, s6, 2
	s_add_u32 s4, s44, s4
	s_addc_u32 s5, s45, 0
	s_mul_i32 s6, s6, 12
	s_add_u32 s6, s34, s6
	s_addc_u32 s7, s35, 0
	s_mov_b32 s16, s67
.LBB19_30:                              ;   Parent Loop BB19_9 Depth=1
                                        ; =>  This Inner Loop Header: Depth=2
	s_load_dwordx2 s[18:19], s[6:7], 0x4
	s_load_dword s17, s[6:7], 0xc
	s_load_dword s20, s[4:5], 0x0
	s_add_u32 s6, s6, 12
	s_addc_u32 s7, s7, 0
	s_waitcnt lgkmcnt(0)
	v_mul_hi_u32 v9, s19, v0
	v_add_u32_e32 v9, v0, v9
	v_lshrrev_b32_e32 v9, s17, v9
	s_add_u32 s4, s4, 4
	v_mul_lo_u32 v11, v9, s18
	s_addc_u32 s5, s5, 0
	s_add_i32 s16, s16, -1
	v_sub_u32_e32 v11, v0, v11
	s_cmp_lg_u32 s16, 0
	v_mov_b32_e32 v0, v9
	v_mad_u64_u32 v[10:11], s[18:19], v11, s20, v[10:11]
	s_cbranch_scc1 .LBB19_30
.LBB19_31:                              ;   in Loop: Header=BB19_9 Depth=1
	s_cbranch_execnz .LBB19_34
.LBB19_32:                              ;   in Loop: Header=BB19_9 Depth=1
	v_mul_hi_u32 v0, v16, s10
	v_add_u32_e32 v0, v0, v16
	v_lshrrev_b32_e32 v0, s11, v0
	v_mul_lo_u32 v9, v0, s9
	v_sub_u32_e32 v9, v16, v9
	s_andn2_b64 vcc, exec, s[46:47]
	v_mul_lo_u32 v10, v9, s50
	s_cbranch_vccnz .LBB19_34
; %bb.33:                               ;   in Loop: Header=BB19_9 Depth=1
	v_mul_hi_u32 v9, s8, v0
	v_add_u32_e32 v9, v0, v9
	v_lshrrev_b32_e32 v9, s14, v9
	v_mul_lo_u32 v9, v9, s12
	v_sub_u32_e32 v0, v0, v9
	v_mad_u64_u32 v[10:11], s[4:5], v0, s51, v[10:11]
.LBB19_34:                              ;   in Loop: Header=BB19_9 Depth=1
	v_mov_b32_e32 v0, v2
	v_cmp_le_u64_e32 vcc, s[30:31], v[0:1]
	s_and_saveexec_b64 s[4:5], vcc
	s_cbranch_execz .LBB19_36
; %bb.35:                               ;   in Loop: Header=BB19_9 Depth=1
	v_cvt_f32_u32_e32 v2, s30
	s_sub_i32 s6, 0, s30
	v_rcp_iflag_f32_e32 v2, v2
	v_mul_f32_e32 v2, 0x4f7ffffe, v2
	v_cvt_u32_f32_e32 v2, v2
	v_mul_lo_u32 v9, s6, v2
	v_mul_hi_u32 v9, v2, v9
	v_add_u32_e32 v2, v2, v9
	v_mul_hi_u32 v2, v0, v2
	v_mul_lo_u32 v2, v2, s30
	v_sub_u32_e32 v0, v0, v2
	v_subrev_u32_e32 v2, s30, v0
	v_cmp_le_u32_e32 vcc, s30, v0
	v_cndmask_b32_e32 v0, v0, v2, vcc
	v_subrev_u32_e32 v2, s30, v0
	v_cmp_le_u32_e32 vcc, s30, v0
	v_cndmask_b32_e32 v0, v0, v2, vcc
.LBB19_36:                              ;   in Loop: Header=BB19_9 Depth=1
	s_or_b64 exec, exec, s[4:5]
	v_add_u32_e32 v0, s48, v0
	global_store_short v10, v0, s[28:29]
.LBB19_37:                              ;   in Loop: Header=BB19_9 Depth=1
	s_or_b64 exec, exec, s[2:3]
	v_mov_b32_e32 v0, s63
	v_add_co_u32_e32 v12, vcc, s33, v16
	v_addc_co_u32_e32 v13, vcc, v17, v0, vcc
	v_cmp_gt_i64_e32 vcc, s[24:25], v[12:13]
	s_and_saveexec_b64 s[2:3], vcc
	s_cbranch_execz .LBB19_55
; %bb.38:                               ;   in Loop: Header=BB19_9 Depth=1
	s_and_b64 vcc, exec, s[0:1]
	s_cbranch_vccnz .LBB19_44
; %bb.39:                               ;   in Loop: Header=BB19_9 Depth=1
	s_andn2_b64 vcc, exec, s[42:43]
	s_cbranch_vccnz .LBB19_45
; %bb.40:                               ;   in Loop: Header=BB19_9 Depth=1
	s_mov_b32 s6, 0
	s_andn2_b64 vcc, exec, s[52:53]
	v_mov_b32_e32 v10, 0
	s_cbranch_vccnz .LBB19_46
; %bb.41:                               ;   in Loop: Header=BB19_9 Depth=1
	s_mov_b32 s69, 0
	v_mov_b32_e32 v10, 0
	s_mov_b64 s[58:59], s[34:35]
	s_mov_b64 s[60:61], s[44:45]
	v_mov_b32_e32 v0, v12
.LBB19_42:                              ;   Parent Loop BB19_9 Depth=1
                                        ; =>  This Inner Loop Header: Depth=2
	s_load_dwordx8 s[16:23], s[58:59], 0x4
	s_load_dwordx4 s[4:7], s[58:59], 0x24
	s_load_dwordx4 s[36:39], s[60:61], 0x0
	s_add_u32 s58, s58, 48
	s_addc_u32 s59, s59, 0
	s_waitcnt lgkmcnt(0)
	v_mul_hi_u32 v2, s17, v0
	v_add_u32_e32 v2, v0, v2
	v_lshrrev_b32_e32 v2, s18, v2
	v_mul_lo_u32 v9, v2, s16
	v_mul_hi_u32 v11, s20, v2
	v_sub_u32_e32 v0, v0, v9
	v_add_u32_e32 v9, v2, v11
	v_lshrrev_b32_e32 v9, s21, v9
	v_mul_lo_u32 v11, v9, s19
	v_mul_hi_u32 v13, s23, v9
	v_sub_u32_e32 v2, v2, v11
	v_add_u32_e32 v11, v9, v13
	v_mul_lo_u32 v0, v0, s36
	v_mul_lo_u32 v2, v2, s37
	v_lshrrev_b32_e32 v11, s4, v11
	v_add3_u32 v2, v0, v10, v2
	v_mul_lo_u32 v0, v11, s22
	v_mul_hi_u32 v10, s6, v11
	v_sub_u32_e32 v0, v9, v0
	v_add_u32_e32 v9, v11, v10
	v_mul_lo_u32 v10, v0, s38
	v_lshrrev_b32_e32 v0, s7, v9
	s_add_i32 s69, s69, 4
	v_mul_lo_u32 v9, v0, s5
	s_add_u32 s60, s60, 16
	v_sub_u32_e32 v9, v11, v9
	s_addc_u32 s61, s61, 0
	v_mul_lo_u32 v9, v9, s39
	s_cmp_eq_u32 s68, s69
	v_add3_u32 v10, v10, v2, v9
	s_cbranch_scc0 .LBB19_42
; %bb.43:                               ;   in Loop: Header=BB19_9 Depth=1
	s_mov_b32 s6, s68
	s_andn2_b64 vcc, exec, s[56:57]
	s_cbranch_vccz .LBB19_47
	s_branch .LBB19_49
.LBB19_44:                              ;   in Loop: Header=BB19_9 Depth=1
                                        ; implicit-def: $vgpr10
	s_branch .LBB19_50
.LBB19_45:                              ;   in Loop: Header=BB19_9 Depth=1
	v_mov_b32_e32 v10, 0
	s_branch .LBB19_49
.LBB19_46:                              ;   in Loop: Header=BB19_9 Depth=1
	v_mov_b32_e32 v0, v12
	s_andn2_b64 vcc, exec, s[56:57]
	s_cbranch_vccnz .LBB19_49
.LBB19_47:                              ;   in Loop: Header=BB19_9 Depth=1
	s_lshl_b32 s4, s6, 2
	s_add_u32 s4, s44, s4
	s_addc_u32 s5, s45, 0
	s_mul_i32 s6, s6, 12
	s_add_u32 s6, s34, s6
	s_addc_u32 s7, s35, 0
	s_mov_b32 s16, s67
.LBB19_48:                              ;   Parent Loop BB19_9 Depth=1
                                        ; =>  This Inner Loop Header: Depth=2
	s_load_dwordx2 s[18:19], s[6:7], 0x4
	s_load_dword s17, s[6:7], 0xc
	s_load_dword s20, s[4:5], 0x0
	s_add_u32 s6, s6, 12
	s_addc_u32 s7, s7, 0
	s_waitcnt lgkmcnt(0)
	v_mul_hi_u32 v2, s19, v0
	v_add_u32_e32 v2, v0, v2
	v_lshrrev_b32_e32 v2, s17, v2
	s_add_u32 s4, s4, 4
	v_mul_lo_u32 v9, v2, s18
	s_addc_u32 s5, s5, 0
	s_add_i32 s16, s16, -1
	v_sub_u32_e32 v9, v0, v9
	s_cmp_lg_u32 s16, 0
	v_mov_b32_e32 v0, v2
	v_mad_u64_u32 v[10:11], s[18:19], v9, s20, v[10:11]
	s_cbranch_scc1 .LBB19_48
.LBB19_49:                              ;   in Loop: Header=BB19_9 Depth=1
	s_cbranch_execnz .LBB19_52
.LBB19_50:                              ;   in Loop: Header=BB19_9 Depth=1
	v_mul_hi_u32 v0, v12, s10
	v_add_u32_e32 v0, v0, v12
	v_lshrrev_b32_e32 v0, s11, v0
	v_mul_lo_u32 v2, v0, s9
	v_sub_u32_e32 v2, v12, v2
	s_andn2_b64 vcc, exec, s[46:47]
	v_mul_lo_u32 v10, v2, s50
	s_cbranch_vccnz .LBB19_52
; %bb.51:                               ;   in Loop: Header=BB19_9 Depth=1
	v_mul_hi_u32 v2, s8, v0
	v_add_u32_e32 v2, v0, v2
	v_lshrrev_b32_e32 v2, s14, v2
	v_mul_lo_u32 v2, v2, s12
	v_sub_u32_e32 v0, v0, v2
	v_mad_u64_u32 v[10:11], s[4:5], v0, s51, v[10:11]
.LBB19_52:                              ;   in Loop: Header=BB19_9 Depth=1
	v_mov_b32_e32 v0, v3
	v_cmp_le_u64_e32 vcc, s[30:31], v[0:1]
	s_and_saveexec_b64 s[4:5], vcc
	s_cbranch_execz .LBB19_54
; %bb.53:                               ;   in Loop: Header=BB19_9 Depth=1
	v_cvt_f32_u32_e32 v2, s30
	s_sub_i32 s6, 0, s30
	v_rcp_iflag_f32_e32 v2, v2
	v_mul_f32_e32 v2, 0x4f7ffffe, v2
	v_cvt_u32_f32_e32 v2, v2
	v_mul_lo_u32 v3, s6, v2
	v_mul_hi_u32 v3, v2, v3
	v_add_u32_e32 v2, v2, v3
	v_mul_hi_u32 v2, v0, v2
	v_mul_lo_u32 v2, v2, s30
	v_sub_u32_e32 v0, v0, v2
	v_subrev_u32_e32 v2, s30, v0
	v_cmp_le_u32_e32 vcc, s30, v0
	v_cndmask_b32_e32 v0, v0, v2, vcc
	v_subrev_u32_e32 v2, s30, v0
	v_cmp_le_u32_e32 vcc, s30, v0
	v_cndmask_b32_e32 v0, v0, v2, vcc
.LBB19_54:                              ;   in Loop: Header=BB19_9 Depth=1
	s_or_b64 exec, exec, s[4:5]
	v_add_u32_e32 v0, s48, v0
	global_store_short v10, v0, s[28:29]
.LBB19_55:                              ;   in Loop: Header=BB19_9 Depth=1
	s_or_b64 exec, exec, s[2:3]
	v_mov_b32_e32 v0, s15
	v_add_co_u32_e32 v10, vcc, s13, v16
	v_addc_co_u32_e32 v11, vcc, v17, v0, vcc
	v_cmp_gt_i64_e32 vcc, s[24:25], v[10:11]
	s_and_saveexec_b64 s[2:3], vcc
	s_cbranch_execz .LBB19_73
; %bb.56:                               ;   in Loop: Header=BB19_9 Depth=1
	s_and_b64 vcc, exec, s[0:1]
	s_cbranch_vccnz .LBB19_62
; %bb.57:                               ;   in Loop: Header=BB19_9 Depth=1
	s_andn2_b64 vcc, exec, s[42:43]
	s_cbranch_vccnz .LBB19_63
; %bb.58:                               ;   in Loop: Header=BB19_9 Depth=1
	s_mov_b32 s6, 0
	s_andn2_b64 vcc, exec, s[52:53]
	v_mov_b32_e32 v2, 0
	s_cbranch_vccnz .LBB19_64
; %bb.59:                               ;   in Loop: Header=BB19_9 Depth=1
	s_mov_b32 s69, 0
	v_mov_b32_e32 v2, 0
	s_mov_b64 s[58:59], s[34:35]
	s_mov_b64 s[60:61], s[44:45]
	v_mov_b32_e32 v0, v10
.LBB19_60:                              ;   Parent Loop BB19_9 Depth=1
                                        ; =>  This Inner Loop Header: Depth=2
	s_load_dwordx8 s[16:23], s[58:59], 0x4
	s_load_dwordx4 s[4:7], s[58:59], 0x24
	s_load_dwordx4 s[36:39], s[60:61], 0x0
	s_add_u32 s58, s58, 48
	s_addc_u32 s59, s59, 0
	s_waitcnt lgkmcnt(0)
	v_mul_hi_u32 v3, s17, v0
	v_add_u32_e32 v3, v0, v3
	v_lshrrev_b32_e32 v3, s18, v3
	v_mul_lo_u32 v9, v3, s16
	v_mul_hi_u32 v11, s20, v3
	v_sub_u32_e32 v0, v0, v9
	v_add_u32_e32 v9, v3, v11
	v_lshrrev_b32_e32 v9, s21, v9
	v_mul_lo_u32 v11, v9, s19
	v_mul_hi_u32 v12, s23, v9
	v_sub_u32_e32 v3, v3, v11
	v_add_u32_e32 v11, v9, v12
	v_mul_lo_u32 v0, v0, s36
	v_mul_lo_u32 v3, v3, s37
	v_lshrrev_b32_e32 v11, s4, v11
	v_add3_u32 v2, v0, v2, v3
	v_mul_lo_u32 v0, v11, s22
	v_mul_hi_u32 v3, s6, v11
	v_sub_u32_e32 v0, v9, v0
	v_add_u32_e32 v3, v11, v3
	v_mul_lo_u32 v9, v0, s38
	v_lshrrev_b32_e32 v0, s7, v3
	s_add_i32 s69, s69, 4
	v_mul_lo_u32 v3, v0, s5
	s_add_u32 s60, s60, 16
	v_sub_u32_e32 v3, v11, v3
	s_addc_u32 s61, s61, 0
	v_mul_lo_u32 v3, v3, s39
	s_cmp_eq_u32 s68, s69
	v_add3_u32 v2, v9, v2, v3
	s_cbranch_scc0 .LBB19_60
; %bb.61:                               ;   in Loop: Header=BB19_9 Depth=1
	s_mov_b32 s6, s68
	s_andn2_b64 vcc, exec, s[56:57]
	s_cbranch_vccz .LBB19_65
	s_branch .LBB19_67
.LBB19_62:                              ;   in Loop: Header=BB19_9 Depth=1
                                        ; implicit-def: $vgpr2
	s_branch .LBB19_68
.LBB19_63:                              ;   in Loop: Header=BB19_9 Depth=1
	v_mov_b32_e32 v2, 0
	s_branch .LBB19_67
.LBB19_64:                              ;   in Loop: Header=BB19_9 Depth=1
	v_mov_b32_e32 v0, v10
	s_andn2_b64 vcc, exec, s[56:57]
	s_cbranch_vccnz .LBB19_67
.LBB19_65:                              ;   in Loop: Header=BB19_9 Depth=1
	s_lshl_b32 s4, s6, 2
	s_add_u32 s4, s44, s4
	s_addc_u32 s5, s45, 0
	s_mul_i32 s6, s6, 12
	s_add_u32 s6, s34, s6
	s_addc_u32 s7, s35, 0
	s_mov_b32 s16, s67
.LBB19_66:                              ;   Parent Loop BB19_9 Depth=1
                                        ; =>  This Inner Loop Header: Depth=2
	s_load_dwordx2 s[18:19], s[6:7], 0x4
	s_load_dword s17, s[6:7], 0xc
	s_load_dword s20, s[4:5], 0x0
	s_add_u32 s6, s6, 12
	s_addc_u32 s7, s7, 0
	s_waitcnt lgkmcnt(0)
	v_mul_hi_u32 v3, s19, v0
	v_add_u32_e32 v3, v0, v3
	v_lshrrev_b32_e32 v3, s17, v3
	s_add_u32 s4, s4, 4
	v_mul_lo_u32 v9, v3, s18
	s_addc_u32 s5, s5, 0
	s_add_i32 s16, s16, -1
	v_sub_u32_e32 v9, v0, v9
	s_cmp_lg_u32 s16, 0
	v_mov_b32_e32 v0, v3
	v_mad_u64_u32 v[2:3], s[18:19], v9, s20, v[2:3]
	s_cbranch_scc1 .LBB19_66
.LBB19_67:                              ;   in Loop: Header=BB19_9 Depth=1
	s_cbranch_execnz .LBB19_70
.LBB19_68:                              ;   in Loop: Header=BB19_9 Depth=1
	v_mul_hi_u32 v0, v10, s10
	v_add_u32_e32 v0, v0, v10
	v_lshrrev_b32_e32 v0, s11, v0
	v_mul_lo_u32 v2, v0, s9
	v_sub_u32_e32 v2, v10, v2
	s_andn2_b64 vcc, exec, s[46:47]
	v_mul_lo_u32 v2, v2, s50
	s_cbranch_vccnz .LBB19_70
; %bb.69:                               ;   in Loop: Header=BB19_9 Depth=1
	v_mul_hi_u32 v3, s8, v0
	v_add_u32_e32 v3, v0, v3
	v_lshrrev_b32_e32 v3, s14, v3
	v_mul_lo_u32 v3, v3, s12
	v_sub_u32_e32 v0, v0, v3
	v_mad_u64_u32 v[2:3], s[4:5], v0, s51, v[2:3]
.LBB19_70:                              ;   in Loop: Header=BB19_9 Depth=1
	v_mov_b32_e32 v0, v4
	v_cmp_le_u64_e32 vcc, s[30:31], v[0:1]
	s_and_saveexec_b64 s[4:5], vcc
	s_cbranch_execz .LBB19_72
; %bb.71:                               ;   in Loop: Header=BB19_9 Depth=1
	v_cvt_f32_u32_e32 v3, s30
	s_sub_i32 s6, 0, s30
	v_rcp_iflag_f32_e32 v3, v3
	v_mul_f32_e32 v3, 0x4f7ffffe, v3
	v_cvt_u32_f32_e32 v3, v3
	v_mul_lo_u32 v4, s6, v3
	v_mul_hi_u32 v4, v3, v4
	v_add_u32_e32 v3, v3, v4
	v_mul_hi_u32 v3, v0, v3
	v_mul_lo_u32 v3, v3, s30
	v_sub_u32_e32 v0, v0, v3
	v_subrev_u32_e32 v3, s30, v0
	v_cmp_le_u32_e32 vcc, s30, v0
	v_cndmask_b32_e32 v0, v0, v3, vcc
	v_subrev_u32_e32 v3, s30, v0
	v_cmp_le_u32_e32 vcc, s30, v0
	v_cndmask_b32_e32 v0, v0, v3, vcc
.LBB19_72:                              ;   in Loop: Header=BB19_9 Depth=1
	s_or_b64 exec, exec, s[4:5]
	v_add_u32_e32 v0, s48, v0
	global_store_short v2, v0, s[28:29]
.LBB19_73:                              ;   in Loop: Header=BB19_9 Depth=1
	s_or_b64 exec, exec, s[2:3]
	v_mov_b32_e32 v0, s66
	v_add_co_u32_e32 v10, vcc, s49, v16
	v_addc_co_u32_e32 v11, vcc, v17, v0, vcc
	v_cmp_gt_i64_e32 vcc, s[24:25], v[10:11]
	s_and_saveexec_b64 s[36:37], vcc
	s_cbranch_execz .LBB19_8
; %bb.74:                               ;   in Loop: Header=BB19_9 Depth=1
	s_and_b64 vcc, exec, s[0:1]
	s_cbranch_vccnz .LBB19_80
; %bb.75:                               ;   in Loop: Header=BB19_9 Depth=1
	s_andn2_b64 vcc, exec, s[42:43]
	s_cbranch_vccnz .LBB19_81
; %bb.76:                               ;   in Loop: Header=BB19_9 Depth=1
	s_mov_b32 s2, 0
	s_andn2_b64 vcc, exec, s[52:53]
	v_mov_b32_e32 v2, 0
	s_cbranch_vccnz .LBB19_82
; %bb.77:                               ;   in Loop: Header=BB19_9 Depth=1
	s_mov_b32 s60, 0
	v_mov_b32_e32 v2, 0
	s_mov_b64 s[38:39], s[34:35]
	s_mov_b64 s[58:59], s[44:45]
	v_mov_b32_e32 v0, v10
.LBB19_78:                              ;   Parent Loop BB19_9 Depth=1
                                        ; =>  This Inner Loop Header: Depth=2
	s_load_dwordx8 s[0:7], s[38:39], 0x4
	s_load_dwordx4 s[16:19], s[38:39], 0x24
	s_load_dwordx4 s[20:23], s[58:59], 0x0
	s_add_u32 s38, s38, 48
	s_addc_u32 s39, s39, 0
	s_waitcnt lgkmcnt(0)
	v_mul_hi_u32 v3, s1, v0
	v_add_u32_e32 v3, v0, v3
	v_lshrrev_b32_e32 v3, s2, v3
	v_mul_lo_u32 v4, v3, s0
	v_mul_hi_u32 v9, s4, v3
	v_sub_u32_e32 v0, v0, v4
	v_add_u32_e32 v4, v3, v9
	v_lshrrev_b32_e32 v4, s5, v4
	v_mul_lo_u32 v9, v4, s3
	v_mul_hi_u32 v11, s7, v4
	v_sub_u32_e32 v3, v3, v9
	v_add_u32_e32 v9, v4, v11
	v_mul_lo_u32 v0, v0, s20
	v_mul_lo_u32 v3, v3, s21
	v_lshrrev_b32_e32 v9, s16, v9
	v_add3_u32 v2, v0, v2, v3
	v_mul_lo_u32 v0, v9, s6
	v_mul_hi_u32 v3, s18, v9
	v_sub_u32_e32 v0, v4, v0
	v_add_u32_e32 v3, v9, v3
	v_mul_lo_u32 v4, v0, s22
	v_lshrrev_b32_e32 v0, s19, v3
	s_add_i32 s60, s60, 4
	v_mul_lo_u32 v3, v0, s17
	s_add_u32 s58, s58, 16
	v_sub_u32_e32 v3, v9, v3
	s_addc_u32 s59, s59, 0
	v_mul_lo_u32 v3, v3, s23
	s_cmp_eq_u32 s68, s60
	v_add3_u32 v2, v4, v2, v3
	s_cbranch_scc0 .LBB19_78
; %bb.79:                               ;   in Loop: Header=BB19_9 Depth=1
	s_mov_b32 s2, s68
	s_andn2_b64 vcc, exec, s[56:57]
	s_cbranch_vccz .LBB19_83
	s_branch .LBB19_85
.LBB19_80:                              ;   in Loop: Header=BB19_9 Depth=1
                                        ; implicit-def: $vgpr2
	s_branch .LBB19_86
.LBB19_81:                              ;   in Loop: Header=BB19_9 Depth=1
	v_mov_b32_e32 v2, 0
	s_branch .LBB19_85
.LBB19_82:                              ;   in Loop: Header=BB19_9 Depth=1
	v_mov_b32_e32 v0, v10
	s_andn2_b64 vcc, exec, s[56:57]
	s_cbranch_vccnz .LBB19_85
.LBB19_83:                              ;   in Loop: Header=BB19_9 Depth=1
	s_lshl_b32 s0, s2, 2
	s_add_u32 s0, s44, s0
	s_addc_u32 s1, s45, 0
	s_mul_i32 s2, s2, 12
	s_add_u32 s2, s34, s2
	s_addc_u32 s3, s35, 0
	s_mov_b32 s4, s67
.LBB19_84:                              ;   Parent Loop BB19_9 Depth=1
                                        ; =>  This Inner Loop Header: Depth=2
	s_load_dwordx2 s[6:7], s[2:3], 0x4
	s_load_dword s5, s[2:3], 0xc
	s_load_dword s16, s[0:1], 0x0
	s_add_u32 s2, s2, 12
	s_addc_u32 s3, s3, 0
	s_waitcnt lgkmcnt(0)
	v_mul_hi_u32 v3, s7, v0
	v_add_u32_e32 v3, v0, v3
	v_lshrrev_b32_e32 v3, s5, v3
	s_add_u32 s0, s0, 4
	v_mul_lo_u32 v4, v3, s6
	s_addc_u32 s1, s1, 0
	s_add_i32 s4, s4, -1
	v_sub_u32_e32 v4, v0, v4
	s_cmp_lg_u32 s4, 0
	v_mov_b32_e32 v0, v3
	v_mad_u64_u32 v[2:3], s[6:7], v4, s16, v[2:3]
	s_cbranch_scc1 .LBB19_84
.LBB19_85:                              ;   in Loop: Header=BB19_9 Depth=1
	s_cbranch_execnz .LBB19_88
.LBB19_86:                              ;   in Loop: Header=BB19_9 Depth=1
	v_mul_hi_u32 v0, v10, s10
	v_add_u32_e32 v0, v0, v10
	v_lshrrev_b32_e32 v0, s11, v0
	v_mul_lo_u32 v2, v0, s9
	v_sub_u32_e32 v2, v10, v2
	s_andn2_b64 vcc, exec, s[46:47]
	v_mul_lo_u32 v2, v2, s50
	s_cbranch_vccnz .LBB19_88
; %bb.87:                               ;   in Loop: Header=BB19_9 Depth=1
	v_mul_hi_u32 v3, s8, v0
	v_add_u32_e32 v3, v0, v3
	v_lshrrev_b32_e32 v3, s14, v3
	v_mul_lo_u32 v3, v3, s12
	v_sub_u32_e32 v0, v0, v3
	v_mad_u64_u32 v[2:3], s[0:1], v0, s51, v[2:3]
.LBB19_88:                              ;   in Loop: Header=BB19_9 Depth=1
	v_mov_b32_e32 v0, v5
	v_cmp_le_u64_e32 vcc, s[30:31], v[0:1]
	s_and_saveexec_b64 s[0:1], vcc
	s_cbranch_execz .LBB19_7
; %bb.89:                               ;   in Loop: Header=BB19_9 Depth=1
	v_cvt_f32_u32_e32 v3, s30
	s_sub_i32 s2, 0, s30
	v_rcp_iflag_f32_e32 v3, v3
	v_mul_f32_e32 v3, 0x4f7ffffe, v3
	v_cvt_u32_f32_e32 v3, v3
	v_mul_lo_u32 v4, s2, v3
	v_mul_hi_u32 v4, v3, v4
	v_add_u32_e32 v3, v3, v4
	v_mul_hi_u32 v3, v0, v3
	v_mul_lo_u32 v3, v3, s30
	v_sub_u32_e32 v0, v0, v3
	v_subrev_u32_e32 v3, s30, v0
	v_cmp_le_u32_e32 vcc, s30, v0
	v_cndmask_b32_e32 v0, v0, v3, vcc
	v_subrev_u32_e32 v3, s30, v0
	v_cmp_le_u32_e32 vcc, s30, v0
	v_cndmask_b32_e32 v0, v0, v3, vcc
	s_branch .LBB19_7
.LBB19_90:
	s_endpgm
.LBB19_91:
                                        ; implicit-def: $sgpr2_sgpr3
	s_andn2_b64 vcc, exec, s[0:1]
	s_cbranch_vccz .LBB19_4
	s_branch .LBB19_5
	.section	.rodata,"a",@progbits
	.p2align	6, 0x0
	.amdhsa_kernel _ZN2at6native12_GLOBAL__N_143distribution_elementwise_grid_stride_kernelIjLi4EZZZNS0_9templates4cuda21random_from_to_kernelIPNS_17CUDAGeneratorImplEEEvRNS_18TensorIteratorBaseEmlT_ENKUlvE_clEvENKUlvE3_clEvEUlP25hiprandStatePhilox4_32_10E0_ZNS1_27distribution_nullary_kernelIsj15HIP_vector_typeIjLj4EES7_SF_ZZZNS5_IS7_EEvS9_mlSA_ENKSB_clEvENKSC_clEvEUljE_EEvS9_T2_RKT3_T4_EUlijE0_EEvlNS_15PhiloxCudaStateET1_SK_
		.amdhsa_group_segment_fixed_size 0
		.amdhsa_private_segment_fixed_size 0
		.amdhsa_kernarg_size 592
		.amdhsa_user_sgpr_count 6
		.amdhsa_user_sgpr_private_segment_buffer 1
		.amdhsa_user_sgpr_dispatch_ptr 0
		.amdhsa_user_sgpr_queue_ptr 0
		.amdhsa_user_sgpr_kernarg_segment_ptr 1
		.amdhsa_user_sgpr_dispatch_id 0
		.amdhsa_user_sgpr_flat_scratch_init 0
		.amdhsa_user_sgpr_kernarg_preload_length 0
		.amdhsa_user_sgpr_kernarg_preload_offset 0
		.amdhsa_user_sgpr_private_segment_size 0
		.amdhsa_uses_dynamic_stack 0
		.amdhsa_system_sgpr_private_segment_wavefront_offset 0
		.amdhsa_system_sgpr_workgroup_id_x 1
		.amdhsa_system_sgpr_workgroup_id_y 0
		.amdhsa_system_sgpr_workgroup_id_z 0
		.amdhsa_system_sgpr_workgroup_info 0
		.amdhsa_system_vgpr_workitem_id 0
		.amdhsa_next_free_vgpr 43
		.amdhsa_next_free_sgpr 70
		.amdhsa_accum_offset 44
		.amdhsa_reserve_vcc 1
		.amdhsa_reserve_flat_scratch 0
		.amdhsa_float_round_mode_32 0
		.amdhsa_float_round_mode_16_64 0
		.amdhsa_float_denorm_mode_32 3
		.amdhsa_float_denorm_mode_16_64 3
		.amdhsa_dx10_clamp 1
		.amdhsa_ieee_mode 1
		.amdhsa_fp16_overflow 0
		.amdhsa_tg_split 0
		.amdhsa_exception_fp_ieee_invalid_op 0
		.amdhsa_exception_fp_denorm_src 0
		.amdhsa_exception_fp_ieee_div_zero 0
		.amdhsa_exception_fp_ieee_overflow 0
		.amdhsa_exception_fp_ieee_underflow 0
		.amdhsa_exception_fp_ieee_inexact 0
		.amdhsa_exception_int_div_zero 0
	.end_amdhsa_kernel
	.section	.text._ZN2at6native12_GLOBAL__N_143distribution_elementwise_grid_stride_kernelIjLi4EZZZNS0_9templates4cuda21random_from_to_kernelIPNS_17CUDAGeneratorImplEEEvRNS_18TensorIteratorBaseEmlT_ENKUlvE_clEvENKUlvE3_clEvEUlP25hiprandStatePhilox4_32_10E0_ZNS1_27distribution_nullary_kernelIsj15HIP_vector_typeIjLj4EES7_SF_ZZZNS5_IS7_EEvS9_mlSA_ENKSB_clEvENKSC_clEvEUljE_EEvS9_T2_RKT3_T4_EUlijE0_EEvlNS_15PhiloxCudaStateET1_SK_,"axG",@progbits,_ZN2at6native12_GLOBAL__N_143distribution_elementwise_grid_stride_kernelIjLi4EZZZNS0_9templates4cuda21random_from_to_kernelIPNS_17CUDAGeneratorImplEEEvRNS_18TensorIteratorBaseEmlT_ENKUlvE_clEvENKUlvE3_clEvEUlP25hiprandStatePhilox4_32_10E0_ZNS1_27distribution_nullary_kernelIsj15HIP_vector_typeIjLj4EES7_SF_ZZZNS5_IS7_EEvS9_mlSA_ENKSB_clEvENKSC_clEvEUljE_EEvS9_T2_RKT3_T4_EUlijE0_EEvlNS_15PhiloxCudaStateET1_SK_,comdat
.Lfunc_end19:
	.size	_ZN2at6native12_GLOBAL__N_143distribution_elementwise_grid_stride_kernelIjLi4EZZZNS0_9templates4cuda21random_from_to_kernelIPNS_17CUDAGeneratorImplEEEvRNS_18TensorIteratorBaseEmlT_ENKUlvE_clEvENKUlvE3_clEvEUlP25hiprandStatePhilox4_32_10E0_ZNS1_27distribution_nullary_kernelIsj15HIP_vector_typeIjLj4EES7_SF_ZZZNS5_IS7_EEvS9_mlSA_ENKSB_clEvENKSC_clEvEUljE_EEvS9_T2_RKT3_T4_EUlijE0_EEvlNS_15PhiloxCudaStateET1_SK_, .Lfunc_end19-_ZN2at6native12_GLOBAL__N_143distribution_elementwise_grid_stride_kernelIjLi4EZZZNS0_9templates4cuda21random_from_to_kernelIPNS_17CUDAGeneratorImplEEEvRNS_18TensorIteratorBaseEmlT_ENKUlvE_clEvENKUlvE3_clEvEUlP25hiprandStatePhilox4_32_10E0_ZNS1_27distribution_nullary_kernelIsj15HIP_vector_typeIjLj4EES7_SF_ZZZNS5_IS7_EEvS9_mlSA_ENKSB_clEvENKSC_clEvEUljE_EEvS9_T2_RKT3_T4_EUlijE0_EEvlNS_15PhiloxCudaStateET1_SK_
                                        ; -- End function
	.section	.AMDGPU.csdata,"",@progbits
; Kernel info:
; codeLenInByte = 4756
; NumSgprs: 74
; NumVgprs: 43
; NumAgprs: 0
; TotalNumVgprs: 43
; ScratchSize: 0
; MemoryBound: 0
; FloatMode: 240
; IeeeMode: 1
; LDSByteSize: 0 bytes/workgroup (compile time only)
; SGPRBlocks: 9
; VGPRBlocks: 5
; NumSGPRsForWavesPerEU: 74
; NumVGPRsForWavesPerEU: 43
; AccumOffset: 44
; Occupancy: 8
; WaveLimiterHint : 1
; COMPUTE_PGM_RSRC2:SCRATCH_EN: 0
; COMPUTE_PGM_RSRC2:USER_SGPR: 6
; COMPUTE_PGM_RSRC2:TRAP_HANDLER: 0
; COMPUTE_PGM_RSRC2:TGID_X_EN: 1
; COMPUTE_PGM_RSRC2:TGID_Y_EN: 0
; COMPUTE_PGM_RSRC2:TGID_Z_EN: 0
; COMPUTE_PGM_RSRC2:TIDIG_COMP_CNT: 0
; COMPUTE_PGM_RSRC3_GFX90A:ACCUM_OFFSET: 10
; COMPUTE_PGM_RSRC3_GFX90A:TG_SPLIT: 0
	.section	.text._ZN2at6native12_GLOBAL__N_143distribution_elementwise_grid_stride_kernelImLi2EZZZNS0_9templates4cuda21random_from_to_kernelIPNS_17CUDAGeneratorImplEEEvRNS_18TensorIteratorBaseEmlT_ENKUlvE_clEvENKUlvE4_clEvEUlP25hiprandStatePhilox4_32_10E_ZNS1_27distribution_nullary_kernelIdm15HIP_vector_typeIyLj2EES7_SF_ZZZNS5_IS7_EEvS9_mlSA_ENKSB_clEvENKSC_clEvEUlmE_EEvS9_T2_RKT3_T4_EUlimE_EEvlNS_15PhiloxCudaStateET1_SK_,"axG",@progbits,_ZN2at6native12_GLOBAL__N_143distribution_elementwise_grid_stride_kernelImLi2EZZZNS0_9templates4cuda21random_from_to_kernelIPNS_17CUDAGeneratorImplEEEvRNS_18TensorIteratorBaseEmlT_ENKUlvE_clEvENKUlvE4_clEvEUlP25hiprandStatePhilox4_32_10E_ZNS1_27distribution_nullary_kernelIdm15HIP_vector_typeIyLj2EES7_SF_ZZZNS5_IS7_EEvS9_mlSA_ENKSB_clEvENKSC_clEvEUlmE_EEvS9_T2_RKT3_T4_EUlimE_EEvlNS_15PhiloxCudaStateET1_SK_,comdat
	.globl	_ZN2at6native12_GLOBAL__N_143distribution_elementwise_grid_stride_kernelImLi2EZZZNS0_9templates4cuda21random_from_to_kernelIPNS_17CUDAGeneratorImplEEEvRNS_18TensorIteratorBaseEmlT_ENKUlvE_clEvENKUlvE4_clEvEUlP25hiprandStatePhilox4_32_10E_ZNS1_27distribution_nullary_kernelIdm15HIP_vector_typeIyLj2EES7_SF_ZZZNS5_IS7_EEvS9_mlSA_ENKSB_clEvENKSC_clEvEUlmE_EEvS9_T2_RKT3_T4_EUlimE_EEvlNS_15PhiloxCudaStateET1_SK_ ; -- Begin function _ZN2at6native12_GLOBAL__N_143distribution_elementwise_grid_stride_kernelImLi2EZZZNS0_9templates4cuda21random_from_to_kernelIPNS_17CUDAGeneratorImplEEEvRNS_18TensorIteratorBaseEmlT_ENKUlvE_clEvENKUlvE4_clEvEUlP25hiprandStatePhilox4_32_10E_ZNS1_27distribution_nullary_kernelIdm15HIP_vector_typeIyLj2EES7_SF_ZZZNS5_IS7_EEvS9_mlSA_ENKSB_clEvENKSC_clEvEUlmE_EEvS9_T2_RKT3_T4_EUlimE_EEvlNS_15PhiloxCudaStateET1_SK_
	.p2align	8
	.type	_ZN2at6native12_GLOBAL__N_143distribution_elementwise_grid_stride_kernelImLi2EZZZNS0_9templates4cuda21random_from_to_kernelIPNS_17CUDAGeneratorImplEEEvRNS_18TensorIteratorBaseEmlT_ENKUlvE_clEvENKUlvE4_clEvEUlP25hiprandStatePhilox4_32_10E_ZNS1_27distribution_nullary_kernelIdm15HIP_vector_typeIyLj2EES7_SF_ZZZNS5_IS7_EEvS9_mlSA_ENKSB_clEvENKSC_clEvEUlmE_EEvS9_T2_RKT3_T4_EUlimE_EEvlNS_15PhiloxCudaStateET1_SK_,@function
_ZN2at6native12_GLOBAL__N_143distribution_elementwise_grid_stride_kernelImLi2EZZZNS0_9templates4cuda21random_from_to_kernelIPNS_17CUDAGeneratorImplEEEvRNS_18TensorIteratorBaseEmlT_ENKUlvE_clEvENKUlvE4_clEvEUlP25hiprandStatePhilox4_32_10E_ZNS1_27distribution_nullary_kernelIdm15HIP_vector_typeIyLj2EES7_SF_ZZZNS5_IS7_EEvS9_mlSA_ENKSB_clEvENKSC_clEvEUlmE_EEvS9_T2_RKT3_T4_EUlimE_EEvlNS_15PhiloxCudaStateET1_SK_: ; @_ZN2at6native12_GLOBAL__N_143distribution_elementwise_grid_stride_kernelImLi2EZZZNS0_9templates4cuda21random_from_to_kernelIPNS_17CUDAGeneratorImplEEEvRNS_18TensorIteratorBaseEmlT_ENKUlvE_clEvENKUlvE4_clEvEUlP25hiprandStatePhilox4_32_10E_ZNS1_27distribution_nullary_kernelIdm15HIP_vector_typeIyLj2EES7_SF_ZZZNS5_IS7_EEvS9_mlSA_ENKSB_clEvENKSC_clEvEUlmE_EEvS9_T2_RKT3_T4_EUlimE_EEvlNS_15PhiloxCudaStateET1_SK_
; %bb.0:
	s_load_dword s2, s[4:5], 0x20
	s_load_dwordx2 s[0:1], s[4:5], 0x10
	s_load_dwordx4 s[8:11], s[4:5], 0x0
	s_waitcnt lgkmcnt(0)
	s_bitcmp0_b32 s2, 0
	s_mov_b32 s2, 0
	v_pk_mov_b32 v[2:3], s[0:1], s[0:1] op_sel:[0,1]
	v_pk_mov_b32 v[14:15], s[10:11], s[10:11] op_sel:[0,1]
	s_cbranch_scc1 .LBB20_2
; %bb.1:
	v_pk_mov_b32 v[2:3], s[0:1], s[0:1] op_sel:[0,1]
	flat_load_dwordx2 v[2:3], v[2:3]
	v_pk_mov_b32 v[4:5], s[10:11], s[10:11] op_sel:[0,1]
	flat_load_dwordx2 v[14:15], v[4:5]
	s_load_dwordx2 s[0:1], s[4:5], 0x18
	s_waitcnt lgkmcnt(0)
	v_mov_b32_e32 v1, s1
	s_waitcnt vmcnt(0)
	v_add_co_u32_e32 v2, vcc, s0, v2
	v_addc_co_u32_e32 v3, vcc, v3, v1, vcc
.LBB20_2:
	s_load_dword s0, s[4:5], 0x5c
	s_load_dword s18, s[4:5], 0x50
	s_waitcnt lgkmcnt(0)
	s_and_b32 s7, s0, 0xffff
	s_add_u32 s10, s8, -1
	s_mul_i32 s20, s18, s7
	s_addc_u32 s3, s9, -1
	s_lshl_b32 s21, s20, 1
	s_cmp_lg_u64 s[2:3], 0
	s_mov_b64 s[0:1], -1
	s_cbranch_scc0 .LBB20_31
; %bb.3:
	v_cvt_f32_u32_e32 v1, s21
	v_cvt_f32_ubyte0_e32 v4, 0
	s_sub_u32 s2, 0, s21
	s_subb_u32 s11, 0, 0
	v_madmk_f32 v1, v4, 0x4f800000, v1
	v_rcp_f32_e32 v1, v1
	v_mul_f32_e32 v1, 0x5f7ffffc, v1
	v_mul_f32_e32 v4, 0x2f800000, v1
	v_trunc_f32_e32 v4, v4
	v_madmk_f32 v1, v4, 0xcf800000, v1
	v_cvt_u32_f32_e32 v4, v4
	v_cvt_u32_f32_e32 v1, v1
	v_readfirstlane_b32 s12, v4
	v_readfirstlane_b32 s13, v1
	s_mul_i32 s14, s2, s12
	s_mul_hi_u32 s16, s2, s13
	s_mul_i32 s15, s11, s13
	s_add_i32 s14, s16, s14
	s_add_i32 s14, s14, s15
	s_mul_i32 s17, s2, s13
	s_mul_hi_u32 s15, s13, s14
	s_mul_i32 s16, s13, s14
	s_mul_hi_u32 s13, s13, s17
	s_add_u32 s13, s13, s16
	s_addc_u32 s15, 0, s15
	s_mul_hi_u32 s19, s12, s17
	s_mul_i32 s17, s12, s17
	s_add_u32 s13, s13, s17
	s_mul_hi_u32 s16, s12, s14
	s_addc_u32 s13, s15, s19
	s_addc_u32 s15, s16, 0
	s_mul_i32 s14, s12, s14
	s_add_u32 s13, s13, s14
	s_addc_u32 s14, 0, s15
	v_add_co_u32_e32 v1, vcc, s13, v1
	s_cmp_lg_u64 vcc, 0
	s_addc_u32 s12, s12, s14
	v_readfirstlane_b32 s14, v1
	s_mul_i32 s13, s2, s12
	s_mul_hi_u32 s15, s2, s14
	s_add_i32 s13, s15, s13
	s_mul_i32 s11, s11, s14
	s_add_i32 s13, s13, s11
	s_mul_i32 s2, s2, s14
	s_mul_hi_u32 s15, s12, s2
	s_mul_i32 s16, s12, s2
	s_mul_i32 s19, s14, s13
	s_mul_hi_u32 s2, s14, s2
	s_mul_hi_u32 s17, s14, s13
	s_add_u32 s2, s2, s19
	s_addc_u32 s14, 0, s17
	s_add_u32 s2, s2, s16
	s_mul_hi_u32 s11, s12, s13
	s_addc_u32 s2, s14, s15
	s_addc_u32 s11, s11, 0
	s_mul_i32 s13, s12, s13
	s_add_u32 s2, s2, s13
	s_addc_u32 s11, 0, s11
	v_add_co_u32_e32 v1, vcc, s2, v1
	s_cmp_lg_u64 vcc, 0
	s_addc_u32 s11, s12, s11
	s_ashr_i32 s12, s3, 31
	s_add_u32 s2, s10, s12
	s_mov_b32 s13, s12
	s_addc_u32 s3, s3, s12
	s_xor_b64 s[2:3], s[2:3], s[12:13]
	v_readfirstlane_b32 s16, v1
	s_mul_i32 s15, s2, s11
	s_mul_hi_u32 s17, s2, s16
	s_mul_hi_u32 s14, s2, s11
	s_add_u32 s15, s17, s15
	s_addc_u32 s14, 0, s14
	s_mul_hi_u32 s19, s3, s16
	s_mul_i32 s16, s3, s16
	s_add_u32 s15, s15, s16
	s_mul_hi_u32 s17, s3, s11
	s_addc_u32 s14, s14, s19
	s_addc_u32 s15, s17, 0
	s_mul_i32 s11, s3, s11
	s_add_u32 s11, s14, s11
	s_addc_u32 s14, 0, s15
	s_add_u32 s15, s11, 1
	s_addc_u32 s16, s14, 0
	s_add_u32 s17, s11, 2
	s_mul_i32 s22, s21, s14
	s_mul_hi_u32 s23, s21, s11
	s_addc_u32 s19, s14, 0
	s_add_i32 s23, s23, s22
	s_mul_i32 s22, s21, s11
	v_mov_b32_e32 v1, s22
	v_sub_co_u32_e32 v1, vcc, s2, v1
	s_cmp_lg_u64 vcc, 0
	s_subb_u32 s2, s3, s23
	v_subrev_co_u32_e32 v4, vcc, s21, v1
	s_cmp_lg_u64 vcc, 0
	s_subb_u32 s3, s2, 0
	v_readfirstlane_b32 s22, v4
	s_cmp_ge_u32 s22, s21
	s_cselect_b32 s22, -1, 0
	s_cmp_eq_u32 s3, 0
	s_cselect_b32 s3, s22, -1
	s_cmp_lg_u32 s3, 0
	s_cselect_b32 s3, s19, s16
	v_readfirstlane_b32 s16, v1
	s_cselect_b32 s15, s17, s15
	s_cmp_ge_u32 s16, s21
	s_cselect_b32 s16, -1, 0
	s_cmp_eq_u32 s2, 0
	s_cselect_b32 s2, s16, -1
	s_cmp_lg_u32 s2, 0
	s_cselect_b32 s3, s3, s14
	s_cselect_b32 s2, s15, s11
	s_xor_b64 s[2:3], s[2:3], s[12:13]
	s_sub_u32 s2, s2, s12
	s_subb_u32 s3, s3, s12
	s_cbranch_execnz .LBB20_5
.LBB20_4:
	v_cvt_f32_u32_e32 v1, s21
	s_sub_i32 s0, 0, s21
	s_mov_b32 s3, 0
	v_rcp_iflag_f32_e32 v1, v1
	v_mul_f32_e32 v1, 0x4f7ffffe, v1
	v_cvt_u32_f32_e32 v1, v1
	v_readfirstlane_b32 s1, v1
	s_mul_i32 s0, s0, s1
	s_mul_hi_u32 s0, s1, s0
	s_add_i32 s1, s1, s0
	s_mul_hi_u32 s0, s10, s1
	s_mul_i32 s2, s0, s21
	s_sub_i32 s2, s10, s2
	s_add_i32 s1, s0, 1
	s_sub_i32 s10, s2, s21
	s_cmp_ge_u32 s2, s21
	s_cselect_b32 s0, s1, s0
	s_cselect_b32 s2, s10, s2
	s_add_i32 s1, s0, 1
	s_cmp_ge_u32 s2, s21
	s_cselect_b32 s2, s1, s0
.LBB20_5:
	v_mov_b32_e32 v16, 0
	v_mov_b32_e32 v1, v16
	;; [unrolled: 1-line block ×3, first 2 shown]
	v_mad_u64_u32 v[18:19], s[0:1], s7, v4, v[0:1]
	s_add_u32 s0, s2, 1
	s_addc_u32 s1, s3, 0
	s_mul_hi_u32 s2, s18, s7
	s_mul_i32 s1, s20, s1
	s_mul_hi_u32 s3, s20, s0
	s_add_i32 s1, s3, s1
	s_mul_i32 s2, s2, s0
	s_add_i32 s1, s1, s2
	s_mul_i32 s0, s20, s0
	s_lshl_b64 s[10:11], s[0:1], 1
	v_cmp_gt_i64_e32 vcc, s[10:11], v[18:19]
	s_and_saveexec_b64 s[0:1], vcc
	s_cbranch_execz .LBB20_30
; %bb.6:
	v_mov_b32_e32 v4, v15
	s_mov_b32 s0, 0xdb3d7428
	v_add_co_u32_e32 v23, vcc, s0, v4
	s_mov_b32 s0, 0x5384540f
	v_add_co_u32_e32 v24, vcc, s0, v14
	;; [unrolled: 2-line block ×7, first 2 shown]
	s_mov_b32 s0, 0x9e3779b9
	v_alignbit_b32 v31, v3, v2, 2
	s_mov_b32 s23, 0xd2511f53
	v_add_co_u32_e32 v30, vcc, s0, v14
	v_mad_u64_u32 v[6:7], s[0:1], v31, s23, 0
	v_xor_b32_e32 v1, v7, v15
	v_xor_b32_e32 v1, v1, v19
	s_mov_b32 s24, 0xcd9e8d57
	v_mad_u64_u32 v[8:9], s[0:1], v1, s24, 0
	v_xor_b32_e32 v1, v30, v9
	v_mad_u64_u32 v[10:11], s[0:1], v18, s24, 0
	v_and_b32_e32 v20, 3, v2
	v_xor_b32_e32 v1, v1, v10
	v_xor_b32_e32 v2, v14, v11
	v_lshrrev_b32_e32 v32, 2, v3
	v_mad_u64_u32 v[12:13], s[0:1], v1, s23, 0
	v_xor_b32_e32 v2, v2, v32
	v_xor_b32_e32 v1, v29, v13
	v_mad_u64_u32 v[2:3], s[0:1], v2, s23, 0
	v_xor_b32_e32 v1, v1, v2
	v_mad_u64_u32 v[10:11], s[0:1], v1, s24, 0
	s_mov_b32 s0, 0xbb67ae85
	v_add_co_u32_e32 v33, vcc, s0, v4
	v_xor_b32_e32 v2, v33, v3
	v_xor_b32_e32 v2, v2, v6
	v_xor_b32_e32 v1, v28, v11
	v_mad_u64_u32 v[2:3], s[0:1], v2, s24, 0
	v_xor_b32_e32 v1, v1, v2
	v_mad_u64_u32 v[6:7], s[0:1], v1, s23, 0
	s_mov_b32 s0, 0x3c6ef372
	v_add_co_u32_e32 v34, vcc, s0, v14
	v_xor_b32_e32 v2, v34, v3
	;; [unrolled: 8-line block ×7, first 2 shown]
	v_xor_b32_e32 v1, v1, v12
	v_mad_u64_u32 v[2:3], s[0:1], v1, s24, 0
	s_mov_b32 s0, 0xf1bbcdc8
	v_add_u32_e32 v21, 0x8ff34781, v14
	v_xor_b32_e32 v1, v9, v2
	v_add_co_u32_e32 v40, vcc, s0, v14
	s_load_dwordx2 s[16:17], s[4:5], 0x30
	s_load_dword s2, s[4:5], 0x38
	s_load_dwordx4 s[12:15], s[4:5], 0x40
	v_xor_b32_e32 v2, v21, v1
	v_xor_b32_e32 v1, v40, v3
	;; [unrolled: 1-line block ×3, first 2 shown]
	v_mad_u64_u32 v[10:11], s[0:1], v1, s23, 0
	v_add_u32_e32 v22, 0x96a522ad, v15
	v_xor_b32_e32 v1, v11, v6
	s_mul_i32 s0, s6, s7
	v_xor_b32_e32 v4, v22, v1
	v_add_u32_e32 v1, s0, v0
	s_waitcnt lgkmcnt(0)
	s_mul_i32 s0, s18, s2
	s_mul_i32 s0, s0, s7
	s_lshl_b32 s25, s0, 1
	s_add_i32 s0, s6, s18
	s_mul_i32 s0, s0, s7
	s_mov_b32 s22, 0
	v_add_u32_e32 v0, s0, v0
	v_mov_b32_e32 v3, v8
	v_mov_b32_e32 v5, v10
	v_mul_lo_u32 v41, s2, v1
	v_mul_lo_u32 v42, s2, v0
	s_mov_b64 s[4:5], 0
	s_mov_b32 s26, s22
	v_mov_b32_e32 v43, v18
	v_mov_b32_e32 v44, v19
	s_branch .LBB20_9
.LBB20_7:                               ;   in Loop: Header=BB20_9 Depth=1
	s_or_b64 exec, exec, s[0:1]
	v_add_u32_e32 v1, s26, v42
	v_ashrrev_i32_e32 v3, 31, v1
	v_mov_b32_e32 v4, s17
	v_add_co_u32_e32 v2, vcc, s16, v1
	v_addc_co_u32_e32 v3, vcc, v4, v3, vcc
	v_mov_b32_e32 v1, s15
	v_add_co_u32_e32 v9, vcc, s14, v10
	v_addc_co_u32_e32 v1, vcc, v11, v1, vcc
	v_cvt_f64_i32_e32 v[4:5], v1
	v_ldexp_f64 v[4:5], v[4:5], 32
	v_cvt_f64_u32_e32 v[10:11], v9
	v_add_f64 v[4:5], v[4:5], v[10:11]
	global_store_dwordx2 v[2:3], v[4:5], off
.LBB20_8:                               ;   in Loop: Header=BB20_9 Depth=1
	s_or_b64 exec, exec, s[6:7]
	v_add_co_u32_e32 v18, vcc, s21, v18
	v_addc_co_u32_e32 v19, vcc, 0, v19, vcc
	v_mov_b32_e32 v9, v0
	s_add_i32 s26, s26, s25
	v_cmp_le_i64_e32 vcc, s[10:11], v[18:19]
	v_pk_mov_b32 v[2:3], v[6:7], v[6:7] op_sel:[0,1]
	s_or_b64 s[4:5], vcc, s[4:5]
	v_pk_mov_b32 v[4:5], v[8:9], v[8:9] op_sel:[0,1]
	s_barrier
	s_andn2_b64 exec, exec, s[4:5]
	s_cbranch_execz .LBB20_30
.LBB20_9:                               ; =>This Inner Loop Header: Depth=1
	v_add_co_u32_e32 v31, vcc, 1, v31
	v_cndmask_b32_e64 v0, 0, 1, vcc
	v_addc_co_u32_e32 v32, vcc, 0, v32, vcc
	v_cmp_eq_u32_e32 vcc, 0, v32
	v_cndmask_b32_e32 v0, 0, v0, vcc
	v_add_u32_e32 v43, v0, v43
	v_cmp_eq_u32_e32 vcc, 0, v43
	v_cndmask_b32_e32 v0, 0, v0, vcc
	v_add_u32_e32 v44, v0, v44
	v_mad_u64_u32 v[0:1], s[0:1], v31, s23, 0
	v_mad_u64_u32 v[6:7], s[0:1], v43, s24, 0
	v_xor_b32_e32 v1, v1, v15
	v_xor_b32_e32 v7, v7, v14
	v_xor_b32_e32 v1, v44, v1
	v_xor_b32_e32 v7, v32, v7
	v_mad_u64_u32 v[10:11], s[0:1], v1, s24, 0
	v_mad_u64_u32 v[8:9], s[0:1], v7, s23, 0
	v_xor_b32_e32 v1, v30, v11
	v_xor_b32_e32 v1, v1, v6
	v_xor_b32_e32 v6, v33, v9
	v_xor_b32_e32 v6, v6, v0
	;; [unrolled: 6-line block ×10, first 2 shown]
	v_mov_b32_e32 v7, v12
	v_mov_b32_e32 v8, v13
	v_cmp_lt_i32_e32 vcc, 1, v20
	s_and_saveexec_b64 s[0:1], vcc
	s_xor_b64 s[0:1], exec, s[0:1]
	s_cbranch_execnz .LBB20_12
; %bb.10:                               ;   in Loop: Header=BB20_9 Depth=1
	s_andn2_saveexec_b64 s[0:1], s[0:1]
	s_cbranch_execnz .LBB20_17
.LBB20_11:                              ;   in Loop: Header=BB20_9 Depth=1
	s_or_b64 exec, exec, s[0:1]
	v_cmp_gt_i64_e32 vcc, s[8:9], v[18:19]
	s_and_saveexec_b64 s[6:7], vcc
	s_cbranch_execnz .LBB20_20
	s_branch .LBB20_25
.LBB20_12:                              ;   in Loop: Header=BB20_9 Depth=1
	v_cmp_lt_i32_e32 vcc, 2, v20
	s_and_saveexec_b64 s[2:3], vcc
	s_xor_b64 s[2:3], exec, s[2:3]
; %bb.13:                               ;   in Loop: Header=BB20_9 Depth=1
	v_mov_b32_e32 v10, v5
	v_mov_b32_e32 v11, v6
	v_pk_mov_b32 v[2:3], v[10:11], v[10:11] op_sel:[0,1]
	v_pk_mov_b32 v[4:5], v[12:13], v[12:13] op_sel:[0,1]
                                        ; implicit-def: $vgpr12_vgpr13
; %bb.14:                               ;   in Loop: Header=BB20_9 Depth=1
	s_andn2_saveexec_b64 s[2:3], s[2:3]
; %bb.15:                               ;   in Loop: Header=BB20_9 Depth=1
	v_mov_b32_e32 v2, v4
	v_mov_b32_e32 v3, v5
	;; [unrolled: 1-line block ×4, first 2 shown]
; %bb.16:                               ;   in Loop: Header=BB20_9 Depth=1
	s_or_b64 exec, exec, s[2:3]
	s_andn2_saveexec_b64 s[0:1], s[0:1]
	s_cbranch_execz .LBB20_11
.LBB20_17:                              ;   in Loop: Header=BB20_9 Depth=1
	v_cmp_eq_u32_e32 vcc, 1, v20
	s_and_saveexec_b64 s[2:3], vcc
; %bb.18:                               ;   in Loop: Header=BB20_9 Depth=1
	v_mov_b32_e32 v2, v3
	v_mov_b32_e32 v3, v4
	;; [unrolled: 1-line block ×4, first 2 shown]
; %bb.19:                               ;   in Loop: Header=BB20_9 Depth=1
	s_or_b64 exec, exec, s[2:3]
	s_or_b64 exec, exec, s[0:1]
	v_cmp_gt_i64_e32 vcc, s[8:9], v[18:19]
	s_and_saveexec_b64 s[6:7], vcc
	s_cbranch_execz .LBB20_25
.LBB20_20:                              ;   in Loop: Header=BB20_9 Depth=1
	v_or_b32_e32 v17, s13, v2
	v_cmp_ne_u64_e32 vcc, 0, v[16:17]
                                        ; implicit-def: $vgpr10_vgpr11
	s_and_saveexec_b64 s[0:1], vcc
	s_xor_b64 s[18:19], exec, s[0:1]
	s_cbranch_execz .LBB20_22
; %bb.21:                               ;   in Loop: Header=BB20_9 Depth=1
	v_cvt_f32_u32_e32 v1, s12
	v_cvt_f32_u32_e32 v9, s13
	s_sub_u32 s0, 0, s12
	s_subb_u32 s1, 0, s13
	v_mac_f32_e32 v1, 0x4f800000, v9
	v_rcp_f32_e32 v1, v1
	v_mul_f32_e32 v1, 0x5f7ffffc, v1
	v_mul_f32_e32 v9, 0x2f800000, v1
	v_trunc_f32_e32 v9, v9
	v_mac_f32_e32 v1, 0xcf800000, v9
	v_cvt_u32_f32_e32 v9, v9
	v_cvt_u32_f32_e32 v1, v1
	v_mul_lo_u32 v10, s0, v9
	v_mul_hi_u32 v12, s0, v1
	v_mul_lo_u32 v11, s1, v1
	v_add_u32_e32 v10, v12, v10
	v_mul_lo_u32 v13, s0, v1
	v_add_u32_e32 v10, v10, v11
	v_mul_hi_u32 v12, v1, v13
	v_mul_lo_u32 v17, v1, v10
	v_mul_hi_u32 v11, v1, v10
	v_add_co_u32_e32 v12, vcc, v12, v17
	v_addc_co_u32_e32 v11, vcc, 0, v11, vcc
	v_mul_hi_u32 v45, v9, v13
	v_mul_lo_u32 v13, v9, v13
	v_add_co_u32_e32 v12, vcc, v12, v13
	v_mul_hi_u32 v17, v9, v10
	v_addc_co_u32_e32 v11, vcc, v11, v45, vcc
	v_addc_co_u32_e32 v12, vcc, 0, v17, vcc
	v_mul_lo_u32 v10, v9, v10
	v_add_co_u32_e32 v10, vcc, v11, v10
	v_addc_co_u32_e32 v11, vcc, 0, v12, vcc
	v_add_co_u32_e32 v1, vcc, v1, v10
	v_addc_co_u32_e32 v9, vcc, v9, v11, vcc
	v_mul_lo_u32 v10, s0, v9
	v_mul_hi_u32 v11, s0, v1
	v_add_u32_e32 v10, v11, v10
	v_mul_lo_u32 v11, s1, v1
	v_add_u32_e32 v10, v10, v11
	v_mul_lo_u32 v12, s0, v1
	v_mul_hi_u32 v13, v9, v12
	v_mul_lo_u32 v17, v9, v12
	v_mul_lo_u32 v46, v1, v10
	v_mul_hi_u32 v12, v1, v12
	v_mul_hi_u32 v45, v1, v10
	v_add_co_u32_e32 v12, vcc, v12, v46
	v_addc_co_u32_e32 v45, vcc, 0, v45, vcc
	v_add_co_u32_e32 v12, vcc, v12, v17
	v_mul_hi_u32 v11, v9, v10
	v_addc_co_u32_e32 v12, vcc, v45, v13, vcc
	v_addc_co_u32_e32 v11, vcc, 0, v11, vcc
	v_mul_lo_u32 v10, v9, v10
	v_add_co_u32_e32 v10, vcc, v12, v10
	v_addc_co_u32_e32 v11, vcc, 0, v11, vcc
	v_add_co_u32_e32 v1, vcc, v1, v10
	v_addc_co_u32_e32 v9, vcc, v9, v11, vcc
	v_mad_u64_u32 v[10:11], s[0:1], v3, v9, 0
	v_mul_hi_u32 v12, v3, v1
	v_add_co_u32_e32 v17, vcc, v12, v10
	v_addc_co_u32_e32 v45, vcc, 0, v11, vcc
	v_mad_u64_u32 v[12:13], s[0:1], v2, v1, 0
	v_add_co_u32_e32 v1, vcc, v17, v12
	v_mad_u64_u32 v[10:11], s[0:1], v2, v9, 0
	v_addc_co_u32_e32 v1, vcc, v45, v13, vcc
	v_addc_co_u32_e32 v9, vcc, 0, v11, vcc
	v_add_co_u32_e32 v1, vcc, v1, v10
	v_addc_co_u32_e32 v9, vcc, 0, v9, vcc
	v_mul_lo_u32 v12, s13, v1
	v_mul_lo_u32 v9, s12, v9
	v_mad_u64_u32 v[10:11], s[0:1], s12, v1, 0
	v_add3_u32 v1, v11, v9, v12
	v_sub_u32_e32 v9, v2, v1
	v_mov_b32_e32 v11, s13
	v_sub_co_u32_e32 v10, vcc, v3, v10
	v_subb_co_u32_e64 v9, s[0:1], v9, v11, vcc
	v_subrev_co_u32_e64 v12, s[0:1], s12, v10
	v_subbrev_co_u32_e64 v13, s[2:3], 0, v9, s[0:1]
	v_cmp_le_u32_e64 s[2:3], s13, v13
	v_cndmask_b32_e64 v17, 0, -1, s[2:3]
	v_cmp_le_u32_e64 s[2:3], s12, v12
	v_subb_co_u32_e32 v1, vcc, v2, v1, vcc
	v_cndmask_b32_e64 v45, 0, -1, s[2:3]
	v_cmp_eq_u32_e64 s[2:3], s13, v13
	v_subb_co_u32_e64 v9, s[0:1], v9, v11, s[0:1]
	v_cmp_le_u32_e32 vcc, s13, v1
	v_cndmask_b32_e64 v17, v17, v45, s[2:3]
	v_subrev_co_u32_e64 v45, s[0:1], s12, v12
	v_cndmask_b32_e64 v2, 0, -1, vcc
	v_cmp_le_u32_e32 vcc, s12, v10
	v_subbrev_co_u32_e64 v9, s[0:1], 0, v9, s[0:1]
	v_cndmask_b32_e64 v11, 0, -1, vcc
	v_cmp_eq_u32_e32 vcc, s13, v1
	v_cmp_ne_u32_e64 s[0:1], 0, v17
	v_cndmask_b32_e32 v2, v2, v11, vcc
	v_cndmask_b32_e64 v9, v13, v9, s[0:1]
	v_cmp_ne_u32_e32 vcc, 0, v2
	v_cndmask_b32_e32 v11, v1, v9, vcc
	v_cndmask_b32_e64 v1, v12, v45, s[0:1]
	v_cndmask_b32_e32 v10, v10, v1, vcc
.LBB20_22:                              ;   in Loop: Header=BB20_9 Depth=1
	s_andn2_saveexec_b64 s[0:1], s[18:19]
	s_cbranch_execz .LBB20_24
; %bb.23:                               ;   in Loop: Header=BB20_9 Depth=1
	v_cvt_f32_u32_e32 v1, s12
	s_sub_i32 s2, 0, s12
	v_mov_b32_e32 v11, v16
	v_rcp_iflag_f32_e32 v1, v1
	v_mul_f32_e32 v1, 0x4f7ffffe, v1
	v_cvt_u32_f32_e32 v1, v1
	v_mul_lo_u32 v2, s2, v1
	v_mul_hi_u32 v2, v1, v2
	v_add_u32_e32 v1, v1, v2
	v_mul_hi_u32 v1, v3, v1
	v_mul_lo_u32 v1, v1, s12
	v_sub_u32_e32 v1, v3, v1
	v_subrev_u32_e32 v2, s12, v1
	v_cmp_le_u32_e32 vcc, s12, v1
	v_cndmask_b32_e32 v1, v1, v2, vcc
	v_subrev_u32_e32 v2, s12, v1
	v_cmp_le_u32_e32 vcc, s12, v1
	v_cndmask_b32_e32 v10, v1, v2, vcc
.LBB20_24:                              ;   in Loop: Header=BB20_9 Depth=1
	s_or_b64 exec, exec, s[0:1]
	v_add_u32_e32 v1, s26, v41
	v_ashrrev_i32_e32 v3, 31, v1
	v_mov_b32_e32 v9, s17
	v_add_co_u32_e32 v2, vcc, s16, v1
	v_addc_co_u32_e32 v3, vcc, v9, v3, vcc
	v_mov_b32_e32 v1, s15
	v_add_co_u32_e32 v9, vcc, s14, v10
	v_addc_co_u32_e32 v1, vcc, v11, v1, vcc
	v_cvt_f64_i32_e32 v[10:11], v1
	v_ldexp_f64 v[10:11], v[10:11], 32
	v_cvt_f64_u32_e32 v[12:13], v9
	v_add_f64 v[10:11], v[10:11], v[12:13]
	global_store_dwordx2 v[2:3], v[10:11], off
.LBB20_25:                              ;   in Loop: Header=BB20_9 Depth=1
	s_or_b64 exec, exec, s[6:7]
	v_mov_b32_e32 v1, s22
	v_add_co_u32_e32 v2, vcc, s20, v18
	v_addc_co_u32_e32 v3, vcc, v1, v19, vcc
	v_cmp_gt_i64_e32 vcc, s[8:9], v[2:3]
	s_and_saveexec_b64 s[6:7], vcc
	s_cbranch_execz .LBB20_8
; %bb.26:                               ;   in Loop: Header=BB20_9 Depth=1
	v_or_b32_e32 v17, s13, v4
	v_cmp_ne_u64_e32 vcc, 0, v[16:17]
                                        ; implicit-def: $vgpr10_vgpr11
	s_and_saveexec_b64 s[0:1], vcc
	s_xor_b64 s[18:19], exec, s[0:1]
	s_cbranch_execz .LBB20_28
; %bb.27:                               ;   in Loop: Header=BB20_9 Depth=1
	v_cvt_f32_u32_e32 v1, s12
	v_cvt_f32_u32_e32 v2, s13
	s_sub_u32 s0, 0, s12
	s_subb_u32 s1, 0, s13
	v_mac_f32_e32 v1, 0x4f800000, v2
	v_rcp_f32_e32 v1, v1
	v_mul_f32_e32 v1, 0x5f7ffffc, v1
	v_mul_f32_e32 v2, 0x2f800000, v1
	v_trunc_f32_e32 v2, v2
	v_mac_f32_e32 v1, 0xcf800000, v2
	v_cvt_u32_f32_e32 v2, v2
	v_cvt_u32_f32_e32 v1, v1
	v_mul_lo_u32 v3, s0, v2
	v_mul_hi_u32 v10, s0, v1
	v_mul_lo_u32 v9, s1, v1
	v_add_u32_e32 v3, v10, v3
	v_mul_lo_u32 v11, s0, v1
	v_add_u32_e32 v3, v3, v9
	v_mul_hi_u32 v10, v1, v11
	v_mul_lo_u32 v12, v1, v3
	v_mul_hi_u32 v9, v1, v3
	v_add_co_u32_e32 v10, vcc, v10, v12
	v_addc_co_u32_e32 v9, vcc, 0, v9, vcc
	v_mul_hi_u32 v13, v2, v11
	v_mul_lo_u32 v11, v2, v11
	v_add_co_u32_e32 v10, vcc, v10, v11
	v_mul_hi_u32 v12, v2, v3
	v_addc_co_u32_e32 v9, vcc, v9, v13, vcc
	v_addc_co_u32_e32 v10, vcc, 0, v12, vcc
	v_mul_lo_u32 v3, v2, v3
	v_add_co_u32_e32 v3, vcc, v9, v3
	v_addc_co_u32_e32 v9, vcc, 0, v10, vcc
	v_add_co_u32_e32 v1, vcc, v1, v3
	v_addc_co_u32_e32 v2, vcc, v2, v9, vcc
	v_mul_lo_u32 v3, s0, v2
	v_mul_hi_u32 v9, s0, v1
	v_add_u32_e32 v3, v9, v3
	v_mul_lo_u32 v9, s1, v1
	v_add_u32_e32 v3, v3, v9
	v_mul_lo_u32 v10, s0, v1
	v_mul_hi_u32 v11, v2, v10
	v_mul_lo_u32 v12, v2, v10
	v_mul_lo_u32 v17, v1, v3
	v_mul_hi_u32 v10, v1, v10
	v_mul_hi_u32 v13, v1, v3
	v_add_co_u32_e32 v10, vcc, v10, v17
	v_addc_co_u32_e32 v13, vcc, 0, v13, vcc
	v_add_co_u32_e32 v10, vcc, v10, v12
	v_mul_hi_u32 v9, v2, v3
	v_addc_co_u32_e32 v10, vcc, v13, v11, vcc
	v_addc_co_u32_e32 v9, vcc, 0, v9, vcc
	v_mul_lo_u32 v3, v2, v3
	v_add_co_u32_e32 v3, vcc, v10, v3
	v_addc_co_u32_e32 v9, vcc, 0, v9, vcc
	v_add_co_u32_e32 v1, vcc, v1, v3
	v_addc_co_u32_e32 v9, vcc, v2, v9, vcc
	v_mad_u64_u32 v[2:3], s[0:1], v5, v9, 0
	v_mul_hi_u32 v10, v5, v1
	v_add_co_u32_e32 v12, vcc, v10, v2
	v_addc_co_u32_e32 v13, vcc, 0, v3, vcc
	v_mad_u64_u32 v[10:11], s[0:1], v4, v1, 0
	v_add_co_u32_e32 v1, vcc, v12, v10
	v_mad_u64_u32 v[2:3], s[0:1], v4, v9, 0
	v_addc_co_u32_e32 v1, vcc, v13, v11, vcc
	v_addc_co_u32_e32 v3, vcc, 0, v3, vcc
	v_add_co_u32_e32 v1, vcc, v1, v2
	v_addc_co_u32_e32 v2, vcc, 0, v3, vcc
	v_mul_lo_u32 v9, s13, v1
	v_mul_lo_u32 v10, s12, v2
	v_mad_u64_u32 v[2:3], s[0:1], s12, v1, 0
	v_add3_u32 v1, v3, v10, v9
	v_sub_u32_e32 v3, v4, v1
	v_mov_b32_e32 v9, s13
	v_sub_co_u32_e32 v2, vcc, v5, v2
	v_subb_co_u32_e64 v3, s[0:1], v3, v9, vcc
	v_subrev_co_u32_e64 v5, s[0:1], s12, v2
	v_subbrev_co_u32_e64 v10, s[2:3], 0, v3, s[0:1]
	v_cmp_le_u32_e64 s[2:3], s13, v10
	v_cndmask_b32_e64 v11, 0, -1, s[2:3]
	v_cmp_le_u32_e64 s[2:3], s12, v5
	v_subb_co_u32_e64 v3, s[0:1], v3, v9, s[0:1]
	v_cndmask_b32_e64 v12, 0, -1, s[2:3]
	v_cmp_eq_u32_e64 s[2:3], s13, v10
	v_subrev_co_u32_e64 v9, s[0:1], s12, v5
	v_subb_co_u32_e32 v1, vcc, v4, v1, vcc
	v_cndmask_b32_e64 v11, v11, v12, s[2:3]
	v_subbrev_co_u32_e64 v3, s[0:1], 0, v3, s[0:1]
	v_cmp_le_u32_e32 vcc, s13, v1
	v_cmp_ne_u32_e64 s[0:1], 0, v11
	v_cndmask_b32_e64 v4, 0, -1, vcc
	v_cmp_le_u32_e32 vcc, s12, v2
	v_cndmask_b32_e64 v3, v10, v3, s[0:1]
	v_cndmask_b32_e64 v10, 0, -1, vcc
	v_cmp_eq_u32_e32 vcc, s13, v1
	v_cndmask_b32_e32 v4, v4, v10, vcc
	v_cmp_ne_u32_e32 vcc, 0, v4
	v_cndmask_b32_e32 v11, v1, v3, vcc
	v_cndmask_b32_e64 v1, v5, v9, s[0:1]
	v_cndmask_b32_e32 v10, v2, v1, vcc
                                        ; implicit-def: $vgpr2_vgpr3_vgpr4_vgpr5
.LBB20_28:                              ;   in Loop: Header=BB20_9 Depth=1
	s_andn2_saveexec_b64 s[0:1], s[18:19]
	s_cbranch_execz .LBB20_7
; %bb.29:                               ;   in Loop: Header=BB20_9 Depth=1
	v_cvt_f32_u32_e32 v1, s12
	s_sub_i32 s2, 0, s12
	v_mov_b32_e32 v11, v16
	v_rcp_iflag_f32_e32 v1, v1
	v_mul_f32_e32 v1, 0x4f7ffffe, v1
	v_cvt_u32_f32_e32 v1, v1
	v_mul_lo_u32 v2, s2, v1
	v_mul_hi_u32 v2, v1, v2
	v_add_u32_e32 v1, v1, v2
	v_mul_hi_u32 v1, v5, v1
	v_mul_lo_u32 v1, v1, s12
	v_sub_u32_e32 v1, v5, v1
	v_subrev_u32_e32 v2, s12, v1
	v_cmp_le_u32_e32 vcc, s12, v1
	v_cndmask_b32_e32 v1, v1, v2, vcc
	v_subrev_u32_e32 v2, s12, v1
	v_cmp_le_u32_e32 vcc, s12, v1
	v_cndmask_b32_e32 v10, v1, v2, vcc
	s_branch .LBB20_7
.LBB20_30:
	s_endpgm
.LBB20_31:
                                        ; implicit-def: $sgpr2_sgpr3
	s_andn2_b64 vcc, exec, s[0:1]
	s_cbranch_vccz .LBB20_4
	s_branch .LBB20_5
	.section	.rodata,"a",@progbits
	.p2align	6, 0x0
	.amdhsa_kernel _ZN2at6native12_GLOBAL__N_143distribution_elementwise_grid_stride_kernelImLi2EZZZNS0_9templates4cuda21random_from_to_kernelIPNS_17CUDAGeneratorImplEEEvRNS_18TensorIteratorBaseEmlT_ENKUlvE_clEvENKUlvE4_clEvEUlP25hiprandStatePhilox4_32_10E_ZNS1_27distribution_nullary_kernelIdm15HIP_vector_typeIyLj2EES7_SF_ZZZNS5_IS7_EEvS9_mlSA_ENKSB_clEvENKSC_clEvEUlmE_EEvS9_T2_RKT3_T4_EUlimE_EEvlNS_15PhiloxCudaStateET1_SK_
		.amdhsa_group_segment_fixed_size 0
		.amdhsa_private_segment_fixed_size 0
		.amdhsa_kernarg_size 336
		.amdhsa_user_sgpr_count 6
		.amdhsa_user_sgpr_private_segment_buffer 1
		.amdhsa_user_sgpr_dispatch_ptr 0
		.amdhsa_user_sgpr_queue_ptr 0
		.amdhsa_user_sgpr_kernarg_segment_ptr 1
		.amdhsa_user_sgpr_dispatch_id 0
		.amdhsa_user_sgpr_flat_scratch_init 0
		.amdhsa_user_sgpr_kernarg_preload_length 0
		.amdhsa_user_sgpr_kernarg_preload_offset 0
		.amdhsa_user_sgpr_private_segment_size 0
		.amdhsa_uses_dynamic_stack 0
		.amdhsa_system_sgpr_private_segment_wavefront_offset 0
		.amdhsa_system_sgpr_workgroup_id_x 1
		.amdhsa_system_sgpr_workgroup_id_y 0
		.amdhsa_system_sgpr_workgroup_id_z 0
		.amdhsa_system_sgpr_workgroup_info 0
		.amdhsa_system_vgpr_workitem_id 0
		.amdhsa_next_free_vgpr 48
		.amdhsa_next_free_sgpr 27
		.amdhsa_accum_offset 48
		.amdhsa_reserve_vcc 1
		.amdhsa_reserve_flat_scratch 0
		.amdhsa_float_round_mode_32 0
		.amdhsa_float_round_mode_16_64 0
		.amdhsa_float_denorm_mode_32 3
		.amdhsa_float_denorm_mode_16_64 3
		.amdhsa_dx10_clamp 1
		.amdhsa_ieee_mode 1
		.amdhsa_fp16_overflow 0
		.amdhsa_tg_split 0
		.amdhsa_exception_fp_ieee_invalid_op 0
		.amdhsa_exception_fp_denorm_src 0
		.amdhsa_exception_fp_ieee_div_zero 0
		.amdhsa_exception_fp_ieee_overflow 0
		.amdhsa_exception_fp_ieee_underflow 0
		.amdhsa_exception_fp_ieee_inexact 0
		.amdhsa_exception_int_div_zero 0
	.end_amdhsa_kernel
	.section	.text._ZN2at6native12_GLOBAL__N_143distribution_elementwise_grid_stride_kernelImLi2EZZZNS0_9templates4cuda21random_from_to_kernelIPNS_17CUDAGeneratorImplEEEvRNS_18TensorIteratorBaseEmlT_ENKUlvE_clEvENKUlvE4_clEvEUlP25hiprandStatePhilox4_32_10E_ZNS1_27distribution_nullary_kernelIdm15HIP_vector_typeIyLj2EES7_SF_ZZZNS5_IS7_EEvS9_mlSA_ENKSB_clEvENKSC_clEvEUlmE_EEvS9_T2_RKT3_T4_EUlimE_EEvlNS_15PhiloxCudaStateET1_SK_,"axG",@progbits,_ZN2at6native12_GLOBAL__N_143distribution_elementwise_grid_stride_kernelImLi2EZZZNS0_9templates4cuda21random_from_to_kernelIPNS_17CUDAGeneratorImplEEEvRNS_18TensorIteratorBaseEmlT_ENKUlvE_clEvENKUlvE4_clEvEUlP25hiprandStatePhilox4_32_10E_ZNS1_27distribution_nullary_kernelIdm15HIP_vector_typeIyLj2EES7_SF_ZZZNS5_IS7_EEvS9_mlSA_ENKSB_clEvENKSC_clEvEUlmE_EEvS9_T2_RKT3_T4_EUlimE_EEvlNS_15PhiloxCudaStateET1_SK_,comdat
.Lfunc_end20:
	.size	_ZN2at6native12_GLOBAL__N_143distribution_elementwise_grid_stride_kernelImLi2EZZZNS0_9templates4cuda21random_from_to_kernelIPNS_17CUDAGeneratorImplEEEvRNS_18TensorIteratorBaseEmlT_ENKUlvE_clEvENKUlvE4_clEvEUlP25hiprandStatePhilox4_32_10E_ZNS1_27distribution_nullary_kernelIdm15HIP_vector_typeIyLj2EES7_SF_ZZZNS5_IS7_EEvS9_mlSA_ENKSB_clEvENKSC_clEvEUlmE_EEvS9_T2_RKT3_T4_EUlimE_EEvlNS_15PhiloxCudaStateET1_SK_, .Lfunc_end20-_ZN2at6native12_GLOBAL__N_143distribution_elementwise_grid_stride_kernelImLi2EZZZNS0_9templates4cuda21random_from_to_kernelIPNS_17CUDAGeneratorImplEEEvRNS_18TensorIteratorBaseEmlT_ENKUlvE_clEvENKUlvE4_clEvEUlP25hiprandStatePhilox4_32_10E_ZNS1_27distribution_nullary_kernelIdm15HIP_vector_typeIyLj2EES7_SF_ZZZNS5_IS7_EEvS9_mlSA_ENKSB_clEvENKSC_clEvEUlmE_EEvS9_T2_RKT3_T4_EUlimE_EEvlNS_15PhiloxCudaStateET1_SK_
                                        ; -- End function
	.section	.AMDGPU.csdata,"",@progbits
; Kernel info:
; codeLenInByte = 3696
; NumSgprs: 31
; NumVgprs: 48
; NumAgprs: 0
; TotalNumVgprs: 48
; ScratchSize: 0
; MemoryBound: 0
; FloatMode: 240
; IeeeMode: 1
; LDSByteSize: 0 bytes/workgroup (compile time only)
; SGPRBlocks: 3
; VGPRBlocks: 5
; NumSGPRsForWavesPerEU: 31
; NumVGPRsForWavesPerEU: 48
; AccumOffset: 48
; Occupancy: 8
; WaveLimiterHint : 0
; COMPUTE_PGM_RSRC2:SCRATCH_EN: 0
; COMPUTE_PGM_RSRC2:USER_SGPR: 6
; COMPUTE_PGM_RSRC2:TRAP_HANDLER: 0
; COMPUTE_PGM_RSRC2:TGID_X_EN: 1
; COMPUTE_PGM_RSRC2:TGID_Y_EN: 0
; COMPUTE_PGM_RSRC2:TGID_Z_EN: 0
; COMPUTE_PGM_RSRC2:TIDIG_COMP_CNT: 0
; COMPUTE_PGM_RSRC3_GFX90A:ACCUM_OFFSET: 11
; COMPUTE_PGM_RSRC3_GFX90A:TG_SPLIT: 0
	.section	.text._ZN2at6native12_GLOBAL__N_143distribution_elementwise_grid_stride_kernelImLi2EZZZNS0_9templates4cuda21random_from_to_kernelIPNS_17CUDAGeneratorImplEEEvRNS_18TensorIteratorBaseEmlT_ENKUlvE_clEvENKUlvE4_clEvEUlP25hiprandStatePhilox4_32_10E_ZNS1_27distribution_nullary_kernelIdm15HIP_vector_typeIyLj2EES7_SF_ZZZNS5_IS7_EEvS9_mlSA_ENKSB_clEvENKSC_clEvEUlmE_EEvS9_T2_RKT3_T4_EUlimE0_EEvlNS_15PhiloxCudaStateET1_SK_,"axG",@progbits,_ZN2at6native12_GLOBAL__N_143distribution_elementwise_grid_stride_kernelImLi2EZZZNS0_9templates4cuda21random_from_to_kernelIPNS_17CUDAGeneratorImplEEEvRNS_18TensorIteratorBaseEmlT_ENKUlvE_clEvENKUlvE4_clEvEUlP25hiprandStatePhilox4_32_10E_ZNS1_27distribution_nullary_kernelIdm15HIP_vector_typeIyLj2EES7_SF_ZZZNS5_IS7_EEvS9_mlSA_ENKSB_clEvENKSC_clEvEUlmE_EEvS9_T2_RKT3_T4_EUlimE0_EEvlNS_15PhiloxCudaStateET1_SK_,comdat
	.globl	_ZN2at6native12_GLOBAL__N_143distribution_elementwise_grid_stride_kernelImLi2EZZZNS0_9templates4cuda21random_from_to_kernelIPNS_17CUDAGeneratorImplEEEvRNS_18TensorIteratorBaseEmlT_ENKUlvE_clEvENKUlvE4_clEvEUlP25hiprandStatePhilox4_32_10E_ZNS1_27distribution_nullary_kernelIdm15HIP_vector_typeIyLj2EES7_SF_ZZZNS5_IS7_EEvS9_mlSA_ENKSB_clEvENKSC_clEvEUlmE_EEvS9_T2_RKT3_T4_EUlimE0_EEvlNS_15PhiloxCudaStateET1_SK_ ; -- Begin function _ZN2at6native12_GLOBAL__N_143distribution_elementwise_grid_stride_kernelImLi2EZZZNS0_9templates4cuda21random_from_to_kernelIPNS_17CUDAGeneratorImplEEEvRNS_18TensorIteratorBaseEmlT_ENKUlvE_clEvENKUlvE4_clEvEUlP25hiprandStatePhilox4_32_10E_ZNS1_27distribution_nullary_kernelIdm15HIP_vector_typeIyLj2EES7_SF_ZZZNS5_IS7_EEvS9_mlSA_ENKSB_clEvENKSC_clEvEUlmE_EEvS9_T2_RKT3_T4_EUlimE0_EEvlNS_15PhiloxCudaStateET1_SK_
	.p2align	8
	.type	_ZN2at6native12_GLOBAL__N_143distribution_elementwise_grid_stride_kernelImLi2EZZZNS0_9templates4cuda21random_from_to_kernelIPNS_17CUDAGeneratorImplEEEvRNS_18TensorIteratorBaseEmlT_ENKUlvE_clEvENKUlvE4_clEvEUlP25hiprandStatePhilox4_32_10E_ZNS1_27distribution_nullary_kernelIdm15HIP_vector_typeIyLj2EES7_SF_ZZZNS5_IS7_EEvS9_mlSA_ENKSB_clEvENKSC_clEvEUlmE_EEvS9_T2_RKT3_T4_EUlimE0_EEvlNS_15PhiloxCudaStateET1_SK_,@function
_ZN2at6native12_GLOBAL__N_143distribution_elementwise_grid_stride_kernelImLi2EZZZNS0_9templates4cuda21random_from_to_kernelIPNS_17CUDAGeneratorImplEEEvRNS_18TensorIteratorBaseEmlT_ENKUlvE_clEvENKUlvE4_clEvEUlP25hiprandStatePhilox4_32_10E_ZNS1_27distribution_nullary_kernelIdm15HIP_vector_typeIyLj2EES7_SF_ZZZNS5_IS7_EEvS9_mlSA_ENKSB_clEvENKSC_clEvEUlmE_EEvS9_T2_RKT3_T4_EUlimE0_EEvlNS_15PhiloxCudaStateET1_SK_: ; @_ZN2at6native12_GLOBAL__N_143distribution_elementwise_grid_stride_kernelImLi2EZZZNS0_9templates4cuda21random_from_to_kernelIPNS_17CUDAGeneratorImplEEEvRNS_18TensorIteratorBaseEmlT_ENKUlvE_clEvENKUlvE4_clEvEUlP25hiprandStatePhilox4_32_10E_ZNS1_27distribution_nullary_kernelIdm15HIP_vector_typeIyLj2EES7_SF_ZZZNS5_IS7_EEvS9_mlSA_ENKSB_clEvENKSC_clEvEUlmE_EEvS9_T2_RKT3_T4_EUlimE0_EEvlNS_15PhiloxCudaStateET1_SK_
; %bb.0:
	s_load_dword s2, s[4:5], 0x20
	s_load_dwordx2 s[0:1], s[4:5], 0x10
	s_load_dwordx4 s[24:27], s[4:5], 0x0
	s_waitcnt lgkmcnt(0)
	s_bitcmp0_b32 s2, 0
	s_mov_b32 s2, 0
	v_pk_mov_b32 v[2:3], s[0:1], s[0:1] op_sel:[0,1]
	v_pk_mov_b32 v[12:13], s[26:27], s[26:27] op_sel:[0,1]
	s_cbranch_scc1 .LBB21_2
; %bb.1:
	v_pk_mov_b32 v[2:3], s[0:1], s[0:1] op_sel:[0,1]
	flat_load_dwordx2 v[2:3], v[2:3]
	v_pk_mov_b32 v[4:5], s[26:27], s[26:27] op_sel:[0,1]
	flat_load_dwordx2 v[12:13], v[4:5]
	s_load_dwordx2 s[0:1], s[4:5], 0x18
	s_waitcnt lgkmcnt(0)
	v_mov_b32_e32 v1, s1
	s_waitcnt vmcnt(0)
	v_add_co_u32_e32 v2, vcc, s0, v2
	v_addc_co_u32_e32 v3, vcc, v3, v1, vcc
.LBB21_2:
	s_load_dword s0, s[4:5], 0x15c
	s_load_dword s7, s[4:5], 0x150
	s_waitcnt lgkmcnt(0)
	s_and_b32 s8, s0, 0xffff
	s_add_u32 s9, s24, -1
	s_mul_i32 s33, s7, s8
	s_addc_u32 s3, s25, -1
	s_lshl_b32 s62, s33, 1
	s_cmp_lg_u64 s[2:3], 0
	s_mov_b64 s[0:1], -1
	s_cbranch_scc0 .LBB21_59
; %bb.3:
	v_cvt_f32_u32_e32 v1, s62
	v_cvt_f32_ubyte0_e32 v4, 0
	s_sub_u32 s2, 0, s62
	s_subb_u32 s10, 0, 0
	v_madmk_f32 v1, v4, 0x4f800000, v1
	v_rcp_f32_e32 v1, v1
	v_mul_f32_e32 v1, 0x5f7ffffc, v1
	v_mul_f32_e32 v4, 0x2f800000, v1
	v_trunc_f32_e32 v4, v4
	v_madmk_f32 v1, v4, 0xcf800000, v1
	v_cvt_u32_f32_e32 v4, v4
	v_cvt_u32_f32_e32 v1, v1
	v_readfirstlane_b32 s11, v4
	v_readfirstlane_b32 s12, v1
	s_mul_i32 s13, s2, s11
	s_mul_hi_u32 s15, s2, s12
	s_mul_i32 s14, s10, s12
	s_add_i32 s13, s15, s13
	s_add_i32 s13, s13, s14
	s_mul_i32 s16, s2, s12
	s_mul_hi_u32 s14, s12, s13
	s_mul_i32 s15, s12, s13
	s_mul_hi_u32 s12, s12, s16
	s_add_u32 s12, s12, s15
	s_addc_u32 s14, 0, s14
	s_mul_hi_u32 s17, s11, s16
	s_mul_i32 s16, s11, s16
	s_add_u32 s12, s12, s16
	s_mul_hi_u32 s15, s11, s13
	s_addc_u32 s12, s14, s17
	s_addc_u32 s14, s15, 0
	s_mul_i32 s13, s11, s13
	s_add_u32 s12, s12, s13
	s_addc_u32 s13, 0, s14
	v_add_co_u32_e32 v1, vcc, s12, v1
	s_cmp_lg_u64 vcc, 0
	s_addc_u32 s11, s11, s13
	v_readfirstlane_b32 s13, v1
	s_mul_i32 s12, s2, s11
	s_mul_hi_u32 s14, s2, s13
	s_add_i32 s12, s14, s12
	s_mul_i32 s10, s10, s13
	s_add_i32 s12, s12, s10
	s_mul_i32 s2, s2, s13
	s_mul_hi_u32 s14, s11, s2
	s_mul_i32 s15, s11, s2
	s_mul_i32 s17, s13, s12
	s_mul_hi_u32 s2, s13, s2
	s_mul_hi_u32 s16, s13, s12
	s_add_u32 s2, s2, s17
	s_addc_u32 s13, 0, s16
	s_add_u32 s2, s2, s15
	s_mul_hi_u32 s10, s11, s12
	s_addc_u32 s2, s13, s14
	s_addc_u32 s10, s10, 0
	s_mul_i32 s12, s11, s12
	s_add_u32 s2, s2, s12
	s_addc_u32 s10, 0, s10
	v_add_co_u32_e32 v1, vcc, s2, v1
	s_cmp_lg_u64 vcc, 0
	s_addc_u32 s12, s11, s10
	s_ashr_i32 s10, s3, 31
	s_add_u32 s2, s9, s10
	s_mov_b32 s11, s10
	s_addc_u32 s3, s3, s10
	s_xor_b64 s[2:3], s[2:3], s[10:11]
	v_readfirstlane_b32 s15, v1
	s_mul_i32 s14, s2, s12
	s_mul_hi_u32 s16, s2, s15
	s_mul_hi_u32 s13, s2, s12
	s_add_u32 s14, s16, s14
	s_addc_u32 s13, 0, s13
	s_mul_hi_u32 s17, s3, s15
	s_mul_i32 s15, s3, s15
	s_add_u32 s14, s14, s15
	s_mul_hi_u32 s16, s3, s12
	s_addc_u32 s13, s13, s17
	s_addc_u32 s14, s16, 0
	s_mul_i32 s12, s3, s12
	s_add_u32 s12, s13, s12
	s_addc_u32 s13, 0, s14
	s_add_u32 s14, s12, 1
	s_addc_u32 s15, s13, 0
	s_add_u32 s16, s12, 2
	s_mul_i32 s18, s62, s13
	s_mul_hi_u32 s19, s62, s12
	s_addc_u32 s17, s13, 0
	s_add_i32 s19, s19, s18
	s_mul_i32 s18, s62, s12
	v_mov_b32_e32 v1, s18
	v_sub_co_u32_e32 v1, vcc, s2, v1
	s_cmp_lg_u64 vcc, 0
	s_subb_u32 s2, s3, s19
	v_subrev_co_u32_e32 v4, vcc, s62, v1
	s_cmp_lg_u64 vcc, 0
	s_subb_u32 s3, s2, 0
	v_readfirstlane_b32 s18, v4
	s_cmp_ge_u32 s18, s62
	s_cselect_b32 s18, -1, 0
	s_cmp_eq_u32 s3, 0
	s_cselect_b32 s3, s18, -1
	s_cmp_lg_u32 s3, 0
	s_cselect_b32 s3, s17, s15
	v_readfirstlane_b32 s15, v1
	s_cselect_b32 s14, s16, s14
	s_cmp_ge_u32 s15, s62
	s_cselect_b32 s15, -1, 0
	s_cmp_eq_u32 s2, 0
	s_cselect_b32 s2, s15, -1
	s_cmp_lg_u32 s2, 0
	s_cselect_b32 s3, s3, s13
	s_cselect_b32 s2, s14, s12
	s_xor_b64 s[2:3], s[2:3], s[10:11]
	s_sub_u32 s2, s2, s10
	s_subb_u32 s3, s3, s10
	s_cbranch_execnz .LBB21_5
.LBB21_4:
	v_cvt_f32_u32_e32 v1, s62
	s_sub_i32 s0, 0, s62
	s_mov_b32 s3, 0
	v_rcp_iflag_f32_e32 v1, v1
	v_mul_f32_e32 v1, 0x4f7ffffe, v1
	v_cvt_u32_f32_e32 v1, v1
	v_readfirstlane_b32 s1, v1
	s_mul_i32 s0, s0, s1
	s_mul_hi_u32 s0, s1, s0
	s_add_i32 s1, s1, s0
	s_mul_hi_u32 s0, s9, s1
	s_mul_i32 s2, s0, s62
	s_sub_i32 s2, s9, s2
	s_add_i32 s1, s0, 1
	s_sub_i32 s9, s2, s62
	s_cmp_ge_u32 s2, s62
	s_cselect_b32 s0, s1, s0
	s_cselect_b32 s2, s9, s2
	s_add_i32 s1, s0, 1
	s_cmp_ge_u32 s2, s62
	s_cselect_b32 s2, s1, s0
.LBB21_5:
	v_mov_b32_e32 v14, 0
	v_mov_b32_e32 v1, v14
	v_mov_b32_e32 v4, s6
	v_mad_u64_u32 v[16:17], s[0:1], s8, v4, v[0:1]
	s_add_u32 s0, s2, 1
	s_addc_u32 s1, s3, 0
	s_mul_hi_u32 s2, s7, s8
	s_mul_i32 s1, s33, s1
	s_mul_hi_u32 s3, s33, s0
	s_add_i32 s1, s3, s1
	s_mul_i32 s2, s2, s0
	s_add_i32 s1, s1, s2
	s_mul_i32 s0, s33, s0
	s_lshl_b64 s[26:27], s[0:1], 1
	v_cmp_gt_i64_e32 vcc, s[26:27], v[16:17]
	s_and_saveexec_b64 s[0:1], vcc
	s_cbranch_execz .LBB21_58
; %bb.6:
	s_mov_b32 s0, 0x5384540f
	v_mov_b32_e32 v0, v13
	v_add_co_u32_e32 v24, vcc, s0, v12
	s_mov_b32 s0, 0x646e171e
	v_add_co_u32_e32 v25, vcc, s0, v0
	s_mov_b32 s0, 0x1715609d
	;; [unrolled: 2-line block ×6, first 2 shown]
	v_alignbit_b32 v31, v3, v2, 2
	s_mov_b32 s64, 0xd2511f53
	v_add_co_u32_e32 v30, vcc, s0, v12
	v_mad_u64_u32 v[4:5], s[0:1], v31, s64, 0
	v_xor_b32_e32 v1, v5, v13
	v_xor_b32_e32 v1, v1, v17
	s_mov_b32 s65, 0xcd9e8d57
	v_mad_u64_u32 v[6:7], s[0:1], v1, s65, 0
	v_xor_b32_e32 v1, v30, v7
	v_mad_u64_u32 v[8:9], s[0:1], v16, s65, 0
	v_and_b32_e32 v20, 3, v2
	v_xor_b32_e32 v1, v1, v8
	v_xor_b32_e32 v2, v12, v9
	v_lshrrev_b32_e32 v32, 2, v3
	v_mad_u64_u32 v[10:11], s[0:1], v1, s64, 0
	v_xor_b32_e32 v2, v2, v32
	v_xor_b32_e32 v1, v29, v11
	v_mad_u64_u32 v[2:3], s[0:1], v2, s64, 0
	v_xor_b32_e32 v1, v1, v2
	v_mad_u64_u32 v[8:9], s[0:1], v1, s65, 0
	s_mov_b32 s0, 0xbb67ae85
	v_add_co_u32_e32 v33, vcc, s0, v0
	v_xor_b32_e32 v2, v33, v3
	v_xor_b32_e32 v2, v2, v4
	v_xor_b32_e32 v1, v28, v9
	v_mad_u64_u32 v[2:3], s[0:1], v2, s65, 0
	v_xor_b32_e32 v1, v1, v2
	v_mad_u64_u32 v[4:5], s[0:1], v1, s64, 0
	s_mov_b32 s0, 0x3c6ef372
	v_add_co_u32_e32 v34, vcc, s0, v12
	v_xor_b32_e32 v2, v34, v3
	;; [unrolled: 8-line block ×6, first 2 shown]
	v_add_co_u32_e32 v23, vcc, 0xdb3d7428, v0
	v_xor_b32_e32 v2, v2, v6
	v_xor_b32_e32 v1, v23, v5
	v_mad_u64_u32 v[2:3], s[0:1], v2, s64, 0
	v_xor_b32_e32 v1, v1, v2
	v_mad_u64_u32 v[6:7], s[0:1], v1, s65, 0
	s_mov_b32 s0, 0x1fd5c5a3
	v_add_co_u32_e32 v39, vcc, s0, v0
	v_xor_b32_e32 v0, v39, v3
	v_xor_b32_e32 v0, v0, v10
	v_mad_u64_u32 v[0:1], s[0:1], v0, s65, 0
	s_mov_b32 s0, 0xf1bbcdc8
	s_load_dwordx8 s[8:15], s[4:5], 0x30
	v_add_co_u32_e32 v40, vcc, s0, v12
	v_xor_b32_e32 v1, v40, v1
	v_xor_b32_e32 v1, v1, v8
	s_add_u32 s34, s4, 48
	v_mad_u64_u32 v[8:9], s[0:1], v1, s64, 0
	s_addc_u32 s35, s5, 0
	s_waitcnt lgkmcnt(0)
	s_add_i32 s0, s8, -1
	s_cmp_gt_u32 s0, 1
	s_cselect_b64 s[40:41], -1, 0
	s_cmp_lg_u32 s8, 0
	s_cselect_b64 s[42:43], -1, 0
	s_add_u32 s44, s4, 0xf4
	s_addc_u32 s45, s5, 0
	s_min_u32 s1, s0, 15
	s_cmp_gt_u32 s8, 1
	s_cselect_b64 s[46:47], -1, 0
	s_load_dwordx2 s[48:49], s[4:5], 0x148
	s_load_dwordx2 s[50:51], s[4:5], 0xf4
	s_load_dwordx4 s[28:31], s[4:5], 0x138
	s_add_i32 s1, s1, 1
	s_mov_b32 s8, s13
	s_and_b32 s13, s1, 3
	s_cmp_lg_u32 s0, 2
	s_cselect_b64 s[52:53], -1, 0
	s_and_b32 s15, s1, 28
	v_add_u32_e32 v21, 0x8ff34781, v12
	v_add_u32_e32 v22, 0x96a522ad, v13
	v_xor_b32_e32 v0, v7, v0
	v_xor_b32_e32 v1, v9, v4
	s_cmp_lg_u32 s13, 0
	s_mov_b32 s63, 0
	v_xor_b32_e32 v0, v21, v0
	v_xor_b32_e32 v2, v22, v1
	v_mov_b32_e32 v1, v6
	v_mov_b32_e32 v3, v8
	s_mov_b64 s[54:55], 0
	s_cselect_b64 s[56:57], -1, 0
	v_mov_b32_e32 v41, v16
	v_mov_b32_e32 v42, v17
	s_branch .LBB21_9
.LBB21_7:                               ;   in Loop: Header=BB21_9 Depth=1
	s_or_b64 exec, exec, s[0:1]
	v_mov_b32_e32 v0, s49
	v_add_co_u32_e32 v2, vcc, s48, v10
	v_addc_co_u32_e32 v0, vcc, v11, v0, vcc
	v_cvt_f64_i32_e32 v[0:1], v0
	v_ldexp_f64 v[0:1], v[0:1], 32
	v_cvt_f64_u32_e32 v[2:3], v2
	v_add_f64 v[0:1], v[0:1], v[2:3]
	global_store_dwordx2 v8, v[0:1], s[28:29]
.LBB21_8:                               ;   in Loop: Header=BB21_9 Depth=1
	s_or_b64 exec, exec, s[36:37]
	v_add_co_u32_e32 v16, vcc, s62, v16
	v_addc_co_u32_e32 v17, vcc, 0, v17, vcc
	v_mov_b32_e32 v7, v18
	v_cmp_le_i64_e32 vcc, s[26:27], v[16:17]
	v_pk_mov_b32 v[0:1], v[4:5], v[4:5] op_sel:[0,1]
	s_or_b64 s[54:55], vcc, s[54:55]
	v_pk_mov_b32 v[2:3], v[6:7], v[6:7] op_sel:[0,1]
	s_waitcnt lgkmcnt(0)
	s_barrier
	s_andn2_b64 exec, exec, s[54:55]
	s_cbranch_execz .LBB21_58
.LBB21_9:                               ; =>This Loop Header: Depth=1
                                        ;     Child Loop BB21_24 Depth 2
                                        ;     Child Loop BB21_30 Depth 2
	;; [unrolled: 1-line block ×4, first 2 shown]
	v_add_co_u32_e32 v31, vcc, 1, v31
	v_cndmask_b32_e64 v4, 0, 1, vcc
	v_addc_co_u32_e32 v32, vcc, 0, v32, vcc
	v_cmp_eq_u32_e32 vcc, 0, v32
	v_cndmask_b32_e32 v4, 0, v4, vcc
	v_add_u32_e32 v41, v4, v41
	v_cmp_eq_u32_e32 vcc, 0, v41
	v_cndmask_b32_e32 v4, 0, v4, vcc
	v_add_u32_e32 v42, v4, v42
	v_mad_u64_u32 v[4:5], s[0:1], v31, s64, 0
	v_mad_u64_u32 v[6:7], s[0:1], v41, s65, 0
	v_xor_b32_e32 v5, v5, v13
	v_xor_b32_e32 v7, v7, v12
	v_xor_b32_e32 v5, v42, v5
	v_xor_b32_e32 v7, v32, v7
	v_mad_u64_u32 v[10:11], s[0:1], v5, s65, 0
	v_mad_u64_u32 v[8:9], s[0:1], v7, s64, 0
	v_xor_b32_e32 v5, v30, v11
	v_xor_b32_e32 v5, v5, v6
	v_xor_b32_e32 v6, v33, v9
	v_xor_b32_e32 v6, v6, v4
	;; [unrolled: 6-line block ×10, first 2 shown]
	v_mov_b32_e32 v5, v10
	v_mov_b32_e32 v6, v11
	v_cmp_lt_i32_e32 vcc, 1, v20
	s_and_saveexec_b64 s[0:1], vcc
	s_xor_b64 s[0:1], exec, s[0:1]
	s_cbranch_execz .LBB21_15
; %bb.10:                               ;   in Loop: Header=BB21_9 Depth=1
	v_cmp_lt_i32_e32 vcc, 2, v20
	s_and_saveexec_b64 s[2:3], vcc
	s_xor_b64 s[2:3], exec, s[2:3]
; %bb.11:                               ;   in Loop: Header=BB21_9 Depth=1
	v_mov_b32_e32 v8, v3
	v_mov_b32_e32 v9, v4
	v_pk_mov_b32 v[0:1], v[8:9], v[8:9] op_sel:[0,1]
	v_pk_mov_b32 v[2:3], v[10:11], v[10:11] op_sel:[0,1]
                                        ; implicit-def: $vgpr10_vgpr11
; %bb.12:                               ;   in Loop: Header=BB21_9 Depth=1
	s_andn2_saveexec_b64 s[2:3], s[2:3]
; %bb.13:                               ;   in Loop: Header=BB21_9 Depth=1
	v_mov_b32_e32 v0, v2
	v_mov_b32_e32 v1, v3
	;; [unrolled: 1-line block ×4, first 2 shown]
; %bb.14:                               ;   in Loop: Header=BB21_9 Depth=1
	s_or_b64 exec, exec, s[2:3]
.LBB21_15:                              ;   in Loop: Header=BB21_9 Depth=1
	s_andn2_saveexec_b64 s[0:1], s[0:1]
	s_cbranch_execz .LBB21_19
; %bb.16:                               ;   in Loop: Header=BB21_9 Depth=1
	v_cmp_eq_u32_e32 vcc, 1, v20
	s_and_saveexec_b64 s[2:3], vcc
; %bb.17:                               ;   in Loop: Header=BB21_9 Depth=1
	v_mov_b32_e32 v0, v1
	v_mov_b32_e32 v1, v2
	;; [unrolled: 1-line block ×4, first 2 shown]
; %bb.18:                               ;   in Loop: Header=BB21_9 Depth=1
	s_or_b64 exec, exec, s[2:3]
.LBB21_19:                              ;   in Loop: Header=BB21_9 Depth=1
	s_or_b64 exec, exec, s[0:1]
	v_cndmask_b32_e64 v7, 0, 1, s[40:41]
	v_cmp_gt_i64_e32 vcc, s[24:25], v[16:17]
	v_cmp_ne_u32_e64 s[0:1], 1, v7
	s_and_saveexec_b64 s[58:59], vcc
	s_cbranch_execz .LBB21_39
; %bb.20:                               ;   in Loop: Header=BB21_9 Depth=1
	s_and_b64 vcc, exec, s[0:1]
	s_cbranch_vccnz .LBB21_26
; %bb.21:                               ;   in Loop: Header=BB21_9 Depth=1
	s_andn2_b64 vcc, exec, s[42:43]
	s_cbranch_vccnz .LBB21_27
; %bb.22:                               ;   in Loop: Header=BB21_9 Depth=1
	s_mov_b32 s4, 0
	s_andn2_b64 vcc, exec, s[52:53]
	v_mov_b32_e32 v8, 0
	s_cbranch_vccnz .LBB21_28
; %bb.23:                               ;   in Loop: Header=BB21_9 Depth=1
	s_mov_b32 s66, 0
	v_mov_b32_e32 v8, 0
	s_mov_b64 s[2:3], s[34:35]
	s_mov_b64 s[60:61], s[44:45]
	v_mov_b32_e32 v7, v16
.LBB21_24:                              ;   Parent Loop BB21_9 Depth=1
                                        ; =>  This Inner Loop Header: Depth=2
	s_load_dwordx8 s[16:23], s[2:3], 0x4
	s_load_dwordx4 s[4:7], s[2:3], 0x24
	s_load_dwordx4 s[36:39], s[60:61], 0x0
	s_add_u32 s2, s2, 48
	s_addc_u32 s3, s3, 0
	s_waitcnt lgkmcnt(0)
	v_mul_hi_u32 v9, s17, v7
	v_add_u32_e32 v9, v7, v9
	v_lshrrev_b32_e32 v9, s18, v9
	v_mul_lo_u32 v10, v9, s16
	v_mul_hi_u32 v11, s20, v9
	v_sub_u32_e32 v7, v7, v10
	v_add_u32_e32 v10, v9, v11
	v_lshrrev_b32_e32 v10, s21, v10
	v_mul_lo_u32 v11, v10, s19
	v_mul_hi_u32 v15, s23, v10
	v_sub_u32_e32 v9, v9, v11
	v_add_u32_e32 v11, v10, v15
	v_mul_lo_u32 v7, v7, s36
	v_mul_lo_u32 v9, v9, s37
	v_lshrrev_b32_e32 v11, s4, v11
	v_add3_u32 v8, v7, v8, v9
	v_mul_lo_u32 v7, v11, s22
	v_mul_hi_u32 v9, s6, v11
	v_sub_u32_e32 v7, v10, v7
	v_add_u32_e32 v9, v11, v9
	v_mul_lo_u32 v10, v7, s38
	v_lshrrev_b32_e32 v7, s7, v9
	s_add_i32 s66, s66, 4
	v_mul_lo_u32 v9, v7, s5
	s_add_u32 s60, s60, 16
	v_sub_u32_e32 v9, v11, v9
	s_addc_u32 s61, s61, 0
	v_mul_lo_u32 v9, v9, s39
	s_cmp_lg_u32 s15, s66
	v_add3_u32 v8, v10, v8, v9
	s_cbranch_scc1 .LBB21_24
; %bb.25:                               ;   in Loop: Header=BB21_9 Depth=1
	s_mov_b32 s4, s15
	s_andn2_b64 vcc, exec, s[56:57]
	s_cbranch_vccz .LBB21_29
	s_branch .LBB21_31
.LBB21_26:                              ;   in Loop: Header=BB21_9 Depth=1
                                        ; implicit-def: $vgpr8
	s_branch .LBB21_32
.LBB21_27:                              ;   in Loop: Header=BB21_9 Depth=1
	v_mov_b32_e32 v8, 0
	s_branch .LBB21_31
.LBB21_28:                              ;   in Loop: Header=BB21_9 Depth=1
	v_mov_b32_e32 v7, v16
	s_andn2_b64 vcc, exec, s[56:57]
	s_cbranch_vccnz .LBB21_31
.LBB21_29:                              ;   in Loop: Header=BB21_9 Depth=1
	s_lshl_b32 s2, s4, 2
	s_add_u32 s2, s44, s2
	s_addc_u32 s3, s45, 0
	s_mul_i32 s4, s4, 12
	s_add_u32 s4, s34, s4
	s_addc_u32 s5, s35, 0
	s_mov_b32 s6, s13
.LBB21_30:                              ;   Parent Loop BB21_9 Depth=1
                                        ; =>  This Inner Loop Header: Depth=2
	s_load_dwordx2 s[16:17], s[4:5], 0x4
	s_load_dword s7, s[4:5], 0xc
	s_load_dword s18, s[2:3], 0x0
	s_add_u32 s4, s4, 12
	s_addc_u32 s5, s5, 0
	s_waitcnt lgkmcnt(0)
	v_mul_hi_u32 v9, s17, v7
	v_add_u32_e32 v9, v7, v9
	v_lshrrev_b32_e32 v9, s7, v9
	s_add_u32 s2, s2, 4
	v_mul_lo_u32 v10, v9, s16
	s_addc_u32 s3, s3, 0
	s_add_i32 s6, s6, -1
	v_sub_u32_e32 v10, v7, v10
	s_cmp_lg_u32 s6, 0
	v_mov_b32_e32 v7, v9
	v_mad_u64_u32 v[8:9], s[16:17], v10, s18, v[8:9]
	s_cbranch_scc1 .LBB21_30
.LBB21_31:                              ;   in Loop: Header=BB21_9 Depth=1
	s_cbranch_execnz .LBB21_34
.LBB21_32:                              ;   in Loop: Header=BB21_9 Depth=1
	v_mul_hi_u32 v7, v16, s10
	v_add_u32_e32 v7, v7, v16
	v_lshrrev_b32_e32 v7, s11, v7
	v_mul_lo_u32 v8, v7, s9
	v_sub_u32_e32 v8, v16, v8
	s_andn2_b64 vcc, exec, s[46:47]
	s_waitcnt lgkmcnt(0)
	v_mul_lo_u32 v8, v8, s50
	s_cbranch_vccnz .LBB21_34
; %bb.33:                               ;   in Loop: Header=BB21_9 Depth=1
	v_mul_hi_u32 v9, s8, v7
	v_add_u32_e32 v9, v7, v9
	v_lshrrev_b32_e32 v9, s14, v9
	v_mul_lo_u32 v9, v9, s12
	v_sub_u32_e32 v7, v7, v9
	v_mad_u64_u32 v[8:9], s[2:3], v7, s51, v[8:9]
.LBB21_34:                              ;   in Loop: Header=BB21_9 Depth=1
	s_waitcnt lgkmcnt(0)
	v_or_b32_e32 v15, s31, v0
	v_cmp_ne_u64_e32 vcc, 0, v[14:15]
                                        ; implicit-def: $vgpr10_vgpr11
	s_and_saveexec_b64 s[2:3], vcc
	s_xor_b64 s[6:7], exec, s[2:3]
	s_cbranch_execz .LBB21_36
; %bb.35:                               ;   in Loop: Header=BB21_9 Depth=1
	v_cvt_f32_u32_e32 v7, s30
	v_cvt_f32_u32_e32 v9, s31
	s_sub_u32 s2, 0, s30
	s_subb_u32 s3, 0, s31
	v_mac_f32_e32 v7, 0x4f800000, v9
	v_rcp_f32_e32 v7, v7
	v_mul_f32_e32 v7, 0x5f7ffffc, v7
	v_mul_f32_e32 v9, 0x2f800000, v7
	v_trunc_f32_e32 v9, v9
	v_mac_f32_e32 v7, 0xcf800000, v9
	v_cvt_u32_f32_e32 v9, v9
	v_cvt_u32_f32_e32 v7, v7
	v_mul_lo_u32 v10, s2, v9
	v_mul_hi_u32 v15, s2, v7
	v_mul_lo_u32 v11, s3, v7
	v_add_u32_e32 v10, v15, v10
	v_mul_lo_u32 v19, s2, v7
	v_add_u32_e32 v10, v10, v11
	v_mul_hi_u32 v15, v7, v19
	v_mul_lo_u32 v43, v7, v10
	v_mul_hi_u32 v11, v7, v10
	v_add_co_u32_e32 v15, vcc, v15, v43
	v_addc_co_u32_e32 v11, vcc, 0, v11, vcc
	v_mul_hi_u32 v44, v9, v19
	v_mul_lo_u32 v19, v9, v19
	v_add_co_u32_e32 v15, vcc, v15, v19
	v_mul_hi_u32 v43, v9, v10
	v_addc_co_u32_e32 v11, vcc, v11, v44, vcc
	v_addc_co_u32_e32 v15, vcc, 0, v43, vcc
	v_mul_lo_u32 v10, v9, v10
	v_add_co_u32_e32 v10, vcc, v11, v10
	v_addc_co_u32_e32 v11, vcc, 0, v15, vcc
	v_add_co_u32_e32 v7, vcc, v7, v10
	v_addc_co_u32_e32 v9, vcc, v9, v11, vcc
	v_mul_lo_u32 v10, s2, v9
	v_mul_hi_u32 v11, s2, v7
	v_add_u32_e32 v10, v11, v10
	v_mul_lo_u32 v11, s3, v7
	v_add_u32_e32 v10, v10, v11
	v_mul_lo_u32 v15, s2, v7
	v_mul_hi_u32 v19, v9, v15
	v_mul_lo_u32 v43, v9, v15
	v_mul_lo_u32 v45, v7, v10
	v_mul_hi_u32 v15, v7, v15
	v_mul_hi_u32 v44, v7, v10
	v_add_co_u32_e32 v15, vcc, v15, v45
	v_addc_co_u32_e32 v44, vcc, 0, v44, vcc
	v_add_co_u32_e32 v15, vcc, v15, v43
	v_mul_hi_u32 v11, v9, v10
	v_addc_co_u32_e32 v15, vcc, v44, v19, vcc
	v_addc_co_u32_e32 v11, vcc, 0, v11, vcc
	v_mul_lo_u32 v10, v9, v10
	v_add_co_u32_e32 v10, vcc, v15, v10
	v_addc_co_u32_e32 v11, vcc, 0, v11, vcc
	v_add_co_u32_e32 v7, vcc, v7, v10
	v_addc_co_u32_e32 v9, vcc, v9, v11, vcc
	v_mad_u64_u32 v[10:11], s[2:3], v1, v9, 0
	v_mul_hi_u32 v15, v1, v7
	v_add_co_u32_e32 v15, vcc, v15, v10
	v_addc_co_u32_e32 v19, vcc, 0, v11, vcc
	v_mad_u64_u32 v[44:45], s[2:3], v0, v7, 0
	v_add_co_u32_e32 v7, vcc, v15, v44
	v_mad_u64_u32 v[10:11], s[2:3], v0, v9, 0
	v_addc_co_u32_e32 v7, vcc, v19, v45, vcc
	v_addc_co_u32_e32 v9, vcc, 0, v11, vcc
	v_add_co_u32_e32 v7, vcc, v7, v10
	v_addc_co_u32_e32 v9, vcc, 0, v9, vcc
	v_mul_lo_u32 v15, s31, v7
	v_mul_lo_u32 v9, s30, v9
	v_mad_u64_u32 v[10:11], s[2:3], s30, v7, 0
	v_add3_u32 v7, v11, v9, v15
	v_sub_u32_e32 v9, v0, v7
	v_mov_b32_e32 v11, s31
	v_sub_co_u32_e32 v10, vcc, v1, v10
	v_subb_co_u32_e64 v9, s[2:3], v9, v11, vcc
	v_subrev_co_u32_e64 v15, s[2:3], s30, v10
	v_subbrev_co_u32_e64 v19, s[4:5], 0, v9, s[2:3]
	v_cmp_le_u32_e64 s[4:5], s31, v19
	v_cndmask_b32_e64 v43, 0, -1, s[4:5]
	v_cmp_le_u32_e64 s[4:5], s30, v15
	v_subb_co_u32_e32 v0, vcc, v0, v7, vcc
	v_cndmask_b32_e64 v44, 0, -1, s[4:5]
	v_cmp_eq_u32_e64 s[4:5], s31, v19
	v_subb_co_u32_e64 v9, s[2:3], v9, v11, s[2:3]
	v_cmp_le_u32_e32 vcc, s31, v0
	v_cndmask_b32_e64 v43, v43, v44, s[4:5]
	v_subrev_co_u32_e64 v44, s[2:3], s30, v15
	v_cndmask_b32_e64 v7, 0, -1, vcc
	v_cmp_le_u32_e32 vcc, s30, v10
	v_subbrev_co_u32_e64 v9, s[2:3], 0, v9, s[2:3]
	v_cndmask_b32_e64 v11, 0, -1, vcc
	v_cmp_eq_u32_e32 vcc, s31, v0
	v_cmp_ne_u32_e64 s[2:3], 0, v43
	v_cndmask_b32_e32 v7, v7, v11, vcc
	v_cndmask_b32_e64 v9, v19, v9, s[2:3]
	v_cmp_ne_u32_e32 vcc, 0, v7
	v_cndmask_b32_e32 v11, v0, v9, vcc
	v_cndmask_b32_e64 v0, v15, v44, s[2:3]
	v_cndmask_b32_e32 v10, v10, v0, vcc
.LBB21_36:                              ;   in Loop: Header=BB21_9 Depth=1
	s_andn2_saveexec_b64 s[2:3], s[6:7]
	s_cbranch_execz .LBB21_38
; %bb.37:                               ;   in Loop: Header=BB21_9 Depth=1
	v_cvt_f32_u32_e32 v0, s30
	s_sub_i32 s4, 0, s30
	v_mov_b32_e32 v11, v14
	v_rcp_iflag_f32_e32 v0, v0
	v_mul_f32_e32 v0, 0x4f7ffffe, v0
	v_cvt_u32_f32_e32 v0, v0
	v_mul_lo_u32 v7, s4, v0
	v_mul_hi_u32 v7, v0, v7
	v_add_u32_e32 v0, v0, v7
	v_mul_hi_u32 v0, v1, v0
	v_mul_lo_u32 v0, v0, s30
	v_sub_u32_e32 v0, v1, v0
	v_subrev_u32_e32 v1, s30, v0
	v_cmp_le_u32_e32 vcc, s30, v0
	v_cndmask_b32_e32 v0, v0, v1, vcc
	v_subrev_u32_e32 v1, s30, v0
	v_cmp_le_u32_e32 vcc, s30, v0
	v_cndmask_b32_e32 v10, v0, v1, vcc
.LBB21_38:                              ;   in Loop: Header=BB21_9 Depth=1
	s_or_b64 exec, exec, s[2:3]
	v_mov_b32_e32 v0, s49
	v_add_co_u32_e32 v7, vcc, s48, v10
	v_addc_co_u32_e32 v0, vcc, v11, v0, vcc
	v_cvt_f64_i32_e32 v[0:1], v0
	v_ldexp_f64 v[0:1], v[0:1], 32
	v_cvt_f64_u32_e32 v[10:11], v7
	v_add_f64 v[0:1], v[0:1], v[10:11]
	global_store_dwordx2 v8, v[0:1], s[28:29]
.LBB21_39:                              ;   in Loop: Header=BB21_9 Depth=1
	s_or_b64 exec, exec, s[58:59]
	v_mov_b32_e32 v1, s63
	v_add_co_u32_e32 v0, vcc, s33, v16
	v_addc_co_u32_e32 v1, vcc, v17, v1, vcc
	v_cmp_gt_i64_e32 vcc, s[24:25], v[0:1]
	s_and_saveexec_b64 s[36:37], vcc
	s_cbranch_execz .LBB21_8
; %bb.40:                               ;   in Loop: Header=BB21_9 Depth=1
	s_and_b64 vcc, exec, s[0:1]
	s_cbranch_vccnz .LBB21_46
; %bb.41:                               ;   in Loop: Header=BB21_9 Depth=1
	s_andn2_b64 vcc, exec, s[42:43]
	s_cbranch_vccnz .LBB21_47
; %bb.42:                               ;   in Loop: Header=BB21_9 Depth=1
	s_mov_b32 s2, 0
	s_andn2_b64 vcc, exec, s[52:53]
	v_mov_b32_e32 v8, 0
	s_cbranch_vccnz .LBB21_48
; %bb.43:                               ;   in Loop: Header=BB21_9 Depth=1
	s_mov_b32 s60, 0
	v_mov_b32_e32 v8, 0
	s_mov_b64 s[38:39], s[34:35]
	s_mov_b64 s[58:59], s[44:45]
	v_mov_b32_e32 v1, v0
.LBB21_44:                              ;   Parent Loop BB21_9 Depth=1
                                        ; =>  This Inner Loop Header: Depth=2
	s_load_dwordx8 s[0:7], s[38:39], 0x4
	s_load_dwordx4 s[16:19], s[38:39], 0x24
	s_load_dwordx4 s[20:23], s[58:59], 0x0
	s_add_u32 s38, s38, 48
	s_addc_u32 s39, s39, 0
	s_waitcnt lgkmcnt(0)
	v_mul_hi_u32 v7, s1, v1
	v_add_u32_e32 v7, v1, v7
	v_lshrrev_b32_e32 v7, s2, v7
	v_mul_lo_u32 v9, v7, s0
	v_mul_hi_u32 v10, s4, v7
	v_sub_u32_e32 v1, v1, v9
	v_add_u32_e32 v9, v7, v10
	v_lshrrev_b32_e32 v9, s5, v9
	v_mul_lo_u32 v10, v9, s3
	v_mul_hi_u32 v11, s7, v9
	v_sub_u32_e32 v7, v7, v10
	v_add_u32_e32 v10, v9, v11
	v_mul_lo_u32 v1, v1, s20
	v_mul_lo_u32 v7, v7, s21
	v_lshrrev_b32_e32 v10, s16, v10
	v_add3_u32 v7, v1, v8, v7
	v_mul_lo_u32 v1, v10, s6
	v_mul_hi_u32 v8, s18, v10
	v_sub_u32_e32 v1, v9, v1
	v_add_u32_e32 v8, v10, v8
	v_mul_lo_u32 v9, v1, s22
	v_lshrrev_b32_e32 v1, s19, v8
	s_add_i32 s60, s60, 4
	v_mul_lo_u32 v8, v1, s17
	s_add_u32 s58, s58, 16
	v_sub_u32_e32 v8, v10, v8
	s_addc_u32 s59, s59, 0
	v_mul_lo_u32 v8, v8, s23
	s_cmp_eq_u32 s15, s60
	v_add3_u32 v8, v9, v7, v8
	s_cbranch_scc0 .LBB21_44
; %bb.45:                               ;   in Loop: Header=BB21_9 Depth=1
	s_mov_b32 s2, s15
	s_andn2_b64 vcc, exec, s[56:57]
	s_cbranch_vccz .LBB21_49
	s_branch .LBB21_51
.LBB21_46:                              ;   in Loop: Header=BB21_9 Depth=1
                                        ; implicit-def: $vgpr8
	s_branch .LBB21_52
.LBB21_47:                              ;   in Loop: Header=BB21_9 Depth=1
	v_mov_b32_e32 v8, 0
	s_branch .LBB21_51
.LBB21_48:                              ;   in Loop: Header=BB21_9 Depth=1
	v_mov_b32_e32 v1, v0
	s_andn2_b64 vcc, exec, s[56:57]
	s_cbranch_vccnz .LBB21_51
.LBB21_49:                              ;   in Loop: Header=BB21_9 Depth=1
	s_lshl_b32 s0, s2, 2
	s_add_u32 s0, s44, s0
	s_addc_u32 s1, s45, 0
	s_mul_i32 s2, s2, 12
	s_add_u32 s2, s34, s2
	s_addc_u32 s3, s35, 0
	s_mov_b32 s4, s13
.LBB21_50:                              ;   Parent Loop BB21_9 Depth=1
                                        ; =>  This Inner Loop Header: Depth=2
	s_load_dwordx2 s[6:7], s[2:3], 0x4
	s_load_dword s5, s[2:3], 0xc
	s_load_dword s16, s[0:1], 0x0
	s_add_u32 s2, s2, 12
	s_addc_u32 s3, s3, 0
	s_waitcnt lgkmcnt(0)
	v_mul_hi_u32 v7, s7, v1
	v_add_u32_e32 v7, v1, v7
	v_lshrrev_b32_e32 v7, s5, v7
	s_add_u32 s0, s0, 4
	v_mul_lo_u32 v9, v7, s6
	s_addc_u32 s1, s1, 0
	s_add_i32 s4, s4, -1
	v_sub_u32_e32 v9, v1, v9
	s_cmp_lg_u32 s4, 0
	v_mov_b32_e32 v1, v7
	v_mad_u64_u32 v[8:9], s[6:7], v9, s16, v[8:9]
	s_cbranch_scc1 .LBB21_50
.LBB21_51:                              ;   in Loop: Header=BB21_9 Depth=1
	s_cbranch_execnz .LBB21_54
.LBB21_52:                              ;   in Loop: Header=BB21_9 Depth=1
	v_mul_hi_u32 v1, v0, s10
	v_add_u32_e32 v1, v1, v0
	v_lshrrev_b32_e32 v1, s11, v1
	v_mul_lo_u32 v7, v1, s9
	v_sub_u32_e32 v0, v0, v7
	s_andn2_b64 vcc, exec, s[46:47]
	s_waitcnt lgkmcnt(0)
	v_mul_lo_u32 v8, v0, s50
	s_cbranch_vccnz .LBB21_54
; %bb.53:                               ;   in Loop: Header=BB21_9 Depth=1
	v_mul_hi_u32 v0, s8, v1
	v_add_u32_e32 v0, v1, v0
	v_lshrrev_b32_e32 v0, s14, v0
	v_mul_lo_u32 v0, v0, s12
	v_sub_u32_e32 v0, v1, v0
	v_mad_u64_u32 v[8:9], s[0:1], v0, s51, v[8:9]
.LBB21_54:                              ;   in Loop: Header=BB21_9 Depth=1
	s_waitcnt lgkmcnt(0)
	v_or_b32_e32 v15, s31, v2
	v_cmp_ne_u64_e32 vcc, 0, v[14:15]
                                        ; implicit-def: $vgpr10_vgpr11
	s_and_saveexec_b64 s[0:1], vcc
	s_xor_b64 s[4:5], exec, s[0:1]
	s_cbranch_execz .LBB21_56
; %bb.55:                               ;   in Loop: Header=BB21_9 Depth=1
	v_cvt_f32_u32_e32 v0, s30
	v_cvt_f32_u32_e32 v1, s31
	s_sub_u32 s0, 0, s30
	s_subb_u32 s1, 0, s31
	v_mac_f32_e32 v0, 0x4f800000, v1
	v_rcp_f32_e32 v0, v0
	v_mul_f32_e32 v0, 0x5f7ffffc, v0
	v_mul_f32_e32 v1, 0x2f800000, v0
	v_trunc_f32_e32 v1, v1
	v_mac_f32_e32 v0, 0xcf800000, v1
	v_cvt_u32_f32_e32 v1, v1
	v_cvt_u32_f32_e32 v0, v0
	v_mul_lo_u32 v7, s0, v1
	v_mul_hi_u32 v10, s0, v0
	v_mul_lo_u32 v9, s1, v0
	v_add_u32_e32 v7, v10, v7
	v_mul_lo_u32 v11, s0, v0
	v_add_u32_e32 v7, v7, v9
	v_mul_hi_u32 v10, v0, v11
	v_mul_lo_u32 v15, v0, v7
	v_mul_hi_u32 v9, v0, v7
	v_add_co_u32_e32 v10, vcc, v10, v15
	v_addc_co_u32_e32 v9, vcc, 0, v9, vcc
	v_mul_hi_u32 v19, v1, v11
	v_mul_lo_u32 v11, v1, v11
	v_add_co_u32_e32 v10, vcc, v10, v11
	v_mul_hi_u32 v15, v1, v7
	v_addc_co_u32_e32 v9, vcc, v9, v19, vcc
	v_addc_co_u32_e32 v10, vcc, 0, v15, vcc
	v_mul_lo_u32 v7, v1, v7
	v_add_co_u32_e32 v7, vcc, v9, v7
	v_addc_co_u32_e32 v9, vcc, 0, v10, vcc
	v_add_co_u32_e32 v0, vcc, v0, v7
	v_addc_co_u32_e32 v1, vcc, v1, v9, vcc
	v_mul_lo_u32 v7, s0, v1
	v_mul_hi_u32 v9, s0, v0
	v_add_u32_e32 v7, v9, v7
	v_mul_lo_u32 v9, s1, v0
	v_add_u32_e32 v7, v7, v9
	v_mul_lo_u32 v10, s0, v0
	v_mul_hi_u32 v11, v1, v10
	v_mul_lo_u32 v15, v1, v10
	v_mul_lo_u32 v43, v0, v7
	v_mul_hi_u32 v10, v0, v10
	v_mul_hi_u32 v19, v0, v7
	v_add_co_u32_e32 v10, vcc, v10, v43
	v_addc_co_u32_e32 v19, vcc, 0, v19, vcc
	v_add_co_u32_e32 v10, vcc, v10, v15
	v_mul_hi_u32 v9, v1, v7
	v_addc_co_u32_e32 v10, vcc, v19, v11, vcc
	v_addc_co_u32_e32 v9, vcc, 0, v9, vcc
	v_mul_lo_u32 v7, v1, v7
	v_add_co_u32_e32 v7, vcc, v10, v7
	v_addc_co_u32_e32 v9, vcc, 0, v9, vcc
	v_add_co_u32_e32 v7, vcc, v0, v7
	v_addc_co_u32_e32 v9, vcc, v1, v9, vcc
	v_mad_u64_u32 v[0:1], s[0:1], v3, v9, 0
	v_mul_hi_u32 v10, v3, v7
	v_add_co_u32_e32 v15, vcc, v10, v0
	v_addc_co_u32_e32 v19, vcc, 0, v1, vcc
	v_mad_u64_u32 v[10:11], s[0:1], v2, v7, 0
	v_add_co_u32_e32 v7, vcc, v15, v10
	v_mad_u64_u32 v[0:1], s[0:1], v2, v9, 0
	v_addc_co_u32_e32 v7, vcc, v19, v11, vcc
	v_addc_co_u32_e32 v1, vcc, 0, v1, vcc
	v_add_co_u32_e32 v0, vcc, v7, v0
	v_addc_co_u32_e32 v1, vcc, 0, v1, vcc
	v_mul_lo_u32 v7, s31, v0
	v_mul_lo_u32 v9, s30, v1
	v_mad_u64_u32 v[0:1], s[0:1], s30, v0, 0
	v_add3_u32 v1, v1, v9, v7
	v_sub_u32_e32 v7, v2, v1
	v_mov_b32_e32 v9, s31
	v_sub_co_u32_e32 v0, vcc, v3, v0
	v_subb_co_u32_e64 v3, s[0:1], v7, v9, vcc
	v_subrev_co_u32_e64 v7, s[0:1], s30, v0
	v_subbrev_co_u32_e64 v10, s[2:3], 0, v3, s[0:1]
	v_cmp_le_u32_e64 s[2:3], s31, v10
	v_cndmask_b32_e64 v11, 0, -1, s[2:3]
	v_cmp_le_u32_e64 s[2:3], s30, v7
	v_subb_co_u32_e64 v3, s[0:1], v3, v9, s[0:1]
	v_cndmask_b32_e64 v15, 0, -1, s[2:3]
	v_cmp_eq_u32_e64 s[2:3], s31, v10
	v_subrev_co_u32_e64 v9, s[0:1], s30, v7
	v_subb_co_u32_e32 v1, vcc, v2, v1, vcc
	v_cndmask_b32_e64 v11, v11, v15, s[2:3]
	v_subbrev_co_u32_e64 v3, s[0:1], 0, v3, s[0:1]
	v_cmp_le_u32_e32 vcc, s31, v1
	v_cmp_ne_u32_e64 s[0:1], 0, v11
	v_cndmask_b32_e64 v2, 0, -1, vcc
	v_cmp_le_u32_e32 vcc, s30, v0
	v_cndmask_b32_e64 v3, v10, v3, s[0:1]
	v_cndmask_b32_e64 v10, 0, -1, vcc
	v_cmp_eq_u32_e32 vcc, s31, v1
	v_cndmask_b32_e32 v2, v2, v10, vcc
	v_cmp_ne_u32_e32 vcc, 0, v2
	v_cndmask_b32_e32 v11, v1, v3, vcc
	v_cndmask_b32_e64 v1, v7, v9, s[0:1]
	v_cndmask_b32_e32 v10, v0, v1, vcc
                                        ; implicit-def: $vgpr0_vgpr1_vgpr2_vgpr3
.LBB21_56:                              ;   in Loop: Header=BB21_9 Depth=1
	s_andn2_saveexec_b64 s[0:1], s[4:5]
	s_cbranch_execz .LBB21_7
; %bb.57:                               ;   in Loop: Header=BB21_9 Depth=1
	v_cvt_f32_u32_e32 v0, s30
	s_sub_i32 s2, 0, s30
	v_mov_b32_e32 v11, v14
	v_rcp_iflag_f32_e32 v0, v0
	v_mul_f32_e32 v0, 0x4f7ffffe, v0
	v_cvt_u32_f32_e32 v0, v0
	v_mul_lo_u32 v1, s2, v0
	v_mul_hi_u32 v1, v0, v1
	v_add_u32_e32 v0, v0, v1
	v_mul_hi_u32 v0, v3, v0
	v_mul_lo_u32 v0, v0, s30
	v_sub_u32_e32 v0, v3, v0
	v_subrev_u32_e32 v1, s30, v0
	v_cmp_le_u32_e32 vcc, s30, v0
	v_cndmask_b32_e32 v0, v0, v1, vcc
	v_subrev_u32_e32 v1, s30, v0
	v_cmp_le_u32_e32 vcc, s30, v0
	v_cndmask_b32_e32 v10, v0, v1, vcc
	s_branch .LBB21_7
.LBB21_58:
	s_endpgm
.LBB21_59:
                                        ; implicit-def: $sgpr2_sgpr3
	s_andn2_b64 vcc, exec, s[0:1]
	s_cbranch_vccz .LBB21_4
	s_branch .LBB21_5
	.section	.rodata,"a",@progbits
	.p2align	6, 0x0
	.amdhsa_kernel _ZN2at6native12_GLOBAL__N_143distribution_elementwise_grid_stride_kernelImLi2EZZZNS0_9templates4cuda21random_from_to_kernelIPNS_17CUDAGeneratorImplEEEvRNS_18TensorIteratorBaseEmlT_ENKUlvE_clEvENKUlvE4_clEvEUlP25hiprandStatePhilox4_32_10E_ZNS1_27distribution_nullary_kernelIdm15HIP_vector_typeIyLj2EES7_SF_ZZZNS5_IS7_EEvS9_mlSA_ENKSB_clEvENKSC_clEvEUlmE_EEvS9_T2_RKT3_T4_EUlimE0_EEvlNS_15PhiloxCudaStateET1_SK_
		.amdhsa_group_segment_fixed_size 0
		.amdhsa_private_segment_fixed_size 0
		.amdhsa_kernarg_size 592
		.amdhsa_user_sgpr_count 6
		.amdhsa_user_sgpr_private_segment_buffer 1
		.amdhsa_user_sgpr_dispatch_ptr 0
		.amdhsa_user_sgpr_queue_ptr 0
		.amdhsa_user_sgpr_kernarg_segment_ptr 1
		.amdhsa_user_sgpr_dispatch_id 0
		.amdhsa_user_sgpr_flat_scratch_init 0
		.amdhsa_user_sgpr_kernarg_preload_length 0
		.amdhsa_user_sgpr_kernarg_preload_offset 0
		.amdhsa_user_sgpr_private_segment_size 0
		.amdhsa_uses_dynamic_stack 0
		.amdhsa_system_sgpr_private_segment_wavefront_offset 0
		.amdhsa_system_sgpr_workgroup_id_x 1
		.amdhsa_system_sgpr_workgroup_id_y 0
		.amdhsa_system_sgpr_workgroup_id_z 0
		.amdhsa_system_sgpr_workgroup_info 0
		.amdhsa_system_vgpr_workitem_id 0
		.amdhsa_next_free_vgpr 46
		.amdhsa_next_free_sgpr 67
		.amdhsa_accum_offset 48
		.amdhsa_reserve_vcc 1
		.amdhsa_reserve_flat_scratch 0
		.amdhsa_float_round_mode_32 0
		.amdhsa_float_round_mode_16_64 0
		.amdhsa_float_denorm_mode_32 3
		.amdhsa_float_denorm_mode_16_64 3
		.amdhsa_dx10_clamp 1
		.amdhsa_ieee_mode 1
		.amdhsa_fp16_overflow 0
		.amdhsa_tg_split 0
		.amdhsa_exception_fp_ieee_invalid_op 0
		.amdhsa_exception_fp_denorm_src 0
		.amdhsa_exception_fp_ieee_div_zero 0
		.amdhsa_exception_fp_ieee_overflow 0
		.amdhsa_exception_fp_ieee_underflow 0
		.amdhsa_exception_fp_ieee_inexact 0
		.amdhsa_exception_int_div_zero 0
	.end_amdhsa_kernel
	.section	.text._ZN2at6native12_GLOBAL__N_143distribution_elementwise_grid_stride_kernelImLi2EZZZNS0_9templates4cuda21random_from_to_kernelIPNS_17CUDAGeneratorImplEEEvRNS_18TensorIteratorBaseEmlT_ENKUlvE_clEvENKUlvE4_clEvEUlP25hiprandStatePhilox4_32_10E_ZNS1_27distribution_nullary_kernelIdm15HIP_vector_typeIyLj2EES7_SF_ZZZNS5_IS7_EEvS9_mlSA_ENKSB_clEvENKSC_clEvEUlmE_EEvS9_T2_RKT3_T4_EUlimE0_EEvlNS_15PhiloxCudaStateET1_SK_,"axG",@progbits,_ZN2at6native12_GLOBAL__N_143distribution_elementwise_grid_stride_kernelImLi2EZZZNS0_9templates4cuda21random_from_to_kernelIPNS_17CUDAGeneratorImplEEEvRNS_18TensorIteratorBaseEmlT_ENKUlvE_clEvENKUlvE4_clEvEUlP25hiprandStatePhilox4_32_10E_ZNS1_27distribution_nullary_kernelIdm15HIP_vector_typeIyLj2EES7_SF_ZZZNS5_IS7_EEvS9_mlSA_ENKSB_clEvENKSC_clEvEUlmE_EEvS9_T2_RKT3_T4_EUlimE0_EEvlNS_15PhiloxCudaStateET1_SK_,comdat
.Lfunc_end21:
	.size	_ZN2at6native12_GLOBAL__N_143distribution_elementwise_grid_stride_kernelImLi2EZZZNS0_9templates4cuda21random_from_to_kernelIPNS_17CUDAGeneratorImplEEEvRNS_18TensorIteratorBaseEmlT_ENKUlvE_clEvENKUlvE4_clEvEUlP25hiprandStatePhilox4_32_10E_ZNS1_27distribution_nullary_kernelIdm15HIP_vector_typeIyLj2EES7_SF_ZZZNS5_IS7_EEvS9_mlSA_ENKSB_clEvENKSC_clEvEUlmE_EEvS9_T2_RKT3_T4_EUlimE0_EEvlNS_15PhiloxCudaStateET1_SK_, .Lfunc_end21-_ZN2at6native12_GLOBAL__N_143distribution_elementwise_grid_stride_kernelImLi2EZZZNS0_9templates4cuda21random_from_to_kernelIPNS_17CUDAGeneratorImplEEEvRNS_18TensorIteratorBaseEmlT_ENKUlvE_clEvENKUlvE4_clEvEUlP25hiprandStatePhilox4_32_10E_ZNS1_27distribution_nullary_kernelIdm15HIP_vector_typeIyLj2EES7_SF_ZZZNS5_IS7_EEvS9_mlSA_ENKSB_clEvENKSC_clEvEUlmE_EEvS9_T2_RKT3_T4_EUlimE0_EEvlNS_15PhiloxCudaStateET1_SK_
                                        ; -- End function
	.section	.AMDGPU.csdata,"",@progbits
; Kernel info:
; codeLenInByte = 4728
; NumSgprs: 71
; NumVgprs: 46
; NumAgprs: 0
; TotalNumVgprs: 46
; ScratchSize: 0
; MemoryBound: 0
; FloatMode: 240
; IeeeMode: 1
; LDSByteSize: 0 bytes/workgroup (compile time only)
; SGPRBlocks: 8
; VGPRBlocks: 5
; NumSGPRsForWavesPerEU: 71
; NumVGPRsForWavesPerEU: 46
; AccumOffset: 48
; Occupancy: 8
; WaveLimiterHint : 1
; COMPUTE_PGM_RSRC2:SCRATCH_EN: 0
; COMPUTE_PGM_RSRC2:USER_SGPR: 6
; COMPUTE_PGM_RSRC2:TRAP_HANDLER: 0
; COMPUTE_PGM_RSRC2:TGID_X_EN: 1
; COMPUTE_PGM_RSRC2:TGID_Y_EN: 0
; COMPUTE_PGM_RSRC2:TGID_Z_EN: 0
; COMPUTE_PGM_RSRC2:TIDIG_COMP_CNT: 0
; COMPUTE_PGM_RSRC3_GFX90A:ACCUM_OFFSET: 11
; COMPUTE_PGM_RSRC3_GFX90A:TG_SPLIT: 0
	.section	.text._ZN2at6native12_GLOBAL__N_143distribution_elementwise_grid_stride_kernelIjLi4EZZZNS0_9templates4cuda21random_from_to_kernelIPNS_17CUDAGeneratorImplEEEvRNS_18TensorIteratorBaseEmlT_ENKUlvE_clEvENKUlvE4_clEvEUlP25hiprandStatePhilox4_32_10E0_ZNS1_27distribution_nullary_kernelIdj15HIP_vector_typeIjLj4EES7_SF_ZZZNS5_IS7_EEvS9_mlSA_ENKSB_clEvENKSC_clEvEUljE_EEvS9_T2_RKT3_T4_EUlijE_EEvlNS_15PhiloxCudaStateET1_SK_,"axG",@progbits,_ZN2at6native12_GLOBAL__N_143distribution_elementwise_grid_stride_kernelIjLi4EZZZNS0_9templates4cuda21random_from_to_kernelIPNS_17CUDAGeneratorImplEEEvRNS_18TensorIteratorBaseEmlT_ENKUlvE_clEvENKUlvE4_clEvEUlP25hiprandStatePhilox4_32_10E0_ZNS1_27distribution_nullary_kernelIdj15HIP_vector_typeIjLj4EES7_SF_ZZZNS5_IS7_EEvS9_mlSA_ENKSB_clEvENKSC_clEvEUljE_EEvS9_T2_RKT3_T4_EUlijE_EEvlNS_15PhiloxCudaStateET1_SK_,comdat
	.globl	_ZN2at6native12_GLOBAL__N_143distribution_elementwise_grid_stride_kernelIjLi4EZZZNS0_9templates4cuda21random_from_to_kernelIPNS_17CUDAGeneratorImplEEEvRNS_18TensorIteratorBaseEmlT_ENKUlvE_clEvENKUlvE4_clEvEUlP25hiprandStatePhilox4_32_10E0_ZNS1_27distribution_nullary_kernelIdj15HIP_vector_typeIjLj4EES7_SF_ZZZNS5_IS7_EEvS9_mlSA_ENKSB_clEvENKSC_clEvEUljE_EEvS9_T2_RKT3_T4_EUlijE_EEvlNS_15PhiloxCudaStateET1_SK_ ; -- Begin function _ZN2at6native12_GLOBAL__N_143distribution_elementwise_grid_stride_kernelIjLi4EZZZNS0_9templates4cuda21random_from_to_kernelIPNS_17CUDAGeneratorImplEEEvRNS_18TensorIteratorBaseEmlT_ENKUlvE_clEvENKUlvE4_clEvEUlP25hiprandStatePhilox4_32_10E0_ZNS1_27distribution_nullary_kernelIdj15HIP_vector_typeIjLj4EES7_SF_ZZZNS5_IS7_EEvS9_mlSA_ENKSB_clEvENKSC_clEvEUljE_EEvS9_T2_RKT3_T4_EUlijE_EEvlNS_15PhiloxCudaStateET1_SK_
	.p2align	8
	.type	_ZN2at6native12_GLOBAL__N_143distribution_elementwise_grid_stride_kernelIjLi4EZZZNS0_9templates4cuda21random_from_to_kernelIPNS_17CUDAGeneratorImplEEEvRNS_18TensorIteratorBaseEmlT_ENKUlvE_clEvENKUlvE4_clEvEUlP25hiprandStatePhilox4_32_10E0_ZNS1_27distribution_nullary_kernelIdj15HIP_vector_typeIjLj4EES7_SF_ZZZNS5_IS7_EEvS9_mlSA_ENKSB_clEvENKSC_clEvEUljE_EEvS9_T2_RKT3_T4_EUlijE_EEvlNS_15PhiloxCudaStateET1_SK_,@function
_ZN2at6native12_GLOBAL__N_143distribution_elementwise_grid_stride_kernelIjLi4EZZZNS0_9templates4cuda21random_from_to_kernelIPNS_17CUDAGeneratorImplEEEvRNS_18TensorIteratorBaseEmlT_ENKUlvE_clEvENKUlvE4_clEvEUlP25hiprandStatePhilox4_32_10E0_ZNS1_27distribution_nullary_kernelIdj15HIP_vector_typeIjLj4EES7_SF_ZZZNS5_IS7_EEvS9_mlSA_ENKSB_clEvENKSC_clEvEUljE_EEvS9_T2_RKT3_T4_EUlijE_EEvlNS_15PhiloxCudaStateET1_SK_: ; @_ZN2at6native12_GLOBAL__N_143distribution_elementwise_grid_stride_kernelIjLi4EZZZNS0_9templates4cuda21random_from_to_kernelIPNS_17CUDAGeneratorImplEEEvRNS_18TensorIteratorBaseEmlT_ENKUlvE_clEvENKUlvE4_clEvEUlP25hiprandStatePhilox4_32_10E0_ZNS1_27distribution_nullary_kernelIdj15HIP_vector_typeIjLj4EES7_SF_ZZZNS5_IS7_EEvS9_mlSA_ENKSB_clEvENKSC_clEvEUljE_EEvS9_T2_RKT3_T4_EUlijE_EEvlNS_15PhiloxCudaStateET1_SK_
; %bb.0:
	s_load_dword s7, s[4:5], 0x20
	s_load_dwordx2 s[10:11], s[4:5], 0x10
	s_load_dwordx4 s[0:3], s[4:5], 0x0
	s_mov_b32 s8, 0
	s_waitcnt lgkmcnt(0)
	s_bitcmp0_b32 s7, 0
	v_pk_mov_b32 v[2:3], s[10:11], s[10:11] op_sel:[0,1]
	v_pk_mov_b32 v[14:15], s[2:3], s[2:3] op_sel:[0,1]
	s_cbranch_scc1 .LBB22_2
; %bb.1:
	v_pk_mov_b32 v[2:3], s[10:11], s[10:11] op_sel:[0,1]
	flat_load_dwordx2 v[2:3], v[2:3]
	v_pk_mov_b32 v[4:5], s[2:3], s[2:3] op_sel:[0,1]
	flat_load_dwordx2 v[14:15], v[4:5]
	s_load_dwordx2 s[2:3], s[4:5], 0x18
	s_waitcnt lgkmcnt(0)
	v_mov_b32_e32 v1, s3
	s_waitcnt vmcnt(0)
	v_add_co_u32_e32 v2, vcc, s2, v2
	v_addc_co_u32_e32 v3, vcc, v3, v1, vcc
.LBB22_2:
	s_load_dword s2, s[4:5], 0x5c
	s_load_dword s14, s[4:5], 0x50
	s_waitcnt lgkmcnt(0)
	s_and_b32 s7, s2, 0xffff
	s_add_u32 s10, s0, -1
	s_mul_i32 s16, s14, s7
	s_addc_u32 s9, s1, -1
	s_lshl_b32 s17, s16, 2
	s_cmp_lg_u64 s[8:9], 0
	s_mov_b64 s[2:3], -1
	s_cbranch_scc0 .LBB22_35
; %bb.3:
	v_cvt_f32_u32_e32 v1, s17
	v_cvt_f32_ubyte0_e32 v4, 0
	s_sub_u32 s8, 0, s17
	s_subb_u32 s11, 0, 0
	v_madmk_f32 v1, v4, 0x4f800000, v1
	v_rcp_f32_e32 v1, v1
	v_mul_f32_e32 v1, 0x5f7ffffc, v1
	v_mul_f32_e32 v4, 0x2f800000, v1
	v_trunc_f32_e32 v4, v4
	v_madmk_f32 v1, v4, 0xcf800000, v1
	v_cvt_u32_f32_e32 v4, v4
	v_cvt_u32_f32_e32 v1, v1
	v_readfirstlane_b32 s12, v4
	v_readfirstlane_b32 s13, v1
	s_mul_i32 s15, s8, s12
	s_mul_hi_u32 s19, s8, s13
	s_mul_i32 s18, s11, s13
	s_add_i32 s15, s19, s15
	s_add_i32 s15, s15, s18
	s_mul_i32 s20, s8, s13
	s_mul_hi_u32 s18, s13, s15
	s_mul_i32 s19, s13, s15
	s_mul_hi_u32 s13, s13, s20
	s_add_u32 s13, s13, s19
	s_addc_u32 s18, 0, s18
	s_mul_hi_u32 s21, s12, s20
	s_mul_i32 s20, s12, s20
	s_add_u32 s13, s13, s20
	s_mul_hi_u32 s19, s12, s15
	s_addc_u32 s13, s18, s21
	s_addc_u32 s18, s19, 0
	s_mul_i32 s15, s12, s15
	s_add_u32 s13, s13, s15
	s_addc_u32 s15, 0, s18
	v_add_co_u32_e32 v1, vcc, s13, v1
	s_cmp_lg_u64 vcc, 0
	s_addc_u32 s12, s12, s15
	v_readfirstlane_b32 s15, v1
	s_mul_i32 s13, s8, s12
	s_mul_hi_u32 s18, s8, s15
	s_add_i32 s13, s18, s13
	s_mul_i32 s11, s11, s15
	s_add_i32 s13, s13, s11
	s_mul_i32 s8, s8, s15
	s_mul_hi_u32 s18, s12, s8
	s_mul_i32 s19, s12, s8
	s_mul_i32 s21, s15, s13
	s_mul_hi_u32 s8, s15, s8
	s_mul_hi_u32 s20, s15, s13
	s_add_u32 s8, s8, s21
	s_addc_u32 s15, 0, s20
	s_add_u32 s8, s8, s19
	s_mul_hi_u32 s11, s12, s13
	s_addc_u32 s8, s15, s18
	s_addc_u32 s11, s11, 0
	s_mul_i32 s13, s12, s13
	s_add_u32 s8, s8, s13
	s_addc_u32 s11, 0, s11
	v_add_co_u32_e32 v1, vcc, s8, v1
	s_cmp_lg_u64 vcc, 0
	s_addc_u32 s11, s12, s11
	s_ashr_i32 s12, s9, 31
	s_add_u32 s8, s10, s12
	s_mov_b32 s13, s12
	s_addc_u32 s9, s9, s12
	s_xor_b64 s[8:9], s[8:9], s[12:13]
	v_readfirstlane_b32 s19, v1
	s_mul_i32 s18, s8, s11
	s_mul_hi_u32 s20, s8, s19
	s_mul_hi_u32 s15, s8, s11
	s_add_u32 s18, s20, s18
	s_addc_u32 s15, 0, s15
	s_mul_hi_u32 s21, s9, s19
	s_mul_i32 s19, s9, s19
	s_add_u32 s18, s18, s19
	s_mul_hi_u32 s20, s9, s11
	s_addc_u32 s15, s15, s21
	s_addc_u32 s18, s20, 0
	s_mul_i32 s11, s9, s11
	s_add_u32 s11, s15, s11
	s_addc_u32 s15, 0, s18
	s_add_u32 s18, s11, 1
	s_addc_u32 s19, s15, 0
	s_add_u32 s20, s11, 2
	s_mul_i32 s22, s17, s15
	s_mul_hi_u32 s23, s17, s11
	s_addc_u32 s21, s15, 0
	s_add_i32 s23, s23, s22
	s_mul_i32 s22, s17, s11
	v_mov_b32_e32 v1, s22
	v_sub_co_u32_e32 v1, vcc, s8, v1
	s_cmp_lg_u64 vcc, 0
	s_subb_u32 s8, s9, s23
	v_subrev_co_u32_e32 v4, vcc, s17, v1
	s_cmp_lg_u64 vcc, 0
	s_subb_u32 s9, s8, 0
	v_readfirstlane_b32 s22, v4
	s_cmp_ge_u32 s22, s17
	s_cselect_b32 s22, -1, 0
	s_cmp_eq_u32 s9, 0
	s_cselect_b32 s9, s22, -1
	s_cmp_lg_u32 s9, 0
	s_cselect_b32 s9, s21, s19
	v_readfirstlane_b32 s19, v1
	s_cselect_b32 s18, s20, s18
	s_cmp_ge_u32 s19, s17
	s_cselect_b32 s19, -1, 0
	s_cmp_eq_u32 s8, 0
	s_cselect_b32 s8, s19, -1
	s_cmp_lg_u32 s8, 0
	s_cselect_b32 s9, s9, s15
	s_cselect_b32 s8, s18, s11
	s_xor_b64 s[8:9], s[8:9], s[12:13]
	s_sub_u32 s8, s8, s12
	s_subb_u32 s9, s9, s12
	s_cbranch_execnz .LBB22_5
.LBB22_4:
	v_cvt_f32_u32_e32 v1, s17
	s_sub_i32 s2, 0, s17
	s_mov_b32 s9, 0
	v_rcp_iflag_f32_e32 v1, v1
	v_mul_f32_e32 v1, 0x4f7ffffe, v1
	v_cvt_u32_f32_e32 v1, v1
	v_readfirstlane_b32 s3, v1
	s_mul_i32 s2, s2, s3
	s_mul_hi_u32 s2, s3, s2
	s_add_i32 s3, s3, s2
	s_mul_hi_u32 s2, s10, s3
	s_mul_i32 s8, s2, s17
	s_sub_i32 s8, s10, s8
	s_add_i32 s3, s2, 1
	s_sub_i32 s10, s8, s17
	s_cmp_ge_u32 s8, s17
	s_cselect_b32 s2, s3, s2
	s_cselect_b32 s8, s10, s8
	s_add_i32 s3, s2, 1
	s_cmp_ge_u32 s8, s17
	s_cselect_b32 s8, s3, s2
.LBB22_5:
	v_mov_b32_e32 v1, 0
	v_mov_b32_e32 v4, s6
	v_mad_u64_u32 v[16:17], s[2:3], s7, v4, v[0:1]
	s_add_u32 s2, s8, 1
	s_addc_u32 s3, s9, 0
	s_mul_hi_u32 s8, s14, s7
	s_mul_i32 s3, s16, s3
	s_mul_hi_u32 s9, s16, s2
	s_add_i32 s3, s9, s3
	s_mul_i32 s8, s8, s2
	s_add_i32 s3, s3, s8
	s_mul_i32 s2, s16, s2
	s_lshl_b64 s[2:3], s[2:3], 2
	v_cmp_gt_i64_e32 vcc, s[2:3], v[16:17]
	s_and_saveexec_b64 s[8:9], vcc
	s_cbranch_execz .LBB22_34
; %bb.6:
	s_load_dwordx2 s[12:13], s[4:5], 0x30
	s_load_dword s15, s[4:5], 0x38
	s_load_dwordx4 s[8:11], s[4:5], 0x40
	v_mov_b32_e32 v4, v15
	s_mov_b32 s4, 0xdb3d7428
	v_add_co_u32_e32 v23, vcc, s4, v4
	s_mov_b32 s4, 0x5384540f
	v_add_co_u32_e32 v24, vcc, s4, v14
	;; [unrolled: 2-line block ×7, first 2 shown]
	s_mov_b32 s4, 0x9e3779b9
	v_alignbit_b32 v31, v3, v2, 2
	s_mov_b32 s19, 0xd2511f53
	v_add_co_u32_e32 v30, vcc, s4, v14
	v_mad_u64_u32 v[6:7], s[4:5], v31, s19, 0
	v_and_b32_e32 v20, 3, v2
	v_xor_b32_e32 v2, v7, v15
	v_xor_b32_e32 v2, v2, v17
	s_mov_b32 s20, 0xcd9e8d57
	v_mad_u64_u32 v[8:9], s[4:5], v2, s20, 0
	v_xor_b32_e32 v2, v30, v9
	v_mad_u64_u32 v[10:11], s[4:5], v16, s20, 0
	v_xor_b32_e32 v2, v2, v10
	;; [unrolled: 2-line block ×3, first 2 shown]
	v_lshrrev_b32_e32 v32, 2, v3
	v_xor_b32_e32 v2, v2, v32
	v_xor_b32_e32 v5, v29, v13
	v_mad_u64_u32 v[2:3], s[4:5], v2, s19, 0
	v_xor_b32_e32 v2, v5, v2
	v_mad_u64_u32 v[10:11], s[4:5], v2, s20, 0
	s_mov_b32 s4, 0xbb67ae85
	v_add_co_u32_e32 v33, vcc, s4, v4
	v_xor_b32_e32 v2, v33, v3
	v_xor_b32_e32 v2, v2, v6
	v_xor_b32_e32 v5, v28, v11
	v_mad_u64_u32 v[2:3], s[4:5], v2, s20, 0
	v_xor_b32_e32 v2, v5, v2
	v_mad_u64_u32 v[6:7], s[4:5], v2, s19, 0
	s_mov_b32 s4, 0x3c6ef372
	v_add_co_u32_e32 v34, vcc, s4, v14
	v_xor_b32_e32 v2, v34, v3
	;; [unrolled: 8-line block ×7, first 2 shown]
	v_xor_b32_e32 v2, v2, v12
	v_mad_u64_u32 v[2:3], s[4:5], v2, s20, 0
	s_mov_b32 s4, 0xf1bbcdc8
	v_add_co_u32_e32 v40, vcc, s4, v14
	v_xor_b32_e32 v3, v40, v3
	v_xor_b32_e32 v3, v3, v10
	v_mad_u64_u32 v[10:11], s[4:5], v3, s19, 0
	s_mul_i32 s4, s6, s7
	v_xor_b32_e32 v3, v11, v6
	v_add_u32_e32 v6, s4, v0
	s_waitcnt lgkmcnt(0)
	s_mul_i32 s4, s14, s15
	s_mul_i32 s4, s4, s7
	s_lshl_b32 s25, s4, 2
	s_mul_i32 s4, s14, 3
	s_add_i32 s4, s6, s4
	s_mul_i32 s4, s4, s7
	v_mul_lo_u32 v41, s15, v6
	v_add_u32_e32 v6, s4, v0
	s_lshl_b32 s4, s14, 1
	s_add_i32 s4, s6, s4
	s_mul_i32 s4, s4, s7
	v_mul_lo_u32 v42, s15, v6
	v_add_u32_e32 v6, s4, v0
	s_add_i32 s4, s6, s14
	s_mul_i32 s4, s4, s7
	s_mov_b32 s18, 0
	v_add_u32_e32 v21, 0x8ff34781, v14
	v_add_u32_e32 v22, 0x96a522ad, v15
	v_xor_b32_e32 v2, v9, v2
	v_add_u32_e32 v0, s4, v0
	v_xor_b32_e32 v2, v21, v2
	v_xor_b32_e32 v4, v22, v3
	v_mov_b32_e32 v3, v8
	v_mov_b32_e32 v5, v10
	s_lshl_b32 s21, s16, 1
	s_mov_b32 s22, s18
	s_mul_i32 s23, s16, 3
	s_mov_b32 s24, s18
	v_mul_lo_u32 v43, s15, v6
	v_mul_lo_u32 v44, s15, v0
	s_mov_b64 s[4:5], 0
	s_mov_b32 s26, s18
	v_mov_b32_e32 v45, v16
	v_mov_b32_e32 v46, v17
	s_branch .LBB22_9
.LBB22_7:                               ;   in Loop: Header=BB22_9 Depth=1
	s_or_b64 exec, exec, s[14:15]
	v_add_u32_e32 v2, s26, v42
	v_ashrrev_i32_e32 v3, 31, v2
	v_mov_b32_e32 v4, s13
	v_add_co_u32_e32 v2, vcc, s12, v2
	v_addc_co_u32_e32 v3, vcc, v4, v3, vcc
	v_mov_b32_e32 v4, s11
	v_add_co_u32_e32 v0, vcc, s10, v0
	v_addc_co_u32_e32 v4, vcc, v1, v4, vcc
	v_cvt_f64_i32_e32 v[4:5], v4
	v_ldexp_f64 v[4:5], v[4:5], 32
	v_cvt_f64_u32_e32 v[10:11], v0
	v_add_f64 v[4:5], v[4:5], v[10:11]
	global_store_dwordx2 v[2:3], v[4:5], off
.LBB22_8:                               ;   in Loop: Header=BB22_9 Depth=1
	s_or_b64 exec, exec, s[6:7]
	v_add_co_u32_e32 v16, vcc, s17, v16
	v_addc_co_u32_e32 v17, vcc, 0, v17, vcc
	v_mov_b32_e32 v9, v18
	s_add_i32 s26, s26, s25
	v_cmp_le_i64_e32 vcc, s[2:3], v[16:17]
	v_pk_mov_b32 v[2:3], v[6:7], v[6:7] op_sel:[0,1]
	s_or_b64 s[4:5], vcc, s[4:5]
	v_pk_mov_b32 v[4:5], v[8:9], v[8:9] op_sel:[0,1]
	s_barrier
	s_andn2_b64 exec, exec, s[4:5]
	s_cbranch_execz .LBB22_34
.LBB22_9:                               ; =>This Inner Loop Header: Depth=1
	v_add_co_u32_e32 v31, vcc, 1, v31
	v_cndmask_b32_e64 v0, 0, 1, vcc
	v_addc_co_u32_e32 v32, vcc, 0, v32, vcc
	v_cmp_eq_u32_e32 vcc, 0, v32
	v_cndmask_b32_e32 v0, 0, v0, vcc
	v_add_u32_e32 v45, v0, v45
	v_cmp_eq_u32_e32 vcc, 0, v45
	v_cndmask_b32_e32 v0, 0, v0, vcc
	v_mad_u64_u32 v[6:7], s[6:7], v31, s19, 0
	v_mad_u64_u32 v[8:9], s[6:7], v45, s20, 0
	v_add_u32_e32 v46, v0, v46
	v_xor_b32_e32 v0, v9, v14
	v_xor_b32_e32 v7, v7, v15
	v_xor_b32_e32 v0, v32, v0
	v_xor_b32_e32 v7, v46, v7
	v_mad_u64_u32 v[10:11], s[6:7], v0, s19, 0
	v_mad_u64_u32 v[12:13], s[6:7], v7, s20, 0
	v_xor_b32_e32 v0, v30, v13
	v_xor_b32_e32 v7, v33, v11
	v_xor_b32_e32 v0, v0, v8
	v_xor_b32_e32 v8, v7, v6
	v_mad_u64_u32 v[6:7], s[6:7], v0, s19, 0
	v_mad_u64_u32 v[8:9], s[6:7], v8, s20, 0
	;; [unrolled: 6-line block ×9, first 2 shown]
	v_xor_b32_e32 v0, v13, v6
	v_xor_b32_e32 v6, v21, v0
	;; [unrolled: 1-line block ×4, first 2 shown]
	v_mov_b32_e32 v7, v12
	v_mov_b32_e32 v8, v13
	v_cmp_lt_i32_e32 vcc, 1, v20
	s_and_saveexec_b64 s[6:7], vcc
	s_xor_b64 s[6:7], exec, s[6:7]
	s_cbranch_execnz .LBB22_12
; %bb.10:                               ;   in Loop: Header=BB22_9 Depth=1
	s_andn2_saveexec_b64 s[6:7], s[6:7]
	s_cbranch_execnz .LBB22_17
.LBB22_11:                              ;   in Loop: Header=BB22_9 Depth=1
	s_or_b64 exec, exec, s[6:7]
	v_cmp_gt_i64_e32 vcc, s[0:1], v[16:17]
	s_and_saveexec_b64 s[6:7], vcc
	s_cbranch_execnz .LBB22_20
	s_branch .LBB22_23
.LBB22_12:                              ;   in Loop: Header=BB22_9 Depth=1
	v_cmp_lt_i32_e32 vcc, 2, v20
	s_and_saveexec_b64 s[14:15], vcc
	s_xor_b64 s[14:15], exec, s[14:15]
; %bb.13:                               ;   in Loop: Header=BB22_9 Depth=1
	v_mov_b32_e32 v10, v5
	v_mov_b32_e32 v11, v6
	v_pk_mov_b32 v[2:3], v[10:11], v[10:11] op_sel:[0,1]
	v_pk_mov_b32 v[4:5], v[12:13], v[12:13] op_sel:[0,1]
                                        ; implicit-def: $vgpr12_vgpr13
; %bb.14:                               ;   in Loop: Header=BB22_9 Depth=1
	s_andn2_saveexec_b64 s[14:15], s[14:15]
; %bb.15:                               ;   in Loop: Header=BB22_9 Depth=1
	v_mov_b32_e32 v2, v4
	v_mov_b32_e32 v3, v5
	;; [unrolled: 1-line block ×4, first 2 shown]
; %bb.16:                               ;   in Loop: Header=BB22_9 Depth=1
	s_or_b64 exec, exec, s[14:15]
	s_andn2_saveexec_b64 s[6:7], s[6:7]
	s_cbranch_execz .LBB22_11
.LBB22_17:                              ;   in Loop: Header=BB22_9 Depth=1
	v_cmp_eq_u32_e32 vcc, 1, v20
	s_and_saveexec_b64 s[14:15], vcc
; %bb.18:                               ;   in Loop: Header=BB22_9 Depth=1
	v_mov_b32_e32 v2, v3
	v_mov_b32_e32 v3, v4
	;; [unrolled: 1-line block ×4, first 2 shown]
; %bb.19:                               ;   in Loop: Header=BB22_9 Depth=1
	s_or_b64 exec, exec, s[14:15]
	s_or_b64 exec, exec, s[6:7]
	v_cmp_gt_i64_e32 vcc, s[0:1], v[16:17]
	s_and_saveexec_b64 s[6:7], vcc
	s_cbranch_execz .LBB22_23
.LBB22_20:                              ;   in Loop: Header=BB22_9 Depth=1
	v_mov_b32_e32 v0, v2
	v_cmp_le_u64_e32 vcc, s[8:9], v[0:1]
	s_and_saveexec_b64 s[14:15], vcc
	s_cbranch_execz .LBB22_22
; %bb.21:                               ;   in Loop: Header=BB22_9 Depth=1
	v_cvt_f32_u32_e32 v2, s8
	s_sub_i32 s27, 0, s8
	v_rcp_iflag_f32_e32 v2, v2
	v_mul_f32_e32 v2, 0x4f7ffffe, v2
	v_cvt_u32_f32_e32 v2, v2
	v_mul_lo_u32 v9, s27, v2
	v_mul_hi_u32 v9, v2, v9
	v_add_u32_e32 v2, v2, v9
	v_mul_hi_u32 v2, v0, v2
	v_mul_lo_u32 v2, v2, s8
	v_sub_u32_e32 v0, v0, v2
	v_subrev_u32_e32 v2, s8, v0
	v_cmp_le_u32_e32 vcc, s8, v0
	v_cndmask_b32_e32 v0, v0, v2, vcc
	v_subrev_u32_e32 v2, s8, v0
	v_cmp_le_u32_e32 vcc, s8, v0
	v_cndmask_b32_e32 v0, v0, v2, vcc
.LBB22_22:                              ;   in Loop: Header=BB22_9 Depth=1
	s_or_b64 exec, exec, s[14:15]
	v_add_u32_e32 v2, s26, v41
	v_ashrrev_i32_e32 v9, 31, v2
	v_mov_b32_e32 v11, s13
	v_add_co_u32_e32 v10, vcc, s12, v2
	v_addc_co_u32_e32 v11, vcc, v11, v9, vcc
	v_mov_b32_e32 v2, s11
	v_add_co_u32_e32 v0, vcc, s10, v0
	v_addc_co_u32_e32 v2, vcc, v1, v2, vcc
	v_cvt_f64_i32_e32 v[12:13], v2
	v_ldexp_f64 v[12:13], v[12:13], 32
	v_cvt_f64_u32_e32 v[48:49], v0
	v_add_f64 v[12:13], v[12:13], v[48:49]
	global_store_dwordx2 v[10:11], v[12:13], off
.LBB22_23:                              ;   in Loop: Header=BB22_9 Depth=1
	s_or_b64 exec, exec, s[6:7]
	v_mov_b32_e32 v0, s18
	v_add_co_u32_e32 v10, vcc, s16, v16
	v_addc_co_u32_e32 v11, vcc, v0, v17, vcc
	v_cmp_gt_i64_e32 vcc, s[0:1], v[10:11]
	s_and_saveexec_b64 s[6:7], vcc
	s_cbranch_execz .LBB22_27
; %bb.24:                               ;   in Loop: Header=BB22_9 Depth=1
	v_mov_b32_e32 v0, v3
	v_cmp_le_u64_e32 vcc, s[8:9], v[0:1]
	s_and_saveexec_b64 s[14:15], vcc
	s_cbranch_execz .LBB22_26
; %bb.25:                               ;   in Loop: Header=BB22_9 Depth=1
	v_cvt_f32_u32_e32 v2, s8
	s_sub_i32 s27, 0, s8
	v_rcp_iflag_f32_e32 v2, v2
	v_mul_f32_e32 v2, 0x4f7ffffe, v2
	v_cvt_u32_f32_e32 v2, v2
	v_mul_lo_u32 v3, s27, v2
	v_mul_hi_u32 v3, v2, v3
	v_add_u32_e32 v2, v2, v3
	v_mul_hi_u32 v2, v0, v2
	v_mul_lo_u32 v2, v2, s8
	v_sub_u32_e32 v0, v0, v2
	v_subrev_u32_e32 v2, s8, v0
	v_cmp_le_u32_e32 vcc, s8, v0
	v_cndmask_b32_e32 v0, v0, v2, vcc
	v_subrev_u32_e32 v2, s8, v0
	v_cmp_le_u32_e32 vcc, s8, v0
	v_cndmask_b32_e32 v0, v0, v2, vcc
.LBB22_26:                              ;   in Loop: Header=BB22_9 Depth=1
	s_or_b64 exec, exec, s[14:15]
	v_add_u32_e32 v2, s26, v44
	v_ashrrev_i32_e32 v3, 31, v2
	v_mov_b32_e32 v9, s13
	v_add_co_u32_e32 v2, vcc, s12, v2
	v_addc_co_u32_e32 v3, vcc, v9, v3, vcc
	v_mov_b32_e32 v9, s11
	v_add_co_u32_e32 v0, vcc, s10, v0
	v_addc_co_u32_e32 v9, vcc, v1, v9, vcc
	v_cvt_f64_i32_e32 v[10:11], v9
	v_ldexp_f64 v[10:11], v[10:11], 32
	v_cvt_f64_u32_e32 v[12:13], v0
	v_add_f64 v[10:11], v[10:11], v[12:13]
	global_store_dwordx2 v[2:3], v[10:11], off
.LBB22_27:                              ;   in Loop: Header=BB22_9 Depth=1
	s_or_b64 exec, exec, s[6:7]
	v_mov_b32_e32 v0, s22
	v_add_co_u32_e32 v2, vcc, s21, v16
	v_addc_co_u32_e32 v3, vcc, v0, v17, vcc
	v_cmp_gt_i64_e32 vcc, s[0:1], v[2:3]
	s_and_saveexec_b64 s[6:7], vcc
	s_cbranch_execz .LBB22_31
; %bb.28:                               ;   in Loop: Header=BB22_9 Depth=1
	v_mov_b32_e32 v0, v4
	v_cmp_le_u64_e32 vcc, s[8:9], v[0:1]
	s_and_saveexec_b64 s[14:15], vcc
	s_cbranch_execz .LBB22_30
; %bb.29:                               ;   in Loop: Header=BB22_9 Depth=1
	v_cvt_f32_u32_e32 v2, s8
	s_sub_i32 s27, 0, s8
	v_rcp_iflag_f32_e32 v2, v2
	v_mul_f32_e32 v2, 0x4f7ffffe, v2
	v_cvt_u32_f32_e32 v2, v2
	v_mul_lo_u32 v3, s27, v2
	v_mul_hi_u32 v3, v2, v3
	v_add_u32_e32 v2, v2, v3
	v_mul_hi_u32 v2, v0, v2
	v_mul_lo_u32 v2, v2, s8
	v_sub_u32_e32 v0, v0, v2
	v_subrev_u32_e32 v2, s8, v0
	v_cmp_le_u32_e32 vcc, s8, v0
	v_cndmask_b32_e32 v0, v0, v2, vcc
	v_subrev_u32_e32 v2, s8, v0
	v_cmp_le_u32_e32 vcc, s8, v0
	v_cndmask_b32_e32 v0, v0, v2, vcc
.LBB22_30:                              ;   in Loop: Header=BB22_9 Depth=1
	s_or_b64 exec, exec, s[14:15]
	v_add_u32_e32 v2, s26, v43
	v_ashrrev_i32_e32 v3, 31, v2
	v_mov_b32_e32 v4, s13
	v_add_co_u32_e32 v2, vcc, s12, v2
	v_addc_co_u32_e32 v3, vcc, v4, v3, vcc
	v_mov_b32_e32 v4, s11
	v_add_co_u32_e32 v0, vcc, s10, v0
	v_addc_co_u32_e32 v4, vcc, v1, v4, vcc
	v_cvt_f64_i32_e32 v[10:11], v4
	v_ldexp_f64 v[10:11], v[10:11], 32
	v_cvt_f64_u32_e32 v[12:13], v0
	v_add_f64 v[10:11], v[10:11], v[12:13]
	global_store_dwordx2 v[2:3], v[10:11], off
.LBB22_31:                              ;   in Loop: Header=BB22_9 Depth=1
	s_or_b64 exec, exec, s[6:7]
	v_mov_b32_e32 v0, s24
	v_add_co_u32_e32 v2, vcc, s23, v16
	v_addc_co_u32_e32 v3, vcc, v0, v17, vcc
	v_cmp_gt_i64_e32 vcc, s[0:1], v[2:3]
	s_and_saveexec_b64 s[6:7], vcc
	s_cbranch_execz .LBB22_8
; %bb.32:                               ;   in Loop: Header=BB22_9 Depth=1
	v_mov_b32_e32 v0, v5
	v_cmp_le_u64_e32 vcc, s[8:9], v[0:1]
	s_and_saveexec_b64 s[14:15], vcc
	s_cbranch_execz .LBB22_7
; %bb.33:                               ;   in Loop: Header=BB22_9 Depth=1
	v_cvt_f32_u32_e32 v2, s8
	s_sub_i32 s27, 0, s8
	v_rcp_iflag_f32_e32 v2, v2
	v_mul_f32_e32 v2, 0x4f7ffffe, v2
	v_cvt_u32_f32_e32 v2, v2
	v_mul_lo_u32 v3, s27, v2
	v_mul_hi_u32 v3, v2, v3
	v_add_u32_e32 v2, v2, v3
	v_mul_hi_u32 v2, v0, v2
	v_mul_lo_u32 v2, v2, s8
	v_sub_u32_e32 v0, v0, v2
	v_subrev_u32_e32 v2, s8, v0
	v_cmp_le_u32_e32 vcc, s8, v0
	v_cndmask_b32_e32 v0, v0, v2, vcc
	v_subrev_u32_e32 v2, s8, v0
	v_cmp_le_u32_e32 vcc, s8, v0
	v_cndmask_b32_e32 v0, v0, v2, vcc
	s_branch .LBB22_7
.LBB22_34:
	s_endpgm
.LBB22_35:
                                        ; implicit-def: $sgpr8_sgpr9
	s_andn2_b64 vcc, exec, s[2:3]
	s_cbranch_vccz .LBB22_4
	s_branch .LBB22_5
	.section	.rodata,"a",@progbits
	.p2align	6, 0x0
	.amdhsa_kernel _ZN2at6native12_GLOBAL__N_143distribution_elementwise_grid_stride_kernelIjLi4EZZZNS0_9templates4cuda21random_from_to_kernelIPNS_17CUDAGeneratorImplEEEvRNS_18TensorIteratorBaseEmlT_ENKUlvE_clEvENKUlvE4_clEvEUlP25hiprandStatePhilox4_32_10E0_ZNS1_27distribution_nullary_kernelIdj15HIP_vector_typeIjLj4EES7_SF_ZZZNS5_IS7_EEvS9_mlSA_ENKSB_clEvENKSC_clEvEUljE_EEvS9_T2_RKT3_T4_EUlijE_EEvlNS_15PhiloxCudaStateET1_SK_
		.amdhsa_group_segment_fixed_size 0
		.amdhsa_private_segment_fixed_size 0
		.amdhsa_kernarg_size 336
		.amdhsa_user_sgpr_count 6
		.amdhsa_user_sgpr_private_segment_buffer 1
		.amdhsa_user_sgpr_dispatch_ptr 0
		.amdhsa_user_sgpr_queue_ptr 0
		.amdhsa_user_sgpr_kernarg_segment_ptr 1
		.amdhsa_user_sgpr_dispatch_id 0
		.amdhsa_user_sgpr_flat_scratch_init 0
		.amdhsa_user_sgpr_kernarg_preload_length 0
		.amdhsa_user_sgpr_kernarg_preload_offset 0
		.amdhsa_user_sgpr_private_segment_size 0
		.amdhsa_uses_dynamic_stack 0
		.amdhsa_system_sgpr_private_segment_wavefront_offset 0
		.amdhsa_system_sgpr_workgroup_id_x 1
		.amdhsa_system_sgpr_workgroup_id_y 0
		.amdhsa_system_sgpr_workgroup_id_z 0
		.amdhsa_system_sgpr_workgroup_info 0
		.amdhsa_system_vgpr_workitem_id 0
		.amdhsa_next_free_vgpr 50
		.amdhsa_next_free_sgpr 28
		.amdhsa_accum_offset 52
		.amdhsa_reserve_vcc 1
		.amdhsa_reserve_flat_scratch 0
		.amdhsa_float_round_mode_32 0
		.amdhsa_float_round_mode_16_64 0
		.amdhsa_float_denorm_mode_32 3
		.amdhsa_float_denorm_mode_16_64 3
		.amdhsa_dx10_clamp 1
		.amdhsa_ieee_mode 1
		.amdhsa_fp16_overflow 0
		.amdhsa_tg_split 0
		.amdhsa_exception_fp_ieee_invalid_op 0
		.amdhsa_exception_fp_denorm_src 0
		.amdhsa_exception_fp_ieee_div_zero 0
		.amdhsa_exception_fp_ieee_overflow 0
		.amdhsa_exception_fp_ieee_underflow 0
		.amdhsa_exception_fp_ieee_inexact 0
		.amdhsa_exception_int_div_zero 0
	.end_amdhsa_kernel
	.section	.text._ZN2at6native12_GLOBAL__N_143distribution_elementwise_grid_stride_kernelIjLi4EZZZNS0_9templates4cuda21random_from_to_kernelIPNS_17CUDAGeneratorImplEEEvRNS_18TensorIteratorBaseEmlT_ENKUlvE_clEvENKUlvE4_clEvEUlP25hiprandStatePhilox4_32_10E0_ZNS1_27distribution_nullary_kernelIdj15HIP_vector_typeIjLj4EES7_SF_ZZZNS5_IS7_EEvS9_mlSA_ENKSB_clEvENKSC_clEvEUljE_EEvS9_T2_RKT3_T4_EUlijE_EEvlNS_15PhiloxCudaStateET1_SK_,"axG",@progbits,_ZN2at6native12_GLOBAL__N_143distribution_elementwise_grid_stride_kernelIjLi4EZZZNS0_9templates4cuda21random_from_to_kernelIPNS_17CUDAGeneratorImplEEEvRNS_18TensorIteratorBaseEmlT_ENKUlvE_clEvENKUlvE4_clEvEUlP25hiprandStatePhilox4_32_10E0_ZNS1_27distribution_nullary_kernelIdj15HIP_vector_typeIjLj4EES7_SF_ZZZNS5_IS7_EEvS9_mlSA_ENKSB_clEvENKSC_clEvEUljE_EEvS9_T2_RKT3_T4_EUlijE_EEvlNS_15PhiloxCudaStateET1_SK_,comdat
.Lfunc_end22:
	.size	_ZN2at6native12_GLOBAL__N_143distribution_elementwise_grid_stride_kernelIjLi4EZZZNS0_9templates4cuda21random_from_to_kernelIPNS_17CUDAGeneratorImplEEEvRNS_18TensorIteratorBaseEmlT_ENKUlvE_clEvENKUlvE4_clEvEUlP25hiprandStatePhilox4_32_10E0_ZNS1_27distribution_nullary_kernelIdj15HIP_vector_typeIjLj4EES7_SF_ZZZNS5_IS7_EEvS9_mlSA_ENKSB_clEvENKSC_clEvEUljE_EEvS9_T2_RKT3_T4_EUlijE_EEvlNS_15PhiloxCudaStateET1_SK_, .Lfunc_end22-_ZN2at6native12_GLOBAL__N_143distribution_elementwise_grid_stride_kernelIjLi4EZZZNS0_9templates4cuda21random_from_to_kernelIPNS_17CUDAGeneratorImplEEEvRNS_18TensorIteratorBaseEmlT_ENKUlvE_clEvENKUlvE4_clEvEUlP25hiprandStatePhilox4_32_10E0_ZNS1_27distribution_nullary_kernelIdj15HIP_vector_typeIjLj4EES7_SF_ZZZNS5_IS7_EEvS9_mlSA_ENKSB_clEvENKSC_clEvEUljE_EEvS9_T2_RKT3_T4_EUlijE_EEvlNS_15PhiloxCudaStateET1_SK_
                                        ; -- End function
	.section	.AMDGPU.csdata,"",@progbits
; Kernel info:
; codeLenInByte = 2924
; NumSgprs: 32
; NumVgprs: 50
; NumAgprs: 0
; TotalNumVgprs: 50
; ScratchSize: 0
; MemoryBound: 0
; FloatMode: 240
; IeeeMode: 1
; LDSByteSize: 0 bytes/workgroup (compile time only)
; SGPRBlocks: 3
; VGPRBlocks: 6
; NumSGPRsForWavesPerEU: 32
; NumVGPRsForWavesPerEU: 50
; AccumOffset: 52
; Occupancy: 8
; WaveLimiterHint : 0
; COMPUTE_PGM_RSRC2:SCRATCH_EN: 0
; COMPUTE_PGM_RSRC2:USER_SGPR: 6
; COMPUTE_PGM_RSRC2:TRAP_HANDLER: 0
; COMPUTE_PGM_RSRC2:TGID_X_EN: 1
; COMPUTE_PGM_RSRC2:TGID_Y_EN: 0
; COMPUTE_PGM_RSRC2:TGID_Z_EN: 0
; COMPUTE_PGM_RSRC2:TIDIG_COMP_CNT: 0
; COMPUTE_PGM_RSRC3_GFX90A:ACCUM_OFFSET: 12
; COMPUTE_PGM_RSRC3_GFX90A:TG_SPLIT: 0
	.section	.text._ZN2at6native12_GLOBAL__N_143distribution_elementwise_grid_stride_kernelIjLi4EZZZNS0_9templates4cuda21random_from_to_kernelIPNS_17CUDAGeneratorImplEEEvRNS_18TensorIteratorBaseEmlT_ENKUlvE_clEvENKUlvE4_clEvEUlP25hiprandStatePhilox4_32_10E0_ZNS1_27distribution_nullary_kernelIdj15HIP_vector_typeIjLj4EES7_SF_ZZZNS5_IS7_EEvS9_mlSA_ENKSB_clEvENKSC_clEvEUljE_EEvS9_T2_RKT3_T4_EUlijE0_EEvlNS_15PhiloxCudaStateET1_SK_,"axG",@progbits,_ZN2at6native12_GLOBAL__N_143distribution_elementwise_grid_stride_kernelIjLi4EZZZNS0_9templates4cuda21random_from_to_kernelIPNS_17CUDAGeneratorImplEEEvRNS_18TensorIteratorBaseEmlT_ENKUlvE_clEvENKUlvE4_clEvEUlP25hiprandStatePhilox4_32_10E0_ZNS1_27distribution_nullary_kernelIdj15HIP_vector_typeIjLj4EES7_SF_ZZZNS5_IS7_EEvS9_mlSA_ENKSB_clEvENKSC_clEvEUljE_EEvS9_T2_RKT3_T4_EUlijE0_EEvlNS_15PhiloxCudaStateET1_SK_,comdat
	.globl	_ZN2at6native12_GLOBAL__N_143distribution_elementwise_grid_stride_kernelIjLi4EZZZNS0_9templates4cuda21random_from_to_kernelIPNS_17CUDAGeneratorImplEEEvRNS_18TensorIteratorBaseEmlT_ENKUlvE_clEvENKUlvE4_clEvEUlP25hiprandStatePhilox4_32_10E0_ZNS1_27distribution_nullary_kernelIdj15HIP_vector_typeIjLj4EES7_SF_ZZZNS5_IS7_EEvS9_mlSA_ENKSB_clEvENKSC_clEvEUljE_EEvS9_T2_RKT3_T4_EUlijE0_EEvlNS_15PhiloxCudaStateET1_SK_ ; -- Begin function _ZN2at6native12_GLOBAL__N_143distribution_elementwise_grid_stride_kernelIjLi4EZZZNS0_9templates4cuda21random_from_to_kernelIPNS_17CUDAGeneratorImplEEEvRNS_18TensorIteratorBaseEmlT_ENKUlvE_clEvENKUlvE4_clEvEUlP25hiprandStatePhilox4_32_10E0_ZNS1_27distribution_nullary_kernelIdj15HIP_vector_typeIjLj4EES7_SF_ZZZNS5_IS7_EEvS9_mlSA_ENKSB_clEvENKSC_clEvEUljE_EEvS9_T2_RKT3_T4_EUlijE0_EEvlNS_15PhiloxCudaStateET1_SK_
	.p2align	8
	.type	_ZN2at6native12_GLOBAL__N_143distribution_elementwise_grid_stride_kernelIjLi4EZZZNS0_9templates4cuda21random_from_to_kernelIPNS_17CUDAGeneratorImplEEEvRNS_18TensorIteratorBaseEmlT_ENKUlvE_clEvENKUlvE4_clEvEUlP25hiprandStatePhilox4_32_10E0_ZNS1_27distribution_nullary_kernelIdj15HIP_vector_typeIjLj4EES7_SF_ZZZNS5_IS7_EEvS9_mlSA_ENKSB_clEvENKSC_clEvEUljE_EEvS9_T2_RKT3_T4_EUlijE0_EEvlNS_15PhiloxCudaStateET1_SK_,@function
_ZN2at6native12_GLOBAL__N_143distribution_elementwise_grid_stride_kernelIjLi4EZZZNS0_9templates4cuda21random_from_to_kernelIPNS_17CUDAGeneratorImplEEEvRNS_18TensorIteratorBaseEmlT_ENKUlvE_clEvENKUlvE4_clEvEUlP25hiprandStatePhilox4_32_10E0_ZNS1_27distribution_nullary_kernelIdj15HIP_vector_typeIjLj4EES7_SF_ZZZNS5_IS7_EEvS9_mlSA_ENKSB_clEvENKSC_clEvEUljE_EEvS9_T2_RKT3_T4_EUlijE0_EEvlNS_15PhiloxCudaStateET1_SK_: ; @_ZN2at6native12_GLOBAL__N_143distribution_elementwise_grid_stride_kernelIjLi4EZZZNS0_9templates4cuda21random_from_to_kernelIPNS_17CUDAGeneratorImplEEEvRNS_18TensorIteratorBaseEmlT_ENKUlvE_clEvENKUlvE4_clEvEUlP25hiprandStatePhilox4_32_10E0_ZNS1_27distribution_nullary_kernelIdj15HIP_vector_typeIjLj4EES7_SF_ZZZNS5_IS7_EEvS9_mlSA_ENKSB_clEvENKSC_clEvEUljE_EEvS9_T2_RKT3_T4_EUlijE0_EEvlNS_15PhiloxCudaStateET1_SK_
; %bb.0:
	s_load_dword s2, s[4:5], 0x20
	s_load_dwordx2 s[0:1], s[4:5], 0x10
	s_load_dwordx4 s[24:27], s[4:5], 0x0
	s_waitcnt lgkmcnt(0)
	s_bitcmp0_b32 s2, 0
	s_mov_b32 s2, 0
	v_pk_mov_b32 v[2:3], s[0:1], s[0:1] op_sel:[0,1]
	v_pk_mov_b32 v[14:15], s[26:27], s[26:27] op_sel:[0,1]
	s_cbranch_scc1 .LBB23_2
; %bb.1:
	v_pk_mov_b32 v[2:3], s[0:1], s[0:1] op_sel:[0,1]
	flat_load_dwordx2 v[2:3], v[2:3]
	v_pk_mov_b32 v[4:5], s[26:27], s[26:27] op_sel:[0,1]
	flat_load_dwordx2 v[14:15], v[4:5]
	s_load_dwordx2 s[0:1], s[4:5], 0x18
	s_waitcnt lgkmcnt(0)
	v_mov_b32_e32 v1, s1
	s_waitcnt vmcnt(0)
	v_add_co_u32_e32 v2, vcc, s0, v2
	v_addc_co_u32_e32 v3, vcc, v3, v1, vcc
.LBB23_2:
	s_load_dword s0, s[4:5], 0x15c
	s_load_dword s7, s[4:5], 0x150
	s_waitcnt lgkmcnt(0)
	s_and_b32 s8, s0, 0xffff
	s_add_u32 s9, s24, -1
	s_mul_i32 s33, s7, s8
	s_addc_u32 s3, s25, -1
	s_lshl_b32 s62, s33, 2
	s_cmp_lg_u64 s[2:3], 0
	s_mov_b64 s[0:1], -1
	s_cbranch_scc0 .LBB23_91
; %bb.3:
	v_cvt_f32_u32_e32 v1, s62
	v_cvt_f32_ubyte0_e32 v4, 0
	s_sub_u32 s2, 0, s62
	s_subb_u32 s10, 0, 0
	v_madmk_f32 v1, v4, 0x4f800000, v1
	v_rcp_f32_e32 v1, v1
	v_mul_f32_e32 v1, 0x5f7ffffc, v1
	v_mul_f32_e32 v4, 0x2f800000, v1
	v_trunc_f32_e32 v4, v4
	v_madmk_f32 v1, v4, 0xcf800000, v1
	v_cvt_u32_f32_e32 v4, v4
	v_cvt_u32_f32_e32 v1, v1
	v_readfirstlane_b32 s11, v4
	v_readfirstlane_b32 s12, v1
	s_mul_i32 s13, s2, s11
	s_mul_hi_u32 s15, s2, s12
	s_mul_i32 s14, s10, s12
	s_add_i32 s13, s15, s13
	s_add_i32 s13, s13, s14
	s_mul_i32 s16, s2, s12
	s_mul_hi_u32 s14, s12, s13
	s_mul_i32 s15, s12, s13
	s_mul_hi_u32 s12, s12, s16
	s_add_u32 s12, s12, s15
	s_addc_u32 s14, 0, s14
	s_mul_hi_u32 s17, s11, s16
	s_mul_i32 s16, s11, s16
	s_add_u32 s12, s12, s16
	s_mul_hi_u32 s15, s11, s13
	s_addc_u32 s12, s14, s17
	s_addc_u32 s14, s15, 0
	s_mul_i32 s13, s11, s13
	s_add_u32 s12, s12, s13
	s_addc_u32 s13, 0, s14
	v_add_co_u32_e32 v1, vcc, s12, v1
	s_cmp_lg_u64 vcc, 0
	s_addc_u32 s11, s11, s13
	v_readfirstlane_b32 s13, v1
	s_mul_i32 s12, s2, s11
	s_mul_hi_u32 s14, s2, s13
	s_add_i32 s12, s14, s12
	s_mul_i32 s10, s10, s13
	s_add_i32 s12, s12, s10
	s_mul_i32 s2, s2, s13
	s_mul_hi_u32 s14, s11, s2
	s_mul_i32 s15, s11, s2
	s_mul_i32 s17, s13, s12
	s_mul_hi_u32 s2, s13, s2
	s_mul_hi_u32 s16, s13, s12
	s_add_u32 s2, s2, s17
	s_addc_u32 s13, 0, s16
	s_add_u32 s2, s2, s15
	s_mul_hi_u32 s10, s11, s12
	s_addc_u32 s2, s13, s14
	s_addc_u32 s10, s10, 0
	s_mul_i32 s12, s11, s12
	s_add_u32 s2, s2, s12
	s_addc_u32 s10, 0, s10
	v_add_co_u32_e32 v1, vcc, s2, v1
	s_cmp_lg_u64 vcc, 0
	s_addc_u32 s12, s11, s10
	s_ashr_i32 s10, s3, 31
	s_add_u32 s2, s9, s10
	s_mov_b32 s11, s10
	s_addc_u32 s3, s3, s10
	s_xor_b64 s[2:3], s[2:3], s[10:11]
	v_readfirstlane_b32 s15, v1
	s_mul_i32 s14, s2, s12
	s_mul_hi_u32 s16, s2, s15
	s_mul_hi_u32 s13, s2, s12
	s_add_u32 s14, s16, s14
	s_addc_u32 s13, 0, s13
	s_mul_hi_u32 s17, s3, s15
	s_mul_i32 s15, s3, s15
	s_add_u32 s14, s14, s15
	s_mul_hi_u32 s16, s3, s12
	s_addc_u32 s13, s13, s17
	s_addc_u32 s14, s16, 0
	s_mul_i32 s12, s3, s12
	s_add_u32 s12, s13, s12
	s_addc_u32 s13, 0, s14
	s_add_u32 s14, s12, 1
	s_addc_u32 s15, s13, 0
	s_add_u32 s16, s12, 2
	s_mul_i32 s18, s62, s13
	s_mul_hi_u32 s19, s62, s12
	s_addc_u32 s17, s13, 0
	s_add_i32 s19, s19, s18
	s_mul_i32 s18, s62, s12
	v_mov_b32_e32 v1, s18
	v_sub_co_u32_e32 v1, vcc, s2, v1
	s_cmp_lg_u64 vcc, 0
	s_subb_u32 s2, s3, s19
	v_subrev_co_u32_e32 v4, vcc, s62, v1
	s_cmp_lg_u64 vcc, 0
	s_subb_u32 s3, s2, 0
	v_readfirstlane_b32 s18, v4
	s_cmp_ge_u32 s18, s62
	s_cselect_b32 s18, -1, 0
	s_cmp_eq_u32 s3, 0
	s_cselect_b32 s3, s18, -1
	s_cmp_lg_u32 s3, 0
	s_cselect_b32 s3, s17, s15
	v_readfirstlane_b32 s15, v1
	s_cselect_b32 s14, s16, s14
	s_cmp_ge_u32 s15, s62
	s_cselect_b32 s15, -1, 0
	s_cmp_eq_u32 s2, 0
	s_cselect_b32 s2, s15, -1
	s_cmp_lg_u32 s2, 0
	s_cselect_b32 s3, s3, s13
	s_cselect_b32 s2, s14, s12
	s_xor_b64 s[2:3], s[2:3], s[10:11]
	s_sub_u32 s2, s2, s10
	s_subb_u32 s3, s3, s10
	s_cbranch_execnz .LBB23_5
.LBB23_4:
	v_cvt_f32_u32_e32 v1, s62
	s_sub_i32 s0, 0, s62
	s_mov_b32 s3, 0
	v_rcp_iflag_f32_e32 v1, v1
	v_mul_f32_e32 v1, 0x4f7ffffe, v1
	v_cvt_u32_f32_e32 v1, v1
	v_readfirstlane_b32 s1, v1
	s_mul_i32 s0, s0, s1
	s_mul_hi_u32 s0, s1, s0
	s_add_i32 s1, s1, s0
	s_mul_hi_u32 s0, s9, s1
	s_mul_i32 s2, s0, s62
	s_sub_i32 s2, s9, s2
	s_add_i32 s1, s0, 1
	s_sub_i32 s9, s2, s62
	s_cmp_ge_u32 s2, s62
	s_cselect_b32 s0, s1, s0
	s_cselect_b32 s2, s9, s2
	s_add_i32 s1, s0, 1
	s_cmp_ge_u32 s2, s62
	s_cselect_b32 s2, s1, s0
.LBB23_5:
	v_mov_b32_e32 v1, 0
	v_mov_b32_e32 v4, s6
	v_mad_u64_u32 v[16:17], s[0:1], s8, v4, v[0:1]
	s_add_u32 s0, s2, 1
	s_addc_u32 s1, s3, 0
	s_mul_hi_u32 s2, s7, s8
	s_mul_i32 s1, s33, s1
	s_mul_hi_u32 s3, s33, s0
	s_add_i32 s1, s3, s1
	s_mul_i32 s2, s2, s0
	s_add_i32 s1, s1, s2
	s_mul_i32 s0, s33, s0
	s_lshl_b64 s[26:27], s[0:1], 2
	v_cmp_gt_i64_e32 vcc, s[26:27], v[16:17]
	s_and_saveexec_b64 s[0:1], vcc
	s_cbranch_execz .LBB23_90
; %bb.6:
	s_mov_b32 s0, 0x5384540f
	v_mov_b32_e32 v0, v15
	v_add_co_u32_e32 v24, vcc, s0, v14
	s_mov_b32 s0, 0x646e171e
	v_add_co_u32_e32 v25, vcc, s0, v0
	s_mov_b32 s0, 0x1715609d
	;; [unrolled: 2-line block ×6, first 2 shown]
	v_alignbit_b32 v31, v3, v2, 2
	s_mov_b32 s64, 0xd2511f53
	v_add_co_u32_e32 v30, vcc, s0, v14
	v_mad_u64_u32 v[4:5], s[0:1], v31, s64, 0
	v_and_b32_e32 v20, 3, v2
	v_xor_b32_e32 v2, v5, v15
	v_xor_b32_e32 v2, v2, v17
	s_mov_b32 s65, 0xcd9e8d57
	v_mad_u64_u32 v[6:7], s[0:1], v2, s65, 0
	v_xor_b32_e32 v2, v30, v7
	v_mad_u64_u32 v[8:9], s[0:1], v16, s65, 0
	v_xor_b32_e32 v2, v2, v8
	;; [unrolled: 2-line block ×3, first 2 shown]
	v_lshrrev_b32_e32 v32, 2, v3
	v_xor_b32_e32 v2, v2, v32
	v_xor_b32_e32 v5, v29, v11
	v_mad_u64_u32 v[2:3], s[0:1], v2, s64, 0
	v_xor_b32_e32 v2, v5, v2
	v_mad_u64_u32 v[8:9], s[0:1], v2, s65, 0
	s_mov_b32 s0, 0xbb67ae85
	v_add_co_u32_e32 v33, vcc, s0, v0
	v_xor_b32_e32 v2, v33, v3
	v_xor_b32_e32 v2, v2, v4
	v_xor_b32_e32 v5, v28, v9
	v_mad_u64_u32 v[2:3], s[0:1], v2, s65, 0
	v_xor_b32_e32 v2, v5, v2
	v_mad_u64_u32 v[4:5], s[0:1], v2, s64, 0
	s_mov_b32 s0, 0x3c6ef372
	v_add_co_u32_e32 v34, vcc, s0, v14
	v_xor_b32_e32 v2, v34, v3
	;; [unrolled: 8-line block ×6, first 2 shown]
	v_add_co_u32_e32 v23, vcc, 0xdb3d7428, v0
	v_xor_b32_e32 v2, v2, v6
	v_xor_b32_e32 v5, v23, v5
	v_mad_u64_u32 v[2:3], s[0:1], v2, s64, 0
	v_xor_b32_e32 v2, v5, v2
	v_mad_u64_u32 v[6:7], s[0:1], v2, s65, 0
	s_mov_b32 s0, 0x1fd5c5a3
	v_add_co_u32_e32 v39, vcc, s0, v0
	v_xor_b32_e32 v0, v39, v3
	v_xor_b32_e32 v0, v0, v10
	v_mad_u64_u32 v[2:3], s[0:1], v0, s65, 0
	s_mov_b32 s0, 0xf1bbcdc8
	s_load_dwordx8 s[8:15], s[4:5], 0x30
	v_add_u32_e32 v21, 0x8ff34781, v14
	v_xor_b32_e32 v0, v7, v2
	v_add_co_u32_e32 v40, vcc, s0, v14
	v_xor_b32_e32 v2, v21, v0
	v_xor_b32_e32 v0, v40, v3
	;; [unrolled: 1-line block ×3, first 2 shown]
	s_add_u32 s34, s4, 48
	v_mad_u64_u32 v[8:9], s[0:1], v0, s64, 0
	s_addc_u32 s35, s5, 0
	s_waitcnt lgkmcnt(0)
	s_add_i32 s0, s8, -1
	s_cmp_gt_u32 s0, 1
	s_cselect_b64 s[40:41], -1, 0
	s_cmp_lg_u32 s8, 0
	s_cselect_b64 s[42:43], -1, 0
	s_add_u32 s44, s4, 0xf4
	s_addc_u32 s45, s5, 0
	s_min_u32 s1, s0, 15
	s_cmp_gt_u32 s8, 1
	s_cselect_b64 s[46:47], -1, 0
	s_load_dwordx2 s[48:49], s[4:5], 0x148
	s_load_dwordx2 s[50:51], s[4:5], 0xf4
	s_load_dwordx4 s[28:31], s[4:5], 0x138
	s_add_i32 s1, s1, 1
	s_mov_b32 s8, s13
	s_lshl_b32 s13, s33, 1
	s_and_b32 s68, s1, 3
	s_cmp_lg_u32 s0, 2
	s_cselect_b64 s[52:53], -1, 0
	s_and_b32 s69, s1, 28
	s_mov_b32 s63, 0
	v_add_u32_e32 v22, 0x96a522ad, v15
	v_xor_b32_e32 v0, v9, v4
	s_cmp_lg_u32 s68, 0
	v_xor_b32_e32 v4, v22, v0
	v_mov_b32_e32 v3, v6
	v_mov_b32_e32 v5, v8
	s_mov_b32 s15, s63
	s_mul_i32 s66, s33, 3
	s_mov_b32 s67, s63
	s_mov_b64 s[54:55], 0
	s_cselect_b64 s[56:57], -1, 0
	v_mov_b32_e32 v41, v16
	v_mov_b32_e32 v42, v17
	s_branch .LBB23_9
.LBB23_7:                               ;   in Loop: Header=BB23_9 Depth=1
	s_or_b64 exec, exec, s[0:1]
	v_mov_b32_e32 v3, s49
	v_add_co_u32_e32 v0, vcc, s48, v0
	v_addc_co_u32_e32 v3, vcc, v1, v3, vcc
	v_cvt_f64_i32_e32 v[4:5], v3
	v_ldexp_f64 v[4:5], v[4:5], 32
	v_cvt_f64_u32_e32 v[10:11], v0
	v_add_f64 v[4:5], v[4:5], v[10:11]
	global_store_dwordx2 v2, v[4:5], s[28:29]
.LBB23_8:                               ;   in Loop: Header=BB23_9 Depth=1
	s_or_b64 exec, exec, s[36:37]
	v_add_co_u32_e32 v16, vcc, s62, v16
	v_addc_co_u32_e32 v17, vcc, 0, v17, vcc
	v_mov_b32_e32 v9, v18
	v_cmp_le_i64_e32 vcc, s[26:27], v[16:17]
	v_pk_mov_b32 v[2:3], v[6:7], v[6:7] op_sel:[0,1]
	s_or_b64 s[54:55], vcc, s[54:55]
	v_pk_mov_b32 v[4:5], v[8:9], v[8:9] op_sel:[0,1]
	s_waitcnt lgkmcnt(0)
	s_barrier
	s_andn2_b64 exec, exec, s[54:55]
	s_cbranch_execz .LBB23_90
.LBB23_9:                               ; =>This Loop Header: Depth=1
                                        ;     Child Loop BB23_24 Depth 2
                                        ;     Child Loop BB23_30 Depth 2
	;; [unrolled: 1-line block ×8, first 2 shown]
	v_add_co_u32_e32 v31, vcc, 1, v31
	v_cndmask_b32_e64 v0, 0, 1, vcc
	v_addc_co_u32_e32 v32, vcc, 0, v32, vcc
	v_cmp_eq_u32_e32 vcc, 0, v32
	v_cndmask_b32_e32 v0, 0, v0, vcc
	v_add_u32_e32 v41, v0, v41
	v_cmp_eq_u32_e32 vcc, 0, v41
	v_cndmask_b32_e32 v0, 0, v0, vcc
	v_mad_u64_u32 v[6:7], s[0:1], v31, s64, 0
	v_mad_u64_u32 v[8:9], s[0:1], v41, s65, 0
	v_add_u32_e32 v42, v0, v42
	v_xor_b32_e32 v0, v9, v14
	v_xor_b32_e32 v7, v7, v15
	v_xor_b32_e32 v0, v32, v0
	v_xor_b32_e32 v7, v42, v7
	v_mad_u64_u32 v[10:11], s[0:1], v0, s64, 0
	v_mad_u64_u32 v[12:13], s[0:1], v7, s65, 0
	v_xor_b32_e32 v0, v30, v13
	v_xor_b32_e32 v7, v33, v11
	v_xor_b32_e32 v0, v0, v8
	v_xor_b32_e32 v8, v7, v6
	v_mad_u64_u32 v[6:7], s[0:1], v0, s64, 0
	v_mad_u64_u32 v[8:9], s[0:1], v8, s65, 0
	;; [unrolled: 6-line block ×9, first 2 shown]
	v_xor_b32_e32 v0, v13, v6
	v_xor_b32_e32 v6, v21, v0
	;; [unrolled: 1-line block ×4, first 2 shown]
	v_mov_b32_e32 v7, v12
	v_mov_b32_e32 v8, v13
	v_cmp_lt_i32_e32 vcc, 1, v20
	s_and_saveexec_b64 s[0:1], vcc
	s_xor_b64 s[0:1], exec, s[0:1]
	s_cbranch_execz .LBB23_15
; %bb.10:                               ;   in Loop: Header=BB23_9 Depth=1
	v_cmp_lt_i32_e32 vcc, 2, v20
	s_and_saveexec_b64 s[2:3], vcc
	s_xor_b64 s[2:3], exec, s[2:3]
; %bb.11:                               ;   in Loop: Header=BB23_9 Depth=1
	v_mov_b32_e32 v10, v5
	v_mov_b32_e32 v11, v6
	v_pk_mov_b32 v[2:3], v[10:11], v[10:11] op_sel:[0,1]
	v_pk_mov_b32 v[4:5], v[12:13], v[12:13] op_sel:[0,1]
                                        ; implicit-def: $vgpr12_vgpr13
; %bb.12:                               ;   in Loop: Header=BB23_9 Depth=1
	s_andn2_saveexec_b64 s[2:3], s[2:3]
; %bb.13:                               ;   in Loop: Header=BB23_9 Depth=1
	v_mov_b32_e32 v2, v4
	v_mov_b32_e32 v3, v5
	;; [unrolled: 1-line block ×4, first 2 shown]
; %bb.14:                               ;   in Loop: Header=BB23_9 Depth=1
	s_or_b64 exec, exec, s[2:3]
.LBB23_15:                              ;   in Loop: Header=BB23_9 Depth=1
	s_andn2_saveexec_b64 s[0:1], s[0:1]
	s_cbranch_execz .LBB23_19
; %bb.16:                               ;   in Loop: Header=BB23_9 Depth=1
	v_cmp_eq_u32_e32 vcc, 1, v20
	s_and_saveexec_b64 s[2:3], vcc
; %bb.17:                               ;   in Loop: Header=BB23_9 Depth=1
	v_mov_b32_e32 v2, v3
	v_mov_b32_e32 v3, v4
	;; [unrolled: 1-line block ×4, first 2 shown]
; %bb.18:                               ;   in Loop: Header=BB23_9 Depth=1
	s_or_b64 exec, exec, s[2:3]
.LBB23_19:                              ;   in Loop: Header=BB23_9 Depth=1
	s_or_b64 exec, exec, s[0:1]
	v_cndmask_b32_e64 v0, 0, 1, s[40:41]
	v_cmp_gt_i64_e32 vcc, s[24:25], v[16:17]
	v_cmp_ne_u32_e64 s[0:1], 1, v0
	s_and_saveexec_b64 s[2:3], vcc
	s_cbranch_execz .LBB23_37
; %bb.20:                               ;   in Loop: Header=BB23_9 Depth=1
	s_and_b64 vcc, exec, s[0:1]
	s_cbranch_vccnz .LBB23_26
; %bb.21:                               ;   in Loop: Header=BB23_9 Depth=1
	s_andn2_b64 vcc, exec, s[42:43]
	s_cbranch_vccnz .LBB23_27
; %bb.22:                               ;   in Loop: Header=BB23_9 Depth=1
	s_mov_b32 s6, 0
	s_andn2_b64 vcc, exec, s[52:53]
	v_mov_b32_e32 v10, 0
	s_cbranch_vccnz .LBB23_28
; %bb.23:                               ;   in Loop: Header=BB23_9 Depth=1
	s_mov_b32 s70, 0
	v_mov_b32_e32 v10, 0
	s_mov_b64 s[58:59], s[34:35]
	s_mov_b64 s[60:61], s[44:45]
	v_mov_b32_e32 v0, v16
.LBB23_24:                              ;   Parent Loop BB23_9 Depth=1
                                        ; =>  This Inner Loop Header: Depth=2
	s_load_dwordx8 s[16:23], s[58:59], 0x4
	s_load_dwordx4 s[4:7], s[58:59], 0x24
	s_load_dwordx4 s[36:39], s[60:61], 0x0
	s_add_u32 s58, s58, 48
	s_addc_u32 s59, s59, 0
	s_waitcnt lgkmcnt(0)
	v_mul_hi_u32 v9, s17, v0
	v_add_u32_e32 v9, v0, v9
	v_lshrrev_b32_e32 v9, s18, v9
	v_mul_lo_u32 v11, v9, s16
	v_mul_hi_u32 v12, s20, v9
	v_sub_u32_e32 v0, v0, v11
	v_add_u32_e32 v11, v9, v12
	v_lshrrev_b32_e32 v11, s21, v11
	v_mul_lo_u32 v12, v11, s19
	v_mul_hi_u32 v13, s23, v11
	v_sub_u32_e32 v9, v9, v12
	v_add_u32_e32 v12, v11, v13
	v_mul_lo_u32 v0, v0, s36
	v_mul_lo_u32 v9, v9, s37
	v_lshrrev_b32_e32 v12, s4, v12
	v_add3_u32 v9, v0, v10, v9
	v_mul_lo_u32 v0, v12, s22
	v_mul_hi_u32 v10, s6, v12
	v_sub_u32_e32 v0, v11, v0
	v_add_u32_e32 v10, v12, v10
	v_mul_lo_u32 v11, v0, s38
	v_lshrrev_b32_e32 v0, s7, v10
	s_add_i32 s70, s70, 4
	v_mul_lo_u32 v10, v0, s5
	s_add_u32 s60, s60, 16
	v_sub_u32_e32 v10, v12, v10
	s_addc_u32 s61, s61, 0
	v_mul_lo_u32 v10, v10, s39
	s_cmp_lg_u32 s69, s70
	v_add3_u32 v10, v11, v9, v10
	s_cbranch_scc1 .LBB23_24
; %bb.25:                               ;   in Loop: Header=BB23_9 Depth=1
	s_mov_b32 s6, s69
	s_andn2_b64 vcc, exec, s[56:57]
	s_cbranch_vccz .LBB23_29
	s_branch .LBB23_31
.LBB23_26:                              ;   in Loop: Header=BB23_9 Depth=1
                                        ; implicit-def: $vgpr10
	s_branch .LBB23_32
.LBB23_27:                              ;   in Loop: Header=BB23_9 Depth=1
	v_mov_b32_e32 v10, 0
	s_branch .LBB23_31
.LBB23_28:                              ;   in Loop: Header=BB23_9 Depth=1
	v_mov_b32_e32 v0, v16
	s_andn2_b64 vcc, exec, s[56:57]
	s_cbranch_vccnz .LBB23_31
.LBB23_29:                              ;   in Loop: Header=BB23_9 Depth=1
	s_lshl_b32 s4, s6, 2
	s_add_u32 s4, s44, s4
	s_addc_u32 s5, s45, 0
	s_mul_i32 s6, s6, 12
	s_add_u32 s6, s34, s6
	s_addc_u32 s7, s35, 0
	s_mov_b32 s16, s68
.LBB23_30:                              ;   Parent Loop BB23_9 Depth=1
                                        ; =>  This Inner Loop Header: Depth=2
	s_load_dwordx2 s[18:19], s[6:7], 0x4
	s_load_dword s17, s[6:7], 0xc
	s_load_dword s20, s[4:5], 0x0
	s_add_u32 s6, s6, 12
	s_addc_u32 s7, s7, 0
	s_waitcnt lgkmcnt(0)
	v_mul_hi_u32 v9, s19, v0
	v_add_u32_e32 v9, v0, v9
	v_lshrrev_b32_e32 v9, s17, v9
	s_add_u32 s4, s4, 4
	v_mul_lo_u32 v11, v9, s18
	s_addc_u32 s5, s5, 0
	s_add_i32 s16, s16, -1
	v_sub_u32_e32 v11, v0, v11
	s_cmp_lg_u32 s16, 0
	v_mov_b32_e32 v0, v9
	v_mad_u64_u32 v[10:11], s[18:19], v11, s20, v[10:11]
	s_cbranch_scc1 .LBB23_30
.LBB23_31:                              ;   in Loop: Header=BB23_9 Depth=1
	s_cbranch_execnz .LBB23_34
.LBB23_32:                              ;   in Loop: Header=BB23_9 Depth=1
	v_mul_hi_u32 v0, v16, s10
	v_add_u32_e32 v0, v0, v16
	v_lshrrev_b32_e32 v0, s11, v0
	v_mul_lo_u32 v9, v0, s9
	v_sub_u32_e32 v9, v16, v9
	s_andn2_b64 vcc, exec, s[46:47]
	s_waitcnt lgkmcnt(0)
	v_mul_lo_u32 v10, v9, s50
	s_cbranch_vccnz .LBB23_34
; %bb.33:                               ;   in Loop: Header=BB23_9 Depth=1
	v_mul_hi_u32 v9, s8, v0
	v_add_u32_e32 v9, v0, v9
	v_lshrrev_b32_e32 v9, s14, v9
	v_mul_lo_u32 v9, v9, s12
	v_sub_u32_e32 v0, v0, v9
	v_mad_u64_u32 v[10:11], s[4:5], v0, s51, v[10:11]
.LBB23_34:                              ;   in Loop: Header=BB23_9 Depth=1
	v_mov_b32_e32 v0, v2
	s_waitcnt lgkmcnt(0)
	v_cmp_le_u64_e32 vcc, s[30:31], v[0:1]
	s_and_saveexec_b64 s[4:5], vcc
	s_cbranch_execz .LBB23_36
; %bb.35:                               ;   in Loop: Header=BB23_9 Depth=1
	v_cvt_f32_u32_e32 v2, s30
	s_sub_i32 s6, 0, s30
	v_rcp_iflag_f32_e32 v2, v2
	v_mul_f32_e32 v2, 0x4f7ffffe, v2
	v_cvt_u32_f32_e32 v2, v2
	v_mul_lo_u32 v9, s6, v2
	v_mul_hi_u32 v9, v2, v9
	v_add_u32_e32 v2, v2, v9
	v_mul_hi_u32 v2, v0, v2
	v_mul_lo_u32 v2, v2, s30
	v_sub_u32_e32 v0, v0, v2
	v_subrev_u32_e32 v2, s30, v0
	v_cmp_le_u32_e32 vcc, s30, v0
	v_cndmask_b32_e32 v0, v0, v2, vcc
	v_subrev_u32_e32 v2, s30, v0
	v_cmp_le_u32_e32 vcc, s30, v0
	v_cndmask_b32_e32 v0, v0, v2, vcc
.LBB23_36:                              ;   in Loop: Header=BB23_9 Depth=1
	s_or_b64 exec, exec, s[4:5]
	v_mov_b32_e32 v2, s49
	v_add_co_u32_e32 v0, vcc, s48, v0
	v_addc_co_u32_e32 v2, vcc, v1, v2, vcc
	v_cvt_f64_i32_e32 v[12:13], v2
	v_ldexp_f64 v[12:13], v[12:13], 32
	v_cvt_f64_u32_e32 v[44:45], v0
	v_add_f64 v[12:13], v[12:13], v[44:45]
	global_store_dwordx2 v10, v[12:13], s[28:29]
.LBB23_37:                              ;   in Loop: Header=BB23_9 Depth=1
	s_or_b64 exec, exec, s[2:3]
	v_mov_b32_e32 v0, s63
	v_add_co_u32_e32 v12, vcc, s33, v16
	v_addc_co_u32_e32 v13, vcc, v17, v0, vcc
	v_cmp_gt_i64_e32 vcc, s[24:25], v[12:13]
	s_and_saveexec_b64 s[2:3], vcc
	s_cbranch_execz .LBB23_55
; %bb.38:                               ;   in Loop: Header=BB23_9 Depth=1
	s_and_b64 vcc, exec, s[0:1]
	s_cbranch_vccnz .LBB23_44
; %bb.39:                               ;   in Loop: Header=BB23_9 Depth=1
	s_andn2_b64 vcc, exec, s[42:43]
	s_cbranch_vccnz .LBB23_45
; %bb.40:                               ;   in Loop: Header=BB23_9 Depth=1
	s_mov_b32 s6, 0
	s_andn2_b64 vcc, exec, s[52:53]
	v_mov_b32_e32 v10, 0
	s_cbranch_vccnz .LBB23_46
; %bb.41:                               ;   in Loop: Header=BB23_9 Depth=1
	s_mov_b32 s70, 0
	v_mov_b32_e32 v10, 0
	s_mov_b64 s[58:59], s[34:35]
	s_mov_b64 s[60:61], s[44:45]
	v_mov_b32_e32 v0, v12
.LBB23_42:                              ;   Parent Loop BB23_9 Depth=1
                                        ; =>  This Inner Loop Header: Depth=2
	s_load_dwordx8 s[16:23], s[58:59], 0x4
	s_load_dwordx4 s[4:7], s[58:59], 0x24
	s_load_dwordx4 s[36:39], s[60:61], 0x0
	s_add_u32 s58, s58, 48
	s_addc_u32 s59, s59, 0
	s_waitcnt lgkmcnt(0)
	v_mul_hi_u32 v2, s17, v0
	v_add_u32_e32 v2, v0, v2
	v_lshrrev_b32_e32 v2, s18, v2
	v_mul_lo_u32 v9, v2, s16
	v_mul_hi_u32 v11, s20, v2
	v_sub_u32_e32 v0, v0, v9
	v_add_u32_e32 v9, v2, v11
	v_lshrrev_b32_e32 v9, s21, v9
	v_mul_lo_u32 v11, v9, s19
	v_mul_hi_u32 v13, s23, v9
	v_sub_u32_e32 v2, v2, v11
	v_add_u32_e32 v11, v9, v13
	v_mul_lo_u32 v0, v0, s36
	v_mul_lo_u32 v2, v2, s37
	v_lshrrev_b32_e32 v11, s4, v11
	v_add3_u32 v2, v0, v10, v2
	v_mul_lo_u32 v0, v11, s22
	v_mul_hi_u32 v10, s6, v11
	v_sub_u32_e32 v0, v9, v0
	v_add_u32_e32 v9, v11, v10
	v_mul_lo_u32 v10, v0, s38
	v_lshrrev_b32_e32 v0, s7, v9
	s_add_i32 s70, s70, 4
	v_mul_lo_u32 v9, v0, s5
	s_add_u32 s60, s60, 16
	v_sub_u32_e32 v9, v11, v9
	s_addc_u32 s61, s61, 0
	v_mul_lo_u32 v9, v9, s39
	s_cmp_eq_u32 s69, s70
	v_add3_u32 v10, v10, v2, v9
	s_cbranch_scc0 .LBB23_42
; %bb.43:                               ;   in Loop: Header=BB23_9 Depth=1
	s_mov_b32 s6, s69
	s_andn2_b64 vcc, exec, s[56:57]
	s_cbranch_vccz .LBB23_47
	s_branch .LBB23_49
.LBB23_44:                              ;   in Loop: Header=BB23_9 Depth=1
                                        ; implicit-def: $vgpr10
	s_branch .LBB23_50
.LBB23_45:                              ;   in Loop: Header=BB23_9 Depth=1
	v_mov_b32_e32 v10, 0
	s_branch .LBB23_49
.LBB23_46:                              ;   in Loop: Header=BB23_9 Depth=1
	v_mov_b32_e32 v0, v12
	s_andn2_b64 vcc, exec, s[56:57]
	s_cbranch_vccnz .LBB23_49
.LBB23_47:                              ;   in Loop: Header=BB23_9 Depth=1
	s_lshl_b32 s4, s6, 2
	s_add_u32 s4, s44, s4
	s_addc_u32 s5, s45, 0
	s_mul_i32 s6, s6, 12
	s_add_u32 s6, s34, s6
	s_addc_u32 s7, s35, 0
	s_mov_b32 s16, s68
.LBB23_48:                              ;   Parent Loop BB23_9 Depth=1
                                        ; =>  This Inner Loop Header: Depth=2
	s_load_dwordx2 s[18:19], s[6:7], 0x4
	s_load_dword s17, s[6:7], 0xc
	s_load_dword s20, s[4:5], 0x0
	s_add_u32 s6, s6, 12
	s_addc_u32 s7, s7, 0
	s_waitcnt lgkmcnt(0)
	v_mul_hi_u32 v2, s19, v0
	v_add_u32_e32 v2, v0, v2
	v_lshrrev_b32_e32 v2, s17, v2
	s_add_u32 s4, s4, 4
	v_mul_lo_u32 v9, v2, s18
	s_addc_u32 s5, s5, 0
	s_add_i32 s16, s16, -1
	v_sub_u32_e32 v9, v0, v9
	s_cmp_lg_u32 s16, 0
	v_mov_b32_e32 v0, v2
	v_mad_u64_u32 v[10:11], s[18:19], v9, s20, v[10:11]
	s_cbranch_scc1 .LBB23_48
.LBB23_49:                              ;   in Loop: Header=BB23_9 Depth=1
	s_cbranch_execnz .LBB23_52
.LBB23_50:                              ;   in Loop: Header=BB23_9 Depth=1
	v_mul_hi_u32 v0, v12, s10
	v_add_u32_e32 v0, v0, v12
	v_lshrrev_b32_e32 v0, s11, v0
	v_mul_lo_u32 v2, v0, s9
	v_sub_u32_e32 v2, v12, v2
	s_andn2_b64 vcc, exec, s[46:47]
	s_waitcnt lgkmcnt(0)
	v_mul_lo_u32 v10, v2, s50
	s_cbranch_vccnz .LBB23_52
; %bb.51:                               ;   in Loop: Header=BB23_9 Depth=1
	v_mul_hi_u32 v2, s8, v0
	v_add_u32_e32 v2, v0, v2
	v_lshrrev_b32_e32 v2, s14, v2
	v_mul_lo_u32 v2, v2, s12
	v_sub_u32_e32 v0, v0, v2
	v_mad_u64_u32 v[10:11], s[4:5], v0, s51, v[10:11]
.LBB23_52:                              ;   in Loop: Header=BB23_9 Depth=1
	v_mov_b32_e32 v0, v3
	s_waitcnt lgkmcnt(0)
	v_cmp_le_u64_e32 vcc, s[30:31], v[0:1]
	s_and_saveexec_b64 s[4:5], vcc
	s_cbranch_execz .LBB23_54
; %bb.53:                               ;   in Loop: Header=BB23_9 Depth=1
	v_cvt_f32_u32_e32 v2, s30
	s_sub_i32 s6, 0, s30
	v_rcp_iflag_f32_e32 v2, v2
	v_mul_f32_e32 v2, 0x4f7ffffe, v2
	v_cvt_u32_f32_e32 v2, v2
	v_mul_lo_u32 v3, s6, v2
	v_mul_hi_u32 v3, v2, v3
	v_add_u32_e32 v2, v2, v3
	v_mul_hi_u32 v2, v0, v2
	v_mul_lo_u32 v2, v2, s30
	v_sub_u32_e32 v0, v0, v2
	v_subrev_u32_e32 v2, s30, v0
	v_cmp_le_u32_e32 vcc, s30, v0
	v_cndmask_b32_e32 v0, v0, v2, vcc
	v_subrev_u32_e32 v2, s30, v0
	v_cmp_le_u32_e32 vcc, s30, v0
	v_cndmask_b32_e32 v0, v0, v2, vcc
.LBB23_54:                              ;   in Loop: Header=BB23_9 Depth=1
	s_or_b64 exec, exec, s[4:5]
	v_mov_b32_e32 v2, s49
	v_add_co_u32_e32 v0, vcc, s48, v0
	v_addc_co_u32_e32 v2, vcc, v1, v2, vcc
	v_cvt_f64_i32_e32 v[2:3], v2
	v_ldexp_f64 v[2:3], v[2:3], 32
	v_cvt_f64_u32_e32 v[12:13], v0
	v_add_f64 v[2:3], v[2:3], v[12:13]
	global_store_dwordx2 v10, v[2:3], s[28:29]
.LBB23_55:                              ;   in Loop: Header=BB23_9 Depth=1
	s_or_b64 exec, exec, s[2:3]
	v_mov_b32_e32 v0, s15
	v_add_co_u32_e32 v10, vcc, s13, v16
	v_addc_co_u32_e32 v11, vcc, v17, v0, vcc
	v_cmp_gt_i64_e32 vcc, s[24:25], v[10:11]
	s_and_saveexec_b64 s[2:3], vcc
	s_cbranch_execz .LBB23_73
; %bb.56:                               ;   in Loop: Header=BB23_9 Depth=1
	s_and_b64 vcc, exec, s[0:1]
	s_cbranch_vccnz .LBB23_62
; %bb.57:                               ;   in Loop: Header=BB23_9 Depth=1
	s_andn2_b64 vcc, exec, s[42:43]
	s_cbranch_vccnz .LBB23_63
; %bb.58:                               ;   in Loop: Header=BB23_9 Depth=1
	s_mov_b32 s6, 0
	s_andn2_b64 vcc, exec, s[52:53]
	v_mov_b32_e32 v2, 0
	s_cbranch_vccnz .LBB23_64
; %bb.59:                               ;   in Loop: Header=BB23_9 Depth=1
	s_mov_b32 s70, 0
	v_mov_b32_e32 v2, 0
	s_mov_b64 s[58:59], s[34:35]
	s_mov_b64 s[60:61], s[44:45]
	v_mov_b32_e32 v0, v10
.LBB23_60:                              ;   Parent Loop BB23_9 Depth=1
                                        ; =>  This Inner Loop Header: Depth=2
	s_load_dwordx8 s[16:23], s[58:59], 0x4
	s_load_dwordx4 s[4:7], s[58:59], 0x24
	s_load_dwordx4 s[36:39], s[60:61], 0x0
	s_add_u32 s58, s58, 48
	s_addc_u32 s59, s59, 0
	s_waitcnt lgkmcnt(0)
	v_mul_hi_u32 v3, s17, v0
	v_add_u32_e32 v3, v0, v3
	v_lshrrev_b32_e32 v3, s18, v3
	v_mul_lo_u32 v9, v3, s16
	v_mul_hi_u32 v11, s20, v3
	v_sub_u32_e32 v0, v0, v9
	v_add_u32_e32 v9, v3, v11
	v_lshrrev_b32_e32 v9, s21, v9
	v_mul_lo_u32 v11, v9, s19
	v_mul_hi_u32 v12, s23, v9
	v_sub_u32_e32 v3, v3, v11
	v_add_u32_e32 v11, v9, v12
	v_mul_lo_u32 v0, v0, s36
	v_mul_lo_u32 v3, v3, s37
	v_lshrrev_b32_e32 v11, s4, v11
	v_add3_u32 v2, v0, v2, v3
	v_mul_lo_u32 v0, v11, s22
	v_mul_hi_u32 v3, s6, v11
	v_sub_u32_e32 v0, v9, v0
	v_add_u32_e32 v3, v11, v3
	v_mul_lo_u32 v9, v0, s38
	v_lshrrev_b32_e32 v0, s7, v3
	s_add_i32 s70, s70, 4
	v_mul_lo_u32 v3, v0, s5
	s_add_u32 s60, s60, 16
	v_sub_u32_e32 v3, v11, v3
	s_addc_u32 s61, s61, 0
	v_mul_lo_u32 v3, v3, s39
	s_cmp_eq_u32 s69, s70
	v_add3_u32 v2, v9, v2, v3
	s_cbranch_scc0 .LBB23_60
; %bb.61:                               ;   in Loop: Header=BB23_9 Depth=1
	s_mov_b32 s6, s69
	s_andn2_b64 vcc, exec, s[56:57]
	s_cbranch_vccz .LBB23_65
	s_branch .LBB23_67
.LBB23_62:                              ;   in Loop: Header=BB23_9 Depth=1
                                        ; implicit-def: $vgpr2
	s_branch .LBB23_68
.LBB23_63:                              ;   in Loop: Header=BB23_9 Depth=1
	v_mov_b32_e32 v2, 0
	s_branch .LBB23_67
.LBB23_64:                              ;   in Loop: Header=BB23_9 Depth=1
	v_mov_b32_e32 v0, v10
	s_andn2_b64 vcc, exec, s[56:57]
	s_cbranch_vccnz .LBB23_67
.LBB23_65:                              ;   in Loop: Header=BB23_9 Depth=1
	s_lshl_b32 s4, s6, 2
	s_add_u32 s4, s44, s4
	s_addc_u32 s5, s45, 0
	s_mul_i32 s6, s6, 12
	s_add_u32 s6, s34, s6
	s_addc_u32 s7, s35, 0
	s_mov_b32 s16, s68
.LBB23_66:                              ;   Parent Loop BB23_9 Depth=1
                                        ; =>  This Inner Loop Header: Depth=2
	s_load_dwordx2 s[18:19], s[6:7], 0x4
	s_load_dword s17, s[6:7], 0xc
	s_load_dword s20, s[4:5], 0x0
	s_add_u32 s6, s6, 12
	s_addc_u32 s7, s7, 0
	s_waitcnt lgkmcnt(0)
	v_mul_hi_u32 v3, s19, v0
	v_add_u32_e32 v3, v0, v3
	v_lshrrev_b32_e32 v3, s17, v3
	s_add_u32 s4, s4, 4
	v_mul_lo_u32 v9, v3, s18
	s_addc_u32 s5, s5, 0
	s_add_i32 s16, s16, -1
	v_sub_u32_e32 v9, v0, v9
	s_cmp_lg_u32 s16, 0
	v_mov_b32_e32 v0, v3
	v_mad_u64_u32 v[2:3], s[18:19], v9, s20, v[2:3]
	s_cbranch_scc1 .LBB23_66
.LBB23_67:                              ;   in Loop: Header=BB23_9 Depth=1
	s_cbranch_execnz .LBB23_70
.LBB23_68:                              ;   in Loop: Header=BB23_9 Depth=1
	v_mul_hi_u32 v0, v10, s10
	v_add_u32_e32 v0, v0, v10
	v_lshrrev_b32_e32 v0, s11, v0
	v_mul_lo_u32 v2, v0, s9
	v_sub_u32_e32 v2, v10, v2
	s_andn2_b64 vcc, exec, s[46:47]
	s_waitcnt lgkmcnt(0)
	v_mul_lo_u32 v2, v2, s50
	s_cbranch_vccnz .LBB23_70
; %bb.69:                               ;   in Loop: Header=BB23_9 Depth=1
	v_mul_hi_u32 v3, s8, v0
	v_add_u32_e32 v3, v0, v3
	v_lshrrev_b32_e32 v3, s14, v3
	v_mul_lo_u32 v3, v3, s12
	v_sub_u32_e32 v0, v0, v3
	v_mad_u64_u32 v[2:3], s[4:5], v0, s51, v[2:3]
.LBB23_70:                              ;   in Loop: Header=BB23_9 Depth=1
	v_mov_b32_e32 v0, v4
	s_waitcnt lgkmcnt(0)
	v_cmp_le_u64_e32 vcc, s[30:31], v[0:1]
	s_and_saveexec_b64 s[4:5], vcc
	s_cbranch_execz .LBB23_72
; %bb.71:                               ;   in Loop: Header=BB23_9 Depth=1
	v_cvt_f32_u32_e32 v3, s30
	s_sub_i32 s6, 0, s30
	v_rcp_iflag_f32_e32 v3, v3
	v_mul_f32_e32 v3, 0x4f7ffffe, v3
	v_cvt_u32_f32_e32 v3, v3
	v_mul_lo_u32 v4, s6, v3
	v_mul_hi_u32 v4, v3, v4
	v_add_u32_e32 v3, v3, v4
	v_mul_hi_u32 v3, v0, v3
	v_mul_lo_u32 v3, v3, s30
	v_sub_u32_e32 v0, v0, v3
	v_subrev_u32_e32 v3, s30, v0
	v_cmp_le_u32_e32 vcc, s30, v0
	v_cndmask_b32_e32 v0, v0, v3, vcc
	v_subrev_u32_e32 v3, s30, v0
	v_cmp_le_u32_e32 vcc, s30, v0
	v_cndmask_b32_e32 v0, v0, v3, vcc
.LBB23_72:                              ;   in Loop: Header=BB23_9 Depth=1
	s_or_b64 exec, exec, s[4:5]
	v_mov_b32_e32 v3, s49
	v_add_co_u32_e32 v0, vcc, s48, v0
	v_addc_co_u32_e32 v3, vcc, v1, v3, vcc
	v_cvt_f64_i32_e32 v[10:11], v3
	v_ldexp_f64 v[10:11], v[10:11], 32
	v_cvt_f64_u32_e32 v[12:13], v0
	v_add_f64 v[10:11], v[10:11], v[12:13]
	global_store_dwordx2 v2, v[10:11], s[28:29]
.LBB23_73:                              ;   in Loop: Header=BB23_9 Depth=1
	s_or_b64 exec, exec, s[2:3]
	v_mov_b32_e32 v0, s67
	v_add_co_u32_e32 v10, vcc, s66, v16
	v_addc_co_u32_e32 v11, vcc, v17, v0, vcc
	v_cmp_gt_i64_e32 vcc, s[24:25], v[10:11]
	s_and_saveexec_b64 s[36:37], vcc
	s_cbranch_execz .LBB23_8
; %bb.74:                               ;   in Loop: Header=BB23_9 Depth=1
	s_and_b64 vcc, exec, s[0:1]
	s_cbranch_vccnz .LBB23_80
; %bb.75:                               ;   in Loop: Header=BB23_9 Depth=1
	s_andn2_b64 vcc, exec, s[42:43]
	s_cbranch_vccnz .LBB23_81
; %bb.76:                               ;   in Loop: Header=BB23_9 Depth=1
	s_mov_b32 s2, 0
	s_andn2_b64 vcc, exec, s[52:53]
	v_mov_b32_e32 v2, 0
	s_cbranch_vccnz .LBB23_82
; %bb.77:                               ;   in Loop: Header=BB23_9 Depth=1
	s_mov_b32 s60, 0
	v_mov_b32_e32 v2, 0
	s_mov_b64 s[38:39], s[34:35]
	s_mov_b64 s[58:59], s[44:45]
	v_mov_b32_e32 v0, v10
.LBB23_78:                              ;   Parent Loop BB23_9 Depth=1
                                        ; =>  This Inner Loop Header: Depth=2
	s_load_dwordx8 s[0:7], s[38:39], 0x4
	s_load_dwordx4 s[16:19], s[38:39], 0x24
	s_load_dwordx4 s[20:23], s[58:59], 0x0
	s_add_u32 s38, s38, 48
	s_addc_u32 s39, s39, 0
	s_waitcnt lgkmcnt(0)
	v_mul_hi_u32 v3, s1, v0
	v_add_u32_e32 v3, v0, v3
	v_lshrrev_b32_e32 v3, s2, v3
	v_mul_lo_u32 v4, v3, s0
	v_mul_hi_u32 v9, s4, v3
	v_sub_u32_e32 v0, v0, v4
	v_add_u32_e32 v4, v3, v9
	v_lshrrev_b32_e32 v4, s5, v4
	v_mul_lo_u32 v9, v4, s3
	v_mul_hi_u32 v11, s7, v4
	v_sub_u32_e32 v3, v3, v9
	v_add_u32_e32 v9, v4, v11
	v_mul_lo_u32 v0, v0, s20
	v_mul_lo_u32 v3, v3, s21
	v_lshrrev_b32_e32 v9, s16, v9
	v_add3_u32 v2, v0, v2, v3
	v_mul_lo_u32 v0, v9, s6
	v_mul_hi_u32 v3, s18, v9
	v_sub_u32_e32 v0, v4, v0
	v_add_u32_e32 v3, v9, v3
	v_mul_lo_u32 v4, v0, s22
	v_lshrrev_b32_e32 v0, s19, v3
	s_add_i32 s60, s60, 4
	v_mul_lo_u32 v3, v0, s17
	s_add_u32 s58, s58, 16
	v_sub_u32_e32 v3, v9, v3
	s_addc_u32 s59, s59, 0
	v_mul_lo_u32 v3, v3, s23
	s_cmp_eq_u32 s69, s60
	v_add3_u32 v2, v4, v2, v3
	s_cbranch_scc0 .LBB23_78
; %bb.79:                               ;   in Loop: Header=BB23_9 Depth=1
	s_mov_b32 s2, s69
	s_andn2_b64 vcc, exec, s[56:57]
	s_cbranch_vccz .LBB23_83
	s_branch .LBB23_85
.LBB23_80:                              ;   in Loop: Header=BB23_9 Depth=1
                                        ; implicit-def: $vgpr2
	s_branch .LBB23_86
.LBB23_81:                              ;   in Loop: Header=BB23_9 Depth=1
	v_mov_b32_e32 v2, 0
	s_branch .LBB23_85
.LBB23_82:                              ;   in Loop: Header=BB23_9 Depth=1
	v_mov_b32_e32 v0, v10
	s_andn2_b64 vcc, exec, s[56:57]
	s_cbranch_vccnz .LBB23_85
.LBB23_83:                              ;   in Loop: Header=BB23_9 Depth=1
	s_lshl_b32 s0, s2, 2
	s_add_u32 s0, s44, s0
	s_addc_u32 s1, s45, 0
	s_mul_i32 s2, s2, 12
	s_add_u32 s2, s34, s2
	s_addc_u32 s3, s35, 0
	s_mov_b32 s4, s68
.LBB23_84:                              ;   Parent Loop BB23_9 Depth=1
                                        ; =>  This Inner Loop Header: Depth=2
	s_load_dwordx2 s[6:7], s[2:3], 0x4
	s_load_dword s5, s[2:3], 0xc
	s_load_dword s16, s[0:1], 0x0
	s_add_u32 s2, s2, 12
	s_addc_u32 s3, s3, 0
	s_waitcnt lgkmcnt(0)
	v_mul_hi_u32 v3, s7, v0
	v_add_u32_e32 v3, v0, v3
	v_lshrrev_b32_e32 v3, s5, v3
	s_add_u32 s0, s0, 4
	v_mul_lo_u32 v4, v3, s6
	s_addc_u32 s1, s1, 0
	s_add_i32 s4, s4, -1
	v_sub_u32_e32 v4, v0, v4
	s_cmp_lg_u32 s4, 0
	v_mov_b32_e32 v0, v3
	v_mad_u64_u32 v[2:3], s[6:7], v4, s16, v[2:3]
	s_cbranch_scc1 .LBB23_84
.LBB23_85:                              ;   in Loop: Header=BB23_9 Depth=1
	s_cbranch_execnz .LBB23_88
.LBB23_86:                              ;   in Loop: Header=BB23_9 Depth=1
	v_mul_hi_u32 v0, v10, s10
	v_add_u32_e32 v0, v0, v10
	v_lshrrev_b32_e32 v0, s11, v0
	v_mul_lo_u32 v2, v0, s9
	v_sub_u32_e32 v2, v10, v2
	s_andn2_b64 vcc, exec, s[46:47]
	s_waitcnt lgkmcnt(0)
	v_mul_lo_u32 v2, v2, s50
	s_cbranch_vccnz .LBB23_88
; %bb.87:                               ;   in Loop: Header=BB23_9 Depth=1
	v_mul_hi_u32 v3, s8, v0
	v_add_u32_e32 v3, v0, v3
	v_lshrrev_b32_e32 v3, s14, v3
	v_mul_lo_u32 v3, v3, s12
	v_sub_u32_e32 v0, v0, v3
	v_mad_u64_u32 v[2:3], s[0:1], v0, s51, v[2:3]
.LBB23_88:                              ;   in Loop: Header=BB23_9 Depth=1
	v_mov_b32_e32 v0, v5
	s_waitcnt lgkmcnt(0)
	v_cmp_le_u64_e32 vcc, s[30:31], v[0:1]
	s_and_saveexec_b64 s[0:1], vcc
	s_cbranch_execz .LBB23_7
; %bb.89:                               ;   in Loop: Header=BB23_9 Depth=1
	v_cvt_f32_u32_e32 v3, s30
	s_sub_i32 s2, 0, s30
	v_rcp_iflag_f32_e32 v3, v3
	v_mul_f32_e32 v3, 0x4f7ffffe, v3
	v_cvt_u32_f32_e32 v3, v3
	v_mul_lo_u32 v4, s2, v3
	v_mul_hi_u32 v4, v3, v4
	v_add_u32_e32 v3, v3, v4
	v_mul_hi_u32 v3, v0, v3
	v_mul_lo_u32 v3, v3, s30
	v_sub_u32_e32 v0, v0, v3
	v_subrev_u32_e32 v3, s30, v0
	v_cmp_le_u32_e32 vcc, s30, v0
	v_cndmask_b32_e32 v0, v0, v3, vcc
	v_subrev_u32_e32 v3, s30, v0
	v_cmp_le_u32_e32 vcc, s30, v0
	v_cndmask_b32_e32 v0, v0, v3, vcc
	s_branch .LBB23_7
.LBB23_90:
	s_endpgm
.LBB23_91:
                                        ; implicit-def: $sgpr2_sgpr3
	s_andn2_b64 vcc, exec, s[0:1]
	s_cbranch_vccz .LBB23_4
	s_branch .LBB23_5
	.section	.rodata,"a",@progbits
	.p2align	6, 0x0
	.amdhsa_kernel _ZN2at6native12_GLOBAL__N_143distribution_elementwise_grid_stride_kernelIjLi4EZZZNS0_9templates4cuda21random_from_to_kernelIPNS_17CUDAGeneratorImplEEEvRNS_18TensorIteratorBaseEmlT_ENKUlvE_clEvENKUlvE4_clEvEUlP25hiprandStatePhilox4_32_10E0_ZNS1_27distribution_nullary_kernelIdj15HIP_vector_typeIjLj4EES7_SF_ZZZNS5_IS7_EEvS9_mlSA_ENKSB_clEvENKSC_clEvEUljE_EEvS9_T2_RKT3_T4_EUlijE0_EEvlNS_15PhiloxCudaStateET1_SK_
		.amdhsa_group_segment_fixed_size 0
		.amdhsa_private_segment_fixed_size 0
		.amdhsa_kernarg_size 592
		.amdhsa_user_sgpr_count 6
		.amdhsa_user_sgpr_private_segment_buffer 1
		.amdhsa_user_sgpr_dispatch_ptr 0
		.amdhsa_user_sgpr_queue_ptr 0
		.amdhsa_user_sgpr_kernarg_segment_ptr 1
		.amdhsa_user_sgpr_dispatch_id 0
		.amdhsa_user_sgpr_flat_scratch_init 0
		.amdhsa_user_sgpr_kernarg_preload_length 0
		.amdhsa_user_sgpr_kernarg_preload_offset 0
		.amdhsa_user_sgpr_private_segment_size 0
		.amdhsa_uses_dynamic_stack 0
		.amdhsa_system_sgpr_private_segment_wavefront_offset 0
		.amdhsa_system_sgpr_workgroup_id_x 1
		.amdhsa_system_sgpr_workgroup_id_y 0
		.amdhsa_system_sgpr_workgroup_id_z 0
		.amdhsa_system_sgpr_workgroup_info 0
		.amdhsa_system_vgpr_workitem_id 0
		.amdhsa_next_free_vgpr 46
		.amdhsa_next_free_sgpr 71
		.amdhsa_accum_offset 48
		.amdhsa_reserve_vcc 1
		.amdhsa_reserve_flat_scratch 0
		.amdhsa_float_round_mode_32 0
		.amdhsa_float_round_mode_16_64 0
		.amdhsa_float_denorm_mode_32 3
		.amdhsa_float_denorm_mode_16_64 3
		.amdhsa_dx10_clamp 1
		.amdhsa_ieee_mode 1
		.amdhsa_fp16_overflow 0
		.amdhsa_tg_split 0
		.amdhsa_exception_fp_ieee_invalid_op 0
		.amdhsa_exception_fp_denorm_src 0
		.amdhsa_exception_fp_ieee_div_zero 0
		.amdhsa_exception_fp_ieee_overflow 0
		.amdhsa_exception_fp_ieee_underflow 0
		.amdhsa_exception_fp_ieee_inexact 0
		.amdhsa_exception_int_div_zero 0
	.end_amdhsa_kernel
	.section	.text._ZN2at6native12_GLOBAL__N_143distribution_elementwise_grid_stride_kernelIjLi4EZZZNS0_9templates4cuda21random_from_to_kernelIPNS_17CUDAGeneratorImplEEEvRNS_18TensorIteratorBaseEmlT_ENKUlvE_clEvENKUlvE4_clEvEUlP25hiprandStatePhilox4_32_10E0_ZNS1_27distribution_nullary_kernelIdj15HIP_vector_typeIjLj4EES7_SF_ZZZNS5_IS7_EEvS9_mlSA_ENKSB_clEvENKSC_clEvEUljE_EEvS9_T2_RKT3_T4_EUlijE0_EEvlNS_15PhiloxCudaStateET1_SK_,"axG",@progbits,_ZN2at6native12_GLOBAL__N_143distribution_elementwise_grid_stride_kernelIjLi4EZZZNS0_9templates4cuda21random_from_to_kernelIPNS_17CUDAGeneratorImplEEEvRNS_18TensorIteratorBaseEmlT_ENKUlvE_clEvENKUlvE4_clEvEUlP25hiprandStatePhilox4_32_10E0_ZNS1_27distribution_nullary_kernelIdj15HIP_vector_typeIjLj4EES7_SF_ZZZNS5_IS7_EEvS9_mlSA_ENKSB_clEvENKSC_clEvEUljE_EEvS9_T2_RKT3_T4_EUlijE0_EEvlNS_15PhiloxCudaStateET1_SK_,comdat
.Lfunc_end23:
	.size	_ZN2at6native12_GLOBAL__N_143distribution_elementwise_grid_stride_kernelIjLi4EZZZNS0_9templates4cuda21random_from_to_kernelIPNS_17CUDAGeneratorImplEEEvRNS_18TensorIteratorBaseEmlT_ENKUlvE_clEvENKUlvE4_clEvEUlP25hiprandStatePhilox4_32_10E0_ZNS1_27distribution_nullary_kernelIdj15HIP_vector_typeIjLj4EES7_SF_ZZZNS5_IS7_EEvS9_mlSA_ENKSB_clEvENKSC_clEvEUljE_EEvS9_T2_RKT3_T4_EUlijE0_EEvlNS_15PhiloxCudaStateET1_SK_, .Lfunc_end23-_ZN2at6native12_GLOBAL__N_143distribution_elementwise_grid_stride_kernelIjLi4EZZZNS0_9templates4cuda21random_from_to_kernelIPNS_17CUDAGeneratorImplEEEvRNS_18TensorIteratorBaseEmlT_ENKUlvE_clEvENKUlvE4_clEvEUlP25hiprandStatePhilox4_32_10E0_ZNS1_27distribution_nullary_kernelIdj15HIP_vector_typeIjLj4EES7_SF_ZZZNS5_IS7_EEvS9_mlSA_ENKSB_clEvENKSC_clEvEUljE_EEvS9_T2_RKT3_T4_EUlijE0_EEvlNS_15PhiloxCudaStateET1_SK_
                                        ; -- End function
	.section	.AMDGPU.csdata,"",@progbits
; Kernel info:
; codeLenInByte = 4916
; NumSgprs: 75
; NumVgprs: 46
; NumAgprs: 0
; TotalNumVgprs: 46
; ScratchSize: 0
; MemoryBound: 0
; FloatMode: 240
; IeeeMode: 1
; LDSByteSize: 0 bytes/workgroup (compile time only)
; SGPRBlocks: 9
; VGPRBlocks: 5
; NumSGPRsForWavesPerEU: 75
; NumVGPRsForWavesPerEU: 46
; AccumOffset: 48
; Occupancy: 8
; WaveLimiterHint : 1
; COMPUTE_PGM_RSRC2:SCRATCH_EN: 0
; COMPUTE_PGM_RSRC2:USER_SGPR: 6
; COMPUTE_PGM_RSRC2:TRAP_HANDLER: 0
; COMPUTE_PGM_RSRC2:TGID_X_EN: 1
; COMPUTE_PGM_RSRC2:TGID_Y_EN: 0
; COMPUTE_PGM_RSRC2:TGID_Z_EN: 0
; COMPUTE_PGM_RSRC2:TIDIG_COMP_CNT: 0
; COMPUTE_PGM_RSRC3_GFX90A:ACCUM_OFFSET: 11
; COMPUTE_PGM_RSRC3_GFX90A:TG_SPLIT: 0
	.section	.text._ZN2at6native12_GLOBAL__N_143distribution_elementwise_grid_stride_kernelImLi2EZZZNS0_9templates4cuda21random_from_to_kernelIPNS_17CUDAGeneratorImplEEEvRNS_18TensorIteratorBaseEmlT_ENKUlvE_clEvENKUlvE5_clEvEUlP25hiprandStatePhilox4_32_10E_ZNS1_27distribution_nullary_kernelIfm15HIP_vector_typeIyLj2EES7_SF_ZZZNS5_IS7_EEvS9_mlSA_ENKSB_clEvENKSC_clEvEUlmE_EEvS9_T2_RKT3_T4_EUlimE_EEvlNS_15PhiloxCudaStateET1_SK_,"axG",@progbits,_ZN2at6native12_GLOBAL__N_143distribution_elementwise_grid_stride_kernelImLi2EZZZNS0_9templates4cuda21random_from_to_kernelIPNS_17CUDAGeneratorImplEEEvRNS_18TensorIteratorBaseEmlT_ENKUlvE_clEvENKUlvE5_clEvEUlP25hiprandStatePhilox4_32_10E_ZNS1_27distribution_nullary_kernelIfm15HIP_vector_typeIyLj2EES7_SF_ZZZNS5_IS7_EEvS9_mlSA_ENKSB_clEvENKSC_clEvEUlmE_EEvS9_T2_RKT3_T4_EUlimE_EEvlNS_15PhiloxCudaStateET1_SK_,comdat
	.globl	_ZN2at6native12_GLOBAL__N_143distribution_elementwise_grid_stride_kernelImLi2EZZZNS0_9templates4cuda21random_from_to_kernelIPNS_17CUDAGeneratorImplEEEvRNS_18TensorIteratorBaseEmlT_ENKUlvE_clEvENKUlvE5_clEvEUlP25hiprandStatePhilox4_32_10E_ZNS1_27distribution_nullary_kernelIfm15HIP_vector_typeIyLj2EES7_SF_ZZZNS5_IS7_EEvS9_mlSA_ENKSB_clEvENKSC_clEvEUlmE_EEvS9_T2_RKT3_T4_EUlimE_EEvlNS_15PhiloxCudaStateET1_SK_ ; -- Begin function _ZN2at6native12_GLOBAL__N_143distribution_elementwise_grid_stride_kernelImLi2EZZZNS0_9templates4cuda21random_from_to_kernelIPNS_17CUDAGeneratorImplEEEvRNS_18TensorIteratorBaseEmlT_ENKUlvE_clEvENKUlvE5_clEvEUlP25hiprandStatePhilox4_32_10E_ZNS1_27distribution_nullary_kernelIfm15HIP_vector_typeIyLj2EES7_SF_ZZZNS5_IS7_EEvS9_mlSA_ENKSB_clEvENKSC_clEvEUlmE_EEvS9_T2_RKT3_T4_EUlimE_EEvlNS_15PhiloxCudaStateET1_SK_
	.p2align	8
	.type	_ZN2at6native12_GLOBAL__N_143distribution_elementwise_grid_stride_kernelImLi2EZZZNS0_9templates4cuda21random_from_to_kernelIPNS_17CUDAGeneratorImplEEEvRNS_18TensorIteratorBaseEmlT_ENKUlvE_clEvENKUlvE5_clEvEUlP25hiprandStatePhilox4_32_10E_ZNS1_27distribution_nullary_kernelIfm15HIP_vector_typeIyLj2EES7_SF_ZZZNS5_IS7_EEvS9_mlSA_ENKSB_clEvENKSC_clEvEUlmE_EEvS9_T2_RKT3_T4_EUlimE_EEvlNS_15PhiloxCudaStateET1_SK_,@function
_ZN2at6native12_GLOBAL__N_143distribution_elementwise_grid_stride_kernelImLi2EZZZNS0_9templates4cuda21random_from_to_kernelIPNS_17CUDAGeneratorImplEEEvRNS_18TensorIteratorBaseEmlT_ENKUlvE_clEvENKUlvE5_clEvEUlP25hiprandStatePhilox4_32_10E_ZNS1_27distribution_nullary_kernelIfm15HIP_vector_typeIyLj2EES7_SF_ZZZNS5_IS7_EEvS9_mlSA_ENKSB_clEvENKSC_clEvEUlmE_EEvS9_T2_RKT3_T4_EUlimE_EEvlNS_15PhiloxCudaStateET1_SK_: ; @_ZN2at6native12_GLOBAL__N_143distribution_elementwise_grid_stride_kernelImLi2EZZZNS0_9templates4cuda21random_from_to_kernelIPNS_17CUDAGeneratorImplEEEvRNS_18TensorIteratorBaseEmlT_ENKUlvE_clEvENKUlvE5_clEvEUlP25hiprandStatePhilox4_32_10E_ZNS1_27distribution_nullary_kernelIfm15HIP_vector_typeIyLj2EES7_SF_ZZZNS5_IS7_EEvS9_mlSA_ENKSB_clEvENKSC_clEvEUlmE_EEvS9_T2_RKT3_T4_EUlimE_EEvlNS_15PhiloxCudaStateET1_SK_
; %bb.0:
	s_load_dword s2, s[4:5], 0x20
	s_load_dwordx2 s[0:1], s[4:5], 0x10
	s_load_dwordx4 s[8:11], s[4:5], 0x0
	s_waitcnt lgkmcnt(0)
	s_bitcmp0_b32 s2, 0
	s_mov_b32 s2, 0
	v_pk_mov_b32 v[2:3], s[0:1], s[0:1] op_sel:[0,1]
	v_pk_mov_b32 v[14:15], s[10:11], s[10:11] op_sel:[0,1]
	s_cbranch_scc1 .LBB24_2
; %bb.1:
	v_pk_mov_b32 v[2:3], s[0:1], s[0:1] op_sel:[0,1]
	flat_load_dwordx2 v[2:3], v[2:3]
	v_pk_mov_b32 v[4:5], s[10:11], s[10:11] op_sel:[0,1]
	flat_load_dwordx2 v[14:15], v[4:5]
	s_load_dwordx2 s[0:1], s[4:5], 0x18
	s_waitcnt lgkmcnt(0)
	v_mov_b32_e32 v1, s1
	s_waitcnt vmcnt(0)
	v_add_co_u32_e32 v2, vcc, s0, v2
	v_addc_co_u32_e32 v3, vcc, v3, v1, vcc
.LBB24_2:
	s_load_dword s0, s[4:5], 0x5c
	s_load_dword s18, s[4:5], 0x50
	s_waitcnt lgkmcnt(0)
	s_and_b32 s7, s0, 0xffff
	s_add_u32 s10, s8, -1
	s_mul_i32 s20, s18, s7
	s_addc_u32 s3, s9, -1
	s_lshl_b32 s21, s20, 1
	s_cmp_lg_u64 s[2:3], 0
	s_mov_b64 s[0:1], -1
	s_cbranch_scc0 .LBB24_31
; %bb.3:
	v_cvt_f32_u32_e32 v1, s21
	v_cvt_f32_ubyte0_e32 v4, 0
	s_sub_u32 s2, 0, s21
	s_subb_u32 s11, 0, 0
	v_madmk_f32 v1, v4, 0x4f800000, v1
	v_rcp_f32_e32 v1, v1
	v_mul_f32_e32 v1, 0x5f7ffffc, v1
	v_mul_f32_e32 v4, 0x2f800000, v1
	v_trunc_f32_e32 v4, v4
	v_madmk_f32 v1, v4, 0xcf800000, v1
	v_cvt_u32_f32_e32 v4, v4
	v_cvt_u32_f32_e32 v1, v1
	v_readfirstlane_b32 s12, v4
	v_readfirstlane_b32 s13, v1
	s_mul_i32 s14, s2, s12
	s_mul_hi_u32 s16, s2, s13
	s_mul_i32 s15, s11, s13
	s_add_i32 s14, s16, s14
	s_add_i32 s14, s14, s15
	s_mul_i32 s17, s2, s13
	s_mul_hi_u32 s15, s13, s14
	s_mul_i32 s16, s13, s14
	s_mul_hi_u32 s13, s13, s17
	s_add_u32 s13, s13, s16
	s_addc_u32 s15, 0, s15
	s_mul_hi_u32 s19, s12, s17
	s_mul_i32 s17, s12, s17
	s_add_u32 s13, s13, s17
	s_mul_hi_u32 s16, s12, s14
	s_addc_u32 s13, s15, s19
	s_addc_u32 s15, s16, 0
	s_mul_i32 s14, s12, s14
	s_add_u32 s13, s13, s14
	s_addc_u32 s14, 0, s15
	v_add_co_u32_e32 v1, vcc, s13, v1
	s_cmp_lg_u64 vcc, 0
	s_addc_u32 s12, s12, s14
	v_readfirstlane_b32 s14, v1
	s_mul_i32 s13, s2, s12
	s_mul_hi_u32 s15, s2, s14
	s_add_i32 s13, s15, s13
	s_mul_i32 s11, s11, s14
	s_add_i32 s13, s13, s11
	s_mul_i32 s2, s2, s14
	s_mul_hi_u32 s15, s12, s2
	s_mul_i32 s16, s12, s2
	s_mul_i32 s19, s14, s13
	s_mul_hi_u32 s2, s14, s2
	s_mul_hi_u32 s17, s14, s13
	s_add_u32 s2, s2, s19
	s_addc_u32 s14, 0, s17
	s_add_u32 s2, s2, s16
	s_mul_hi_u32 s11, s12, s13
	s_addc_u32 s2, s14, s15
	s_addc_u32 s11, s11, 0
	s_mul_i32 s13, s12, s13
	s_add_u32 s2, s2, s13
	s_addc_u32 s11, 0, s11
	v_add_co_u32_e32 v1, vcc, s2, v1
	s_cmp_lg_u64 vcc, 0
	s_addc_u32 s11, s12, s11
	s_ashr_i32 s12, s3, 31
	s_add_u32 s2, s10, s12
	s_mov_b32 s13, s12
	s_addc_u32 s3, s3, s12
	s_xor_b64 s[2:3], s[2:3], s[12:13]
	v_readfirstlane_b32 s16, v1
	s_mul_i32 s15, s2, s11
	s_mul_hi_u32 s17, s2, s16
	s_mul_hi_u32 s14, s2, s11
	s_add_u32 s15, s17, s15
	s_addc_u32 s14, 0, s14
	s_mul_hi_u32 s19, s3, s16
	s_mul_i32 s16, s3, s16
	s_add_u32 s15, s15, s16
	s_mul_hi_u32 s17, s3, s11
	s_addc_u32 s14, s14, s19
	s_addc_u32 s15, s17, 0
	s_mul_i32 s11, s3, s11
	s_add_u32 s11, s14, s11
	s_addc_u32 s14, 0, s15
	s_add_u32 s15, s11, 1
	s_addc_u32 s16, s14, 0
	s_add_u32 s17, s11, 2
	s_mul_i32 s22, s21, s14
	s_mul_hi_u32 s23, s21, s11
	s_addc_u32 s19, s14, 0
	s_add_i32 s23, s23, s22
	s_mul_i32 s22, s21, s11
	v_mov_b32_e32 v1, s22
	v_sub_co_u32_e32 v1, vcc, s2, v1
	s_cmp_lg_u64 vcc, 0
	s_subb_u32 s2, s3, s23
	v_subrev_co_u32_e32 v4, vcc, s21, v1
	s_cmp_lg_u64 vcc, 0
	s_subb_u32 s3, s2, 0
	v_readfirstlane_b32 s22, v4
	s_cmp_ge_u32 s22, s21
	s_cselect_b32 s22, -1, 0
	s_cmp_eq_u32 s3, 0
	s_cselect_b32 s3, s22, -1
	s_cmp_lg_u32 s3, 0
	s_cselect_b32 s3, s19, s16
	v_readfirstlane_b32 s16, v1
	s_cselect_b32 s15, s17, s15
	s_cmp_ge_u32 s16, s21
	s_cselect_b32 s16, -1, 0
	s_cmp_eq_u32 s2, 0
	s_cselect_b32 s2, s16, -1
	s_cmp_lg_u32 s2, 0
	s_cselect_b32 s3, s3, s14
	s_cselect_b32 s2, s15, s11
	s_xor_b64 s[2:3], s[2:3], s[12:13]
	s_sub_u32 s2, s2, s12
	s_subb_u32 s3, s3, s12
	s_cbranch_execnz .LBB24_5
.LBB24_4:
	v_cvt_f32_u32_e32 v1, s21
	s_sub_i32 s0, 0, s21
	s_mov_b32 s3, 0
	v_rcp_iflag_f32_e32 v1, v1
	v_mul_f32_e32 v1, 0x4f7ffffe, v1
	v_cvt_u32_f32_e32 v1, v1
	v_readfirstlane_b32 s1, v1
	s_mul_i32 s0, s0, s1
	s_mul_hi_u32 s0, s1, s0
	s_add_i32 s1, s1, s0
	s_mul_hi_u32 s0, s10, s1
	s_mul_i32 s2, s0, s21
	s_sub_i32 s2, s10, s2
	s_add_i32 s1, s0, 1
	s_sub_i32 s10, s2, s21
	s_cmp_ge_u32 s2, s21
	s_cselect_b32 s0, s1, s0
	s_cselect_b32 s2, s10, s2
	s_add_i32 s1, s0, 1
	s_cmp_ge_u32 s2, s21
	s_cselect_b32 s2, s1, s0
.LBB24_5:
	v_mov_b32_e32 v16, 0
	v_mov_b32_e32 v1, v16
	;; [unrolled: 1-line block ×3, first 2 shown]
	v_mad_u64_u32 v[18:19], s[0:1], s7, v4, v[0:1]
	s_add_u32 s0, s2, 1
	s_addc_u32 s1, s3, 0
	s_mul_hi_u32 s2, s18, s7
	s_mul_i32 s1, s20, s1
	s_mul_hi_u32 s3, s20, s0
	s_add_i32 s1, s3, s1
	s_mul_i32 s2, s2, s0
	s_add_i32 s1, s1, s2
	s_mul_i32 s0, s20, s0
	s_lshl_b64 s[10:11], s[0:1], 1
	v_cmp_gt_i64_e32 vcc, s[10:11], v[18:19]
	s_and_saveexec_b64 s[0:1], vcc
	s_cbranch_execz .LBB24_30
; %bb.6:
	v_mov_b32_e32 v4, v15
	s_mov_b32 s0, 0xdb3d7428
	v_add_co_u32_e32 v23, vcc, s0, v4
	s_mov_b32 s0, 0x5384540f
	v_add_co_u32_e32 v24, vcc, s0, v14
	;; [unrolled: 2-line block ×7, first 2 shown]
	s_mov_b32 s0, 0x9e3779b9
	v_alignbit_b32 v31, v3, v2, 2
	s_mov_b32 s23, 0xd2511f53
	v_add_co_u32_e32 v30, vcc, s0, v14
	v_mad_u64_u32 v[6:7], s[0:1], v31, s23, 0
	v_xor_b32_e32 v1, v7, v15
	v_xor_b32_e32 v1, v1, v19
	s_mov_b32 s24, 0xcd9e8d57
	v_mad_u64_u32 v[8:9], s[0:1], v1, s24, 0
	v_xor_b32_e32 v1, v30, v9
	v_mad_u64_u32 v[10:11], s[0:1], v18, s24, 0
	v_and_b32_e32 v20, 3, v2
	v_xor_b32_e32 v1, v1, v10
	v_xor_b32_e32 v2, v14, v11
	v_lshrrev_b32_e32 v32, 2, v3
	v_mad_u64_u32 v[12:13], s[0:1], v1, s23, 0
	v_xor_b32_e32 v2, v2, v32
	v_xor_b32_e32 v1, v29, v13
	v_mad_u64_u32 v[2:3], s[0:1], v2, s23, 0
	v_xor_b32_e32 v1, v1, v2
	v_mad_u64_u32 v[10:11], s[0:1], v1, s24, 0
	s_mov_b32 s0, 0xbb67ae85
	v_add_co_u32_e32 v33, vcc, s0, v4
	v_xor_b32_e32 v2, v33, v3
	v_xor_b32_e32 v2, v2, v6
	v_xor_b32_e32 v1, v28, v11
	v_mad_u64_u32 v[2:3], s[0:1], v2, s24, 0
	v_xor_b32_e32 v1, v1, v2
	v_mad_u64_u32 v[6:7], s[0:1], v1, s23, 0
	s_mov_b32 s0, 0x3c6ef372
	v_add_co_u32_e32 v34, vcc, s0, v14
	v_xor_b32_e32 v2, v34, v3
	;; [unrolled: 8-line block ×7, first 2 shown]
	v_xor_b32_e32 v1, v1, v12
	v_mad_u64_u32 v[2:3], s[0:1], v1, s24, 0
	s_mov_b32 s0, 0xf1bbcdc8
	v_add_u32_e32 v21, 0x8ff34781, v14
	v_xor_b32_e32 v1, v9, v2
	v_add_co_u32_e32 v40, vcc, s0, v14
	s_load_dwordx2 s[16:17], s[4:5], 0x30
	s_load_dword s2, s[4:5], 0x38
	s_load_dwordx4 s[12:15], s[4:5], 0x40
	v_xor_b32_e32 v2, v21, v1
	v_xor_b32_e32 v1, v40, v3
	;; [unrolled: 1-line block ×3, first 2 shown]
	v_mad_u64_u32 v[10:11], s[0:1], v1, s23, 0
	v_add_u32_e32 v22, 0x96a522ad, v15
	v_xor_b32_e32 v1, v11, v6
	s_mul_i32 s0, s6, s7
	v_xor_b32_e32 v4, v22, v1
	v_add_u32_e32 v1, s0, v0
	s_waitcnt lgkmcnt(0)
	s_mul_i32 s0, s18, s2
	s_mul_i32 s0, s0, s7
	s_lshl_b32 s25, s0, 1
	s_add_i32 s0, s6, s18
	s_mul_i32 s0, s0, s7
	s_mov_b32 s22, 0
	v_add_u32_e32 v0, s0, v0
	v_mov_b32_e32 v3, v8
	v_mov_b32_e32 v5, v10
	v_mul_lo_u32 v41, s2, v1
	v_mul_lo_u32 v42, s2, v0
	s_mov_b64 s[4:5], 0
	s_mov_b32 s26, s22
	v_mov_b32_e32 v43, v18
	v_mov_b32_e32 v44, v19
	s_branch .LBB24_9
.LBB24_7:                               ;   in Loop: Header=BB24_9 Depth=1
	s_or_b64 exec, exec, s[0:1]
	v_mov_b32_e32 v3, s15
	v_add_co_u32_e32 v2, vcc, s14, v10
	v_addc_co_u32_e32 v3, vcc, v11, v3, vcc
	v_xor_b32_e32 v9, v2, v3
	v_ashrrev_i32_e32 v9, 31, v9
	v_ffbh_i32_e32 v10, v3
	v_add_u32_e32 v9, 32, v9
	v_add_u32_e32 v10, -1, v10
	v_min_u32_e32 v9, v10, v9
	v_lshlrev_b64 v[2:3], v9, v[2:3]
	v_min_u32_e32 v2, 1, v2
	v_or_b32_e32 v2, v3, v2
	v_cvt_f32_i32_e32 v10, v2
	v_add_u32_e32 v1, s26, v42
	v_ashrrev_i32_e32 v4, 31, v1
	v_mov_b32_e32 v5, s17
	v_add_co_u32_e32 v2, vcc, s16, v1
	v_sub_u32_e32 v1, 32, v9
	v_addc_co_u32_e32 v3, vcc, v5, v4, vcc
	v_ldexp_f32 v1, v10, v1
	global_store_dword v[2:3], v1, off
.LBB24_8:                               ;   in Loop: Header=BB24_9 Depth=1
	s_or_b64 exec, exec, s[6:7]
	v_add_co_u32_e32 v18, vcc, s21, v18
	v_addc_co_u32_e32 v19, vcc, 0, v19, vcc
	v_mov_b32_e32 v9, v0
	s_add_i32 s26, s26, s25
	v_cmp_le_i64_e32 vcc, s[10:11], v[18:19]
	v_pk_mov_b32 v[2:3], v[6:7], v[6:7] op_sel:[0,1]
	s_or_b64 s[4:5], vcc, s[4:5]
	v_pk_mov_b32 v[4:5], v[8:9], v[8:9] op_sel:[0,1]
	s_barrier
	s_andn2_b64 exec, exec, s[4:5]
	s_cbranch_execz .LBB24_30
.LBB24_9:                               ; =>This Inner Loop Header: Depth=1
	v_add_co_u32_e32 v31, vcc, 1, v31
	v_cndmask_b32_e64 v0, 0, 1, vcc
	v_addc_co_u32_e32 v32, vcc, 0, v32, vcc
	v_cmp_eq_u32_e32 vcc, 0, v32
	v_cndmask_b32_e32 v0, 0, v0, vcc
	v_add_u32_e32 v43, v0, v43
	v_cmp_eq_u32_e32 vcc, 0, v43
	v_cndmask_b32_e32 v0, 0, v0, vcc
	v_add_u32_e32 v44, v0, v44
	v_mad_u64_u32 v[0:1], s[0:1], v31, s23, 0
	v_mad_u64_u32 v[6:7], s[0:1], v43, s24, 0
	v_xor_b32_e32 v1, v1, v15
	v_xor_b32_e32 v7, v7, v14
	v_xor_b32_e32 v1, v44, v1
	v_xor_b32_e32 v7, v32, v7
	v_mad_u64_u32 v[10:11], s[0:1], v1, s24, 0
	v_mad_u64_u32 v[8:9], s[0:1], v7, s23, 0
	v_xor_b32_e32 v1, v30, v11
	v_xor_b32_e32 v1, v1, v6
	v_xor_b32_e32 v6, v33, v9
	v_xor_b32_e32 v6, v6, v0
	;; [unrolled: 6-line block ×10, first 2 shown]
	v_mov_b32_e32 v7, v12
	v_mov_b32_e32 v8, v13
	v_cmp_lt_i32_e32 vcc, 1, v20
	s_and_saveexec_b64 s[0:1], vcc
	s_xor_b64 s[0:1], exec, s[0:1]
	s_cbranch_execnz .LBB24_12
; %bb.10:                               ;   in Loop: Header=BB24_9 Depth=1
	s_andn2_saveexec_b64 s[0:1], s[0:1]
	s_cbranch_execnz .LBB24_17
.LBB24_11:                              ;   in Loop: Header=BB24_9 Depth=1
	s_or_b64 exec, exec, s[0:1]
	v_cmp_gt_i64_e32 vcc, s[8:9], v[18:19]
	s_and_saveexec_b64 s[6:7], vcc
	s_cbranch_execnz .LBB24_20
	s_branch .LBB24_25
.LBB24_12:                              ;   in Loop: Header=BB24_9 Depth=1
	v_cmp_lt_i32_e32 vcc, 2, v20
	s_and_saveexec_b64 s[2:3], vcc
	s_xor_b64 s[2:3], exec, s[2:3]
; %bb.13:                               ;   in Loop: Header=BB24_9 Depth=1
	v_mov_b32_e32 v10, v5
	v_mov_b32_e32 v11, v6
	v_pk_mov_b32 v[2:3], v[10:11], v[10:11] op_sel:[0,1]
	v_pk_mov_b32 v[4:5], v[12:13], v[12:13] op_sel:[0,1]
                                        ; implicit-def: $vgpr12_vgpr13
; %bb.14:                               ;   in Loop: Header=BB24_9 Depth=1
	s_andn2_saveexec_b64 s[2:3], s[2:3]
; %bb.15:                               ;   in Loop: Header=BB24_9 Depth=1
	v_mov_b32_e32 v2, v4
	v_mov_b32_e32 v3, v5
	;; [unrolled: 1-line block ×4, first 2 shown]
; %bb.16:                               ;   in Loop: Header=BB24_9 Depth=1
	s_or_b64 exec, exec, s[2:3]
	s_andn2_saveexec_b64 s[0:1], s[0:1]
	s_cbranch_execz .LBB24_11
.LBB24_17:                              ;   in Loop: Header=BB24_9 Depth=1
	v_cmp_eq_u32_e32 vcc, 1, v20
	s_and_saveexec_b64 s[2:3], vcc
; %bb.18:                               ;   in Loop: Header=BB24_9 Depth=1
	v_mov_b32_e32 v2, v3
	v_mov_b32_e32 v3, v4
	;; [unrolled: 1-line block ×4, first 2 shown]
; %bb.19:                               ;   in Loop: Header=BB24_9 Depth=1
	s_or_b64 exec, exec, s[2:3]
	s_or_b64 exec, exec, s[0:1]
	v_cmp_gt_i64_e32 vcc, s[8:9], v[18:19]
	s_and_saveexec_b64 s[6:7], vcc
	s_cbranch_execz .LBB24_25
.LBB24_20:                              ;   in Loop: Header=BB24_9 Depth=1
	v_or_b32_e32 v17, s13, v2
	v_cmp_ne_u64_e32 vcc, 0, v[16:17]
                                        ; implicit-def: $vgpr10_vgpr11
	s_and_saveexec_b64 s[0:1], vcc
	s_xor_b64 s[18:19], exec, s[0:1]
	s_cbranch_execz .LBB24_22
; %bb.21:                               ;   in Loop: Header=BB24_9 Depth=1
	v_cvt_f32_u32_e32 v1, s12
	v_cvt_f32_u32_e32 v9, s13
	s_sub_u32 s0, 0, s12
	s_subb_u32 s1, 0, s13
	v_mac_f32_e32 v1, 0x4f800000, v9
	v_rcp_f32_e32 v1, v1
	v_mul_f32_e32 v1, 0x5f7ffffc, v1
	v_mul_f32_e32 v9, 0x2f800000, v1
	v_trunc_f32_e32 v9, v9
	v_mac_f32_e32 v1, 0xcf800000, v9
	v_cvt_u32_f32_e32 v9, v9
	v_cvt_u32_f32_e32 v1, v1
	v_mul_lo_u32 v10, s0, v9
	v_mul_hi_u32 v12, s0, v1
	v_mul_lo_u32 v11, s1, v1
	v_add_u32_e32 v10, v12, v10
	v_mul_lo_u32 v13, s0, v1
	v_add_u32_e32 v10, v10, v11
	v_mul_hi_u32 v12, v1, v13
	v_mul_lo_u32 v17, v1, v10
	v_mul_hi_u32 v11, v1, v10
	v_add_co_u32_e32 v12, vcc, v12, v17
	v_addc_co_u32_e32 v11, vcc, 0, v11, vcc
	v_mul_hi_u32 v45, v9, v13
	v_mul_lo_u32 v13, v9, v13
	v_add_co_u32_e32 v12, vcc, v12, v13
	v_mul_hi_u32 v17, v9, v10
	v_addc_co_u32_e32 v11, vcc, v11, v45, vcc
	v_addc_co_u32_e32 v12, vcc, 0, v17, vcc
	v_mul_lo_u32 v10, v9, v10
	v_add_co_u32_e32 v10, vcc, v11, v10
	v_addc_co_u32_e32 v11, vcc, 0, v12, vcc
	v_add_co_u32_e32 v1, vcc, v1, v10
	v_addc_co_u32_e32 v9, vcc, v9, v11, vcc
	v_mul_lo_u32 v10, s0, v9
	v_mul_hi_u32 v11, s0, v1
	v_add_u32_e32 v10, v11, v10
	v_mul_lo_u32 v11, s1, v1
	v_add_u32_e32 v10, v10, v11
	v_mul_lo_u32 v12, s0, v1
	v_mul_hi_u32 v13, v9, v12
	v_mul_lo_u32 v17, v9, v12
	v_mul_lo_u32 v46, v1, v10
	v_mul_hi_u32 v12, v1, v12
	v_mul_hi_u32 v45, v1, v10
	v_add_co_u32_e32 v12, vcc, v12, v46
	v_addc_co_u32_e32 v45, vcc, 0, v45, vcc
	v_add_co_u32_e32 v12, vcc, v12, v17
	v_mul_hi_u32 v11, v9, v10
	v_addc_co_u32_e32 v12, vcc, v45, v13, vcc
	v_addc_co_u32_e32 v11, vcc, 0, v11, vcc
	v_mul_lo_u32 v10, v9, v10
	v_add_co_u32_e32 v10, vcc, v12, v10
	v_addc_co_u32_e32 v11, vcc, 0, v11, vcc
	v_add_co_u32_e32 v1, vcc, v1, v10
	v_addc_co_u32_e32 v9, vcc, v9, v11, vcc
	v_mad_u64_u32 v[10:11], s[0:1], v3, v9, 0
	v_mul_hi_u32 v12, v3, v1
	v_add_co_u32_e32 v17, vcc, v12, v10
	v_addc_co_u32_e32 v45, vcc, 0, v11, vcc
	v_mad_u64_u32 v[12:13], s[0:1], v2, v1, 0
	v_add_co_u32_e32 v1, vcc, v17, v12
	v_mad_u64_u32 v[10:11], s[0:1], v2, v9, 0
	v_addc_co_u32_e32 v1, vcc, v45, v13, vcc
	v_addc_co_u32_e32 v9, vcc, 0, v11, vcc
	v_add_co_u32_e32 v1, vcc, v1, v10
	v_addc_co_u32_e32 v9, vcc, 0, v9, vcc
	v_mul_lo_u32 v12, s13, v1
	v_mul_lo_u32 v9, s12, v9
	v_mad_u64_u32 v[10:11], s[0:1], s12, v1, 0
	v_add3_u32 v1, v11, v9, v12
	v_sub_u32_e32 v9, v2, v1
	v_mov_b32_e32 v11, s13
	v_sub_co_u32_e32 v10, vcc, v3, v10
	v_subb_co_u32_e64 v9, s[0:1], v9, v11, vcc
	v_subrev_co_u32_e64 v12, s[0:1], s12, v10
	v_subbrev_co_u32_e64 v13, s[2:3], 0, v9, s[0:1]
	v_cmp_le_u32_e64 s[2:3], s13, v13
	v_cndmask_b32_e64 v17, 0, -1, s[2:3]
	v_cmp_le_u32_e64 s[2:3], s12, v12
	v_subb_co_u32_e32 v1, vcc, v2, v1, vcc
	v_cndmask_b32_e64 v45, 0, -1, s[2:3]
	v_cmp_eq_u32_e64 s[2:3], s13, v13
	v_subb_co_u32_e64 v9, s[0:1], v9, v11, s[0:1]
	v_cmp_le_u32_e32 vcc, s13, v1
	v_cndmask_b32_e64 v17, v17, v45, s[2:3]
	v_subrev_co_u32_e64 v45, s[0:1], s12, v12
	v_cndmask_b32_e64 v2, 0, -1, vcc
	v_cmp_le_u32_e32 vcc, s12, v10
	v_subbrev_co_u32_e64 v9, s[0:1], 0, v9, s[0:1]
	v_cndmask_b32_e64 v11, 0, -1, vcc
	v_cmp_eq_u32_e32 vcc, s13, v1
	v_cmp_ne_u32_e64 s[0:1], 0, v17
	v_cndmask_b32_e32 v2, v2, v11, vcc
	v_cndmask_b32_e64 v9, v13, v9, s[0:1]
	v_cmp_ne_u32_e32 vcc, 0, v2
	v_cndmask_b32_e32 v11, v1, v9, vcc
	v_cndmask_b32_e64 v1, v12, v45, s[0:1]
	v_cndmask_b32_e32 v10, v10, v1, vcc
.LBB24_22:                              ;   in Loop: Header=BB24_9 Depth=1
	s_andn2_saveexec_b64 s[0:1], s[18:19]
	s_cbranch_execz .LBB24_24
; %bb.23:                               ;   in Loop: Header=BB24_9 Depth=1
	v_cvt_f32_u32_e32 v1, s12
	s_sub_i32 s2, 0, s12
	v_mov_b32_e32 v11, v16
	v_rcp_iflag_f32_e32 v1, v1
	v_mul_f32_e32 v1, 0x4f7ffffe, v1
	v_cvt_u32_f32_e32 v1, v1
	v_mul_lo_u32 v2, s2, v1
	v_mul_hi_u32 v2, v1, v2
	v_add_u32_e32 v1, v1, v2
	v_mul_hi_u32 v1, v3, v1
	v_mul_lo_u32 v1, v1, s12
	v_sub_u32_e32 v1, v3, v1
	v_subrev_u32_e32 v2, s12, v1
	v_cmp_le_u32_e32 vcc, s12, v1
	v_cndmask_b32_e32 v1, v1, v2, vcc
	v_subrev_u32_e32 v2, s12, v1
	v_cmp_le_u32_e32 vcc, s12, v1
	v_cndmask_b32_e32 v10, v1, v2, vcc
.LBB24_24:                              ;   in Loop: Header=BB24_9 Depth=1
	s_or_b64 exec, exec, s[0:1]
	v_mov_b32_e32 v3, s15
	v_add_co_u32_e32 v2, vcc, s14, v10
	v_addc_co_u32_e32 v3, vcc, v11, v3, vcc
	v_xor_b32_e32 v10, v2, v3
	v_ashrrev_i32_e32 v10, 31, v10
	v_ffbh_i32_e32 v11, v3
	v_add_u32_e32 v10, 32, v10
	v_add_u32_e32 v11, -1, v11
	v_min_u32_e32 v10, v11, v10
	v_lshlrev_b64 v[2:3], v10, v[2:3]
	v_min_u32_e32 v2, 1, v2
	v_or_b32_e32 v2, v3, v2
	v_cvt_f32_i32_e32 v11, v2
	v_add_u32_e32 v1, s26, v41
	v_ashrrev_i32_e32 v9, 31, v1
	v_mov_b32_e32 v12, s17
	v_add_co_u32_e32 v2, vcc, s16, v1
	v_sub_u32_e32 v1, 32, v10
	v_addc_co_u32_e32 v3, vcc, v12, v9, vcc
	v_ldexp_f32 v1, v11, v1
	global_store_dword v[2:3], v1, off
.LBB24_25:                              ;   in Loop: Header=BB24_9 Depth=1
	s_or_b64 exec, exec, s[6:7]
	v_mov_b32_e32 v1, s22
	v_add_co_u32_e32 v2, vcc, s20, v18
	v_addc_co_u32_e32 v3, vcc, v1, v19, vcc
	v_cmp_gt_i64_e32 vcc, s[8:9], v[2:3]
	s_and_saveexec_b64 s[6:7], vcc
	s_cbranch_execz .LBB24_8
; %bb.26:                               ;   in Loop: Header=BB24_9 Depth=1
	v_or_b32_e32 v17, s13, v4
	v_cmp_ne_u64_e32 vcc, 0, v[16:17]
                                        ; implicit-def: $vgpr10_vgpr11
	s_and_saveexec_b64 s[0:1], vcc
	s_xor_b64 s[18:19], exec, s[0:1]
	s_cbranch_execz .LBB24_28
; %bb.27:                               ;   in Loop: Header=BB24_9 Depth=1
	v_cvt_f32_u32_e32 v1, s12
	v_cvt_f32_u32_e32 v2, s13
	s_sub_u32 s0, 0, s12
	s_subb_u32 s1, 0, s13
	v_mac_f32_e32 v1, 0x4f800000, v2
	v_rcp_f32_e32 v1, v1
	v_mul_f32_e32 v1, 0x5f7ffffc, v1
	v_mul_f32_e32 v2, 0x2f800000, v1
	v_trunc_f32_e32 v2, v2
	v_mac_f32_e32 v1, 0xcf800000, v2
	v_cvt_u32_f32_e32 v2, v2
	v_cvt_u32_f32_e32 v1, v1
	v_mul_lo_u32 v3, s0, v2
	v_mul_hi_u32 v10, s0, v1
	v_mul_lo_u32 v9, s1, v1
	v_add_u32_e32 v3, v10, v3
	v_mul_lo_u32 v11, s0, v1
	v_add_u32_e32 v3, v3, v9
	v_mul_hi_u32 v10, v1, v11
	v_mul_lo_u32 v12, v1, v3
	v_mul_hi_u32 v9, v1, v3
	v_add_co_u32_e32 v10, vcc, v10, v12
	v_addc_co_u32_e32 v9, vcc, 0, v9, vcc
	v_mul_hi_u32 v13, v2, v11
	v_mul_lo_u32 v11, v2, v11
	v_add_co_u32_e32 v10, vcc, v10, v11
	v_mul_hi_u32 v12, v2, v3
	v_addc_co_u32_e32 v9, vcc, v9, v13, vcc
	v_addc_co_u32_e32 v10, vcc, 0, v12, vcc
	v_mul_lo_u32 v3, v2, v3
	v_add_co_u32_e32 v3, vcc, v9, v3
	v_addc_co_u32_e32 v9, vcc, 0, v10, vcc
	v_add_co_u32_e32 v1, vcc, v1, v3
	v_addc_co_u32_e32 v2, vcc, v2, v9, vcc
	v_mul_lo_u32 v3, s0, v2
	v_mul_hi_u32 v9, s0, v1
	v_add_u32_e32 v3, v9, v3
	v_mul_lo_u32 v9, s1, v1
	v_add_u32_e32 v3, v3, v9
	v_mul_lo_u32 v10, s0, v1
	v_mul_hi_u32 v11, v2, v10
	v_mul_lo_u32 v12, v2, v10
	v_mul_lo_u32 v17, v1, v3
	v_mul_hi_u32 v10, v1, v10
	v_mul_hi_u32 v13, v1, v3
	v_add_co_u32_e32 v10, vcc, v10, v17
	v_addc_co_u32_e32 v13, vcc, 0, v13, vcc
	v_add_co_u32_e32 v10, vcc, v10, v12
	v_mul_hi_u32 v9, v2, v3
	v_addc_co_u32_e32 v10, vcc, v13, v11, vcc
	v_addc_co_u32_e32 v9, vcc, 0, v9, vcc
	v_mul_lo_u32 v3, v2, v3
	v_add_co_u32_e32 v3, vcc, v10, v3
	v_addc_co_u32_e32 v9, vcc, 0, v9, vcc
	v_add_co_u32_e32 v1, vcc, v1, v3
	v_addc_co_u32_e32 v9, vcc, v2, v9, vcc
	v_mad_u64_u32 v[2:3], s[0:1], v5, v9, 0
	v_mul_hi_u32 v10, v5, v1
	v_add_co_u32_e32 v12, vcc, v10, v2
	v_addc_co_u32_e32 v13, vcc, 0, v3, vcc
	v_mad_u64_u32 v[10:11], s[0:1], v4, v1, 0
	v_add_co_u32_e32 v1, vcc, v12, v10
	v_mad_u64_u32 v[2:3], s[0:1], v4, v9, 0
	v_addc_co_u32_e32 v1, vcc, v13, v11, vcc
	v_addc_co_u32_e32 v3, vcc, 0, v3, vcc
	v_add_co_u32_e32 v1, vcc, v1, v2
	v_addc_co_u32_e32 v2, vcc, 0, v3, vcc
	v_mul_lo_u32 v9, s13, v1
	v_mul_lo_u32 v10, s12, v2
	v_mad_u64_u32 v[2:3], s[0:1], s12, v1, 0
	v_add3_u32 v1, v3, v10, v9
	v_sub_u32_e32 v3, v4, v1
	v_mov_b32_e32 v9, s13
	v_sub_co_u32_e32 v2, vcc, v5, v2
	v_subb_co_u32_e64 v3, s[0:1], v3, v9, vcc
	v_subrev_co_u32_e64 v5, s[0:1], s12, v2
	v_subbrev_co_u32_e64 v10, s[2:3], 0, v3, s[0:1]
	v_cmp_le_u32_e64 s[2:3], s13, v10
	v_cndmask_b32_e64 v11, 0, -1, s[2:3]
	v_cmp_le_u32_e64 s[2:3], s12, v5
	v_subb_co_u32_e64 v3, s[0:1], v3, v9, s[0:1]
	v_cndmask_b32_e64 v12, 0, -1, s[2:3]
	v_cmp_eq_u32_e64 s[2:3], s13, v10
	v_subrev_co_u32_e64 v9, s[0:1], s12, v5
	v_subb_co_u32_e32 v1, vcc, v4, v1, vcc
	v_cndmask_b32_e64 v11, v11, v12, s[2:3]
	v_subbrev_co_u32_e64 v3, s[0:1], 0, v3, s[0:1]
	v_cmp_le_u32_e32 vcc, s13, v1
	v_cmp_ne_u32_e64 s[0:1], 0, v11
	v_cndmask_b32_e64 v4, 0, -1, vcc
	v_cmp_le_u32_e32 vcc, s12, v2
	v_cndmask_b32_e64 v3, v10, v3, s[0:1]
	v_cndmask_b32_e64 v10, 0, -1, vcc
	v_cmp_eq_u32_e32 vcc, s13, v1
	v_cndmask_b32_e32 v4, v4, v10, vcc
	v_cmp_ne_u32_e32 vcc, 0, v4
	v_cndmask_b32_e32 v11, v1, v3, vcc
	v_cndmask_b32_e64 v1, v5, v9, s[0:1]
	v_cndmask_b32_e32 v10, v2, v1, vcc
                                        ; implicit-def: $vgpr2_vgpr3_vgpr4_vgpr5
.LBB24_28:                              ;   in Loop: Header=BB24_9 Depth=1
	s_andn2_saveexec_b64 s[0:1], s[18:19]
	s_cbranch_execz .LBB24_7
; %bb.29:                               ;   in Loop: Header=BB24_9 Depth=1
	v_cvt_f32_u32_e32 v1, s12
	s_sub_i32 s2, 0, s12
	v_mov_b32_e32 v11, v16
	v_rcp_iflag_f32_e32 v1, v1
	v_mul_f32_e32 v1, 0x4f7ffffe, v1
	v_cvt_u32_f32_e32 v1, v1
	v_mul_lo_u32 v2, s2, v1
	v_mul_hi_u32 v2, v1, v2
	v_add_u32_e32 v1, v1, v2
	v_mul_hi_u32 v1, v5, v1
	v_mul_lo_u32 v1, v1, s12
	v_sub_u32_e32 v1, v5, v1
	v_subrev_u32_e32 v2, s12, v1
	v_cmp_le_u32_e32 vcc, s12, v1
	v_cndmask_b32_e32 v1, v1, v2, vcc
	v_subrev_u32_e32 v2, s12, v1
	v_cmp_le_u32_e32 vcc, s12, v1
	v_cndmask_b32_e32 v10, v1, v2, vcc
	s_branch .LBB24_7
.LBB24_30:
	s_endpgm
.LBB24_31:
                                        ; implicit-def: $sgpr2_sgpr3
	s_andn2_b64 vcc, exec, s[0:1]
	s_cbranch_vccz .LBB24_4
	s_branch .LBB24_5
	.section	.rodata,"a",@progbits
	.p2align	6, 0x0
	.amdhsa_kernel _ZN2at6native12_GLOBAL__N_143distribution_elementwise_grid_stride_kernelImLi2EZZZNS0_9templates4cuda21random_from_to_kernelIPNS_17CUDAGeneratorImplEEEvRNS_18TensorIteratorBaseEmlT_ENKUlvE_clEvENKUlvE5_clEvEUlP25hiprandStatePhilox4_32_10E_ZNS1_27distribution_nullary_kernelIfm15HIP_vector_typeIyLj2EES7_SF_ZZZNS5_IS7_EEvS9_mlSA_ENKSB_clEvENKSC_clEvEUlmE_EEvS9_T2_RKT3_T4_EUlimE_EEvlNS_15PhiloxCudaStateET1_SK_
		.amdhsa_group_segment_fixed_size 0
		.amdhsa_private_segment_fixed_size 0
		.amdhsa_kernarg_size 336
		.amdhsa_user_sgpr_count 6
		.amdhsa_user_sgpr_private_segment_buffer 1
		.amdhsa_user_sgpr_dispatch_ptr 0
		.amdhsa_user_sgpr_queue_ptr 0
		.amdhsa_user_sgpr_kernarg_segment_ptr 1
		.amdhsa_user_sgpr_dispatch_id 0
		.amdhsa_user_sgpr_flat_scratch_init 0
		.amdhsa_user_sgpr_kernarg_preload_length 0
		.amdhsa_user_sgpr_kernarg_preload_offset 0
		.amdhsa_user_sgpr_private_segment_size 0
		.amdhsa_uses_dynamic_stack 0
		.amdhsa_system_sgpr_private_segment_wavefront_offset 0
		.amdhsa_system_sgpr_workgroup_id_x 1
		.amdhsa_system_sgpr_workgroup_id_y 0
		.amdhsa_system_sgpr_workgroup_id_z 0
		.amdhsa_system_sgpr_workgroup_info 0
		.amdhsa_system_vgpr_workitem_id 0
		.amdhsa_next_free_vgpr 48
		.amdhsa_next_free_sgpr 27
		.amdhsa_accum_offset 48
		.amdhsa_reserve_vcc 1
		.amdhsa_reserve_flat_scratch 0
		.amdhsa_float_round_mode_32 0
		.amdhsa_float_round_mode_16_64 0
		.amdhsa_float_denorm_mode_32 3
		.amdhsa_float_denorm_mode_16_64 3
		.amdhsa_dx10_clamp 1
		.amdhsa_ieee_mode 1
		.amdhsa_fp16_overflow 0
		.amdhsa_tg_split 0
		.amdhsa_exception_fp_ieee_invalid_op 0
		.amdhsa_exception_fp_denorm_src 0
		.amdhsa_exception_fp_ieee_div_zero 0
		.amdhsa_exception_fp_ieee_overflow 0
		.amdhsa_exception_fp_ieee_underflow 0
		.amdhsa_exception_fp_ieee_inexact 0
		.amdhsa_exception_int_div_zero 0
	.end_amdhsa_kernel
	.section	.text._ZN2at6native12_GLOBAL__N_143distribution_elementwise_grid_stride_kernelImLi2EZZZNS0_9templates4cuda21random_from_to_kernelIPNS_17CUDAGeneratorImplEEEvRNS_18TensorIteratorBaseEmlT_ENKUlvE_clEvENKUlvE5_clEvEUlP25hiprandStatePhilox4_32_10E_ZNS1_27distribution_nullary_kernelIfm15HIP_vector_typeIyLj2EES7_SF_ZZZNS5_IS7_EEvS9_mlSA_ENKSB_clEvENKSC_clEvEUlmE_EEvS9_T2_RKT3_T4_EUlimE_EEvlNS_15PhiloxCudaStateET1_SK_,"axG",@progbits,_ZN2at6native12_GLOBAL__N_143distribution_elementwise_grid_stride_kernelImLi2EZZZNS0_9templates4cuda21random_from_to_kernelIPNS_17CUDAGeneratorImplEEEvRNS_18TensorIteratorBaseEmlT_ENKUlvE_clEvENKUlvE5_clEvEUlP25hiprandStatePhilox4_32_10E_ZNS1_27distribution_nullary_kernelIfm15HIP_vector_typeIyLj2EES7_SF_ZZZNS5_IS7_EEvS9_mlSA_ENKSB_clEvENKSC_clEvEUlmE_EEvS9_T2_RKT3_T4_EUlimE_EEvlNS_15PhiloxCudaStateET1_SK_,comdat
.Lfunc_end24:
	.size	_ZN2at6native12_GLOBAL__N_143distribution_elementwise_grid_stride_kernelImLi2EZZZNS0_9templates4cuda21random_from_to_kernelIPNS_17CUDAGeneratorImplEEEvRNS_18TensorIteratorBaseEmlT_ENKUlvE_clEvENKUlvE5_clEvEUlP25hiprandStatePhilox4_32_10E_ZNS1_27distribution_nullary_kernelIfm15HIP_vector_typeIyLj2EES7_SF_ZZZNS5_IS7_EEvS9_mlSA_ENKSB_clEvENKSC_clEvEUlmE_EEvS9_T2_RKT3_T4_EUlimE_EEvlNS_15PhiloxCudaStateET1_SK_, .Lfunc_end24-_ZN2at6native12_GLOBAL__N_143distribution_elementwise_grid_stride_kernelImLi2EZZZNS0_9templates4cuda21random_from_to_kernelIPNS_17CUDAGeneratorImplEEEvRNS_18TensorIteratorBaseEmlT_ENKUlvE_clEvENKUlvE5_clEvEUlP25hiprandStatePhilox4_32_10E_ZNS1_27distribution_nullary_kernelIfm15HIP_vector_typeIyLj2EES7_SF_ZZZNS5_IS7_EEvS9_mlSA_ENKSB_clEvENKSC_clEvEUlmE_EEvS9_T2_RKT3_T4_EUlimE_EEvlNS_15PhiloxCudaStateET1_SK_
                                        ; -- End function
	.section	.AMDGPU.csdata,"",@progbits
; Kernel info:
; codeLenInByte = 3760
; NumSgprs: 31
; NumVgprs: 48
; NumAgprs: 0
; TotalNumVgprs: 48
; ScratchSize: 0
; MemoryBound: 0
; FloatMode: 240
; IeeeMode: 1
; LDSByteSize: 0 bytes/workgroup (compile time only)
; SGPRBlocks: 3
; VGPRBlocks: 5
; NumSGPRsForWavesPerEU: 31
; NumVGPRsForWavesPerEU: 48
; AccumOffset: 48
; Occupancy: 8
; WaveLimiterHint : 0
; COMPUTE_PGM_RSRC2:SCRATCH_EN: 0
; COMPUTE_PGM_RSRC2:USER_SGPR: 6
; COMPUTE_PGM_RSRC2:TRAP_HANDLER: 0
; COMPUTE_PGM_RSRC2:TGID_X_EN: 1
; COMPUTE_PGM_RSRC2:TGID_Y_EN: 0
; COMPUTE_PGM_RSRC2:TGID_Z_EN: 0
; COMPUTE_PGM_RSRC2:TIDIG_COMP_CNT: 0
; COMPUTE_PGM_RSRC3_GFX90A:ACCUM_OFFSET: 11
; COMPUTE_PGM_RSRC3_GFX90A:TG_SPLIT: 0
	.section	.text._ZN2at6native12_GLOBAL__N_143distribution_elementwise_grid_stride_kernelImLi2EZZZNS0_9templates4cuda21random_from_to_kernelIPNS_17CUDAGeneratorImplEEEvRNS_18TensorIteratorBaseEmlT_ENKUlvE_clEvENKUlvE5_clEvEUlP25hiprandStatePhilox4_32_10E_ZNS1_27distribution_nullary_kernelIfm15HIP_vector_typeIyLj2EES7_SF_ZZZNS5_IS7_EEvS9_mlSA_ENKSB_clEvENKSC_clEvEUlmE_EEvS9_T2_RKT3_T4_EUlimE0_EEvlNS_15PhiloxCudaStateET1_SK_,"axG",@progbits,_ZN2at6native12_GLOBAL__N_143distribution_elementwise_grid_stride_kernelImLi2EZZZNS0_9templates4cuda21random_from_to_kernelIPNS_17CUDAGeneratorImplEEEvRNS_18TensorIteratorBaseEmlT_ENKUlvE_clEvENKUlvE5_clEvEUlP25hiprandStatePhilox4_32_10E_ZNS1_27distribution_nullary_kernelIfm15HIP_vector_typeIyLj2EES7_SF_ZZZNS5_IS7_EEvS9_mlSA_ENKSB_clEvENKSC_clEvEUlmE_EEvS9_T2_RKT3_T4_EUlimE0_EEvlNS_15PhiloxCudaStateET1_SK_,comdat
	.globl	_ZN2at6native12_GLOBAL__N_143distribution_elementwise_grid_stride_kernelImLi2EZZZNS0_9templates4cuda21random_from_to_kernelIPNS_17CUDAGeneratorImplEEEvRNS_18TensorIteratorBaseEmlT_ENKUlvE_clEvENKUlvE5_clEvEUlP25hiprandStatePhilox4_32_10E_ZNS1_27distribution_nullary_kernelIfm15HIP_vector_typeIyLj2EES7_SF_ZZZNS5_IS7_EEvS9_mlSA_ENKSB_clEvENKSC_clEvEUlmE_EEvS9_T2_RKT3_T4_EUlimE0_EEvlNS_15PhiloxCudaStateET1_SK_ ; -- Begin function _ZN2at6native12_GLOBAL__N_143distribution_elementwise_grid_stride_kernelImLi2EZZZNS0_9templates4cuda21random_from_to_kernelIPNS_17CUDAGeneratorImplEEEvRNS_18TensorIteratorBaseEmlT_ENKUlvE_clEvENKUlvE5_clEvEUlP25hiprandStatePhilox4_32_10E_ZNS1_27distribution_nullary_kernelIfm15HIP_vector_typeIyLj2EES7_SF_ZZZNS5_IS7_EEvS9_mlSA_ENKSB_clEvENKSC_clEvEUlmE_EEvS9_T2_RKT3_T4_EUlimE0_EEvlNS_15PhiloxCudaStateET1_SK_
	.p2align	8
	.type	_ZN2at6native12_GLOBAL__N_143distribution_elementwise_grid_stride_kernelImLi2EZZZNS0_9templates4cuda21random_from_to_kernelIPNS_17CUDAGeneratorImplEEEvRNS_18TensorIteratorBaseEmlT_ENKUlvE_clEvENKUlvE5_clEvEUlP25hiprandStatePhilox4_32_10E_ZNS1_27distribution_nullary_kernelIfm15HIP_vector_typeIyLj2EES7_SF_ZZZNS5_IS7_EEvS9_mlSA_ENKSB_clEvENKSC_clEvEUlmE_EEvS9_T2_RKT3_T4_EUlimE0_EEvlNS_15PhiloxCudaStateET1_SK_,@function
_ZN2at6native12_GLOBAL__N_143distribution_elementwise_grid_stride_kernelImLi2EZZZNS0_9templates4cuda21random_from_to_kernelIPNS_17CUDAGeneratorImplEEEvRNS_18TensorIteratorBaseEmlT_ENKUlvE_clEvENKUlvE5_clEvEUlP25hiprandStatePhilox4_32_10E_ZNS1_27distribution_nullary_kernelIfm15HIP_vector_typeIyLj2EES7_SF_ZZZNS5_IS7_EEvS9_mlSA_ENKSB_clEvENKSC_clEvEUlmE_EEvS9_T2_RKT3_T4_EUlimE0_EEvlNS_15PhiloxCudaStateET1_SK_: ; @_ZN2at6native12_GLOBAL__N_143distribution_elementwise_grid_stride_kernelImLi2EZZZNS0_9templates4cuda21random_from_to_kernelIPNS_17CUDAGeneratorImplEEEvRNS_18TensorIteratorBaseEmlT_ENKUlvE_clEvENKUlvE5_clEvEUlP25hiprandStatePhilox4_32_10E_ZNS1_27distribution_nullary_kernelIfm15HIP_vector_typeIyLj2EES7_SF_ZZZNS5_IS7_EEvS9_mlSA_ENKSB_clEvENKSC_clEvEUlmE_EEvS9_T2_RKT3_T4_EUlimE0_EEvlNS_15PhiloxCudaStateET1_SK_
; %bb.0:
	s_load_dword s2, s[4:5], 0x20
	s_load_dwordx2 s[0:1], s[4:5], 0x10
	s_load_dwordx4 s[24:27], s[4:5], 0x0
	s_waitcnt lgkmcnt(0)
	s_bitcmp0_b32 s2, 0
	s_mov_b32 s2, 0
	v_pk_mov_b32 v[2:3], s[0:1], s[0:1] op_sel:[0,1]
	v_pk_mov_b32 v[12:13], s[26:27], s[26:27] op_sel:[0,1]
	s_cbranch_scc1 .LBB25_2
; %bb.1:
	v_pk_mov_b32 v[2:3], s[0:1], s[0:1] op_sel:[0,1]
	flat_load_dwordx2 v[2:3], v[2:3]
	v_pk_mov_b32 v[4:5], s[26:27], s[26:27] op_sel:[0,1]
	flat_load_dwordx2 v[12:13], v[4:5]
	s_load_dwordx2 s[0:1], s[4:5], 0x18
	s_waitcnt lgkmcnt(0)
	v_mov_b32_e32 v1, s1
	s_waitcnt vmcnt(0)
	v_add_co_u32_e32 v2, vcc, s0, v2
	v_addc_co_u32_e32 v3, vcc, v3, v1, vcc
.LBB25_2:
	s_load_dword s0, s[4:5], 0x15c
	s_load_dword s7, s[4:5], 0x150
	s_waitcnt lgkmcnt(0)
	s_and_b32 s8, s0, 0xffff
	s_add_u32 s9, s24, -1
	s_mul_i32 s33, s7, s8
	s_addc_u32 s3, s25, -1
	s_lshl_b32 s62, s33, 1
	s_cmp_lg_u64 s[2:3], 0
	s_mov_b64 s[0:1], -1
	s_cbranch_scc0 .LBB25_59
; %bb.3:
	v_cvt_f32_u32_e32 v1, s62
	v_cvt_f32_ubyte0_e32 v4, 0
	s_sub_u32 s2, 0, s62
	s_subb_u32 s10, 0, 0
	v_madmk_f32 v1, v4, 0x4f800000, v1
	v_rcp_f32_e32 v1, v1
	v_mul_f32_e32 v1, 0x5f7ffffc, v1
	v_mul_f32_e32 v4, 0x2f800000, v1
	v_trunc_f32_e32 v4, v4
	v_madmk_f32 v1, v4, 0xcf800000, v1
	v_cvt_u32_f32_e32 v4, v4
	v_cvt_u32_f32_e32 v1, v1
	v_readfirstlane_b32 s11, v4
	v_readfirstlane_b32 s12, v1
	s_mul_i32 s13, s2, s11
	s_mul_hi_u32 s15, s2, s12
	s_mul_i32 s14, s10, s12
	s_add_i32 s13, s15, s13
	s_add_i32 s13, s13, s14
	s_mul_i32 s16, s2, s12
	s_mul_hi_u32 s14, s12, s13
	s_mul_i32 s15, s12, s13
	s_mul_hi_u32 s12, s12, s16
	s_add_u32 s12, s12, s15
	s_addc_u32 s14, 0, s14
	s_mul_hi_u32 s17, s11, s16
	s_mul_i32 s16, s11, s16
	s_add_u32 s12, s12, s16
	s_mul_hi_u32 s15, s11, s13
	s_addc_u32 s12, s14, s17
	s_addc_u32 s14, s15, 0
	s_mul_i32 s13, s11, s13
	s_add_u32 s12, s12, s13
	s_addc_u32 s13, 0, s14
	v_add_co_u32_e32 v1, vcc, s12, v1
	s_cmp_lg_u64 vcc, 0
	s_addc_u32 s11, s11, s13
	v_readfirstlane_b32 s13, v1
	s_mul_i32 s12, s2, s11
	s_mul_hi_u32 s14, s2, s13
	s_add_i32 s12, s14, s12
	s_mul_i32 s10, s10, s13
	s_add_i32 s12, s12, s10
	s_mul_i32 s2, s2, s13
	s_mul_hi_u32 s14, s11, s2
	s_mul_i32 s15, s11, s2
	s_mul_i32 s17, s13, s12
	s_mul_hi_u32 s2, s13, s2
	s_mul_hi_u32 s16, s13, s12
	s_add_u32 s2, s2, s17
	s_addc_u32 s13, 0, s16
	s_add_u32 s2, s2, s15
	s_mul_hi_u32 s10, s11, s12
	s_addc_u32 s2, s13, s14
	s_addc_u32 s10, s10, 0
	s_mul_i32 s12, s11, s12
	s_add_u32 s2, s2, s12
	s_addc_u32 s10, 0, s10
	v_add_co_u32_e32 v1, vcc, s2, v1
	s_cmp_lg_u64 vcc, 0
	s_addc_u32 s12, s11, s10
	s_ashr_i32 s10, s3, 31
	s_add_u32 s2, s9, s10
	s_mov_b32 s11, s10
	s_addc_u32 s3, s3, s10
	s_xor_b64 s[2:3], s[2:3], s[10:11]
	v_readfirstlane_b32 s15, v1
	s_mul_i32 s14, s2, s12
	s_mul_hi_u32 s16, s2, s15
	s_mul_hi_u32 s13, s2, s12
	s_add_u32 s14, s16, s14
	s_addc_u32 s13, 0, s13
	s_mul_hi_u32 s17, s3, s15
	s_mul_i32 s15, s3, s15
	s_add_u32 s14, s14, s15
	s_mul_hi_u32 s16, s3, s12
	s_addc_u32 s13, s13, s17
	s_addc_u32 s14, s16, 0
	s_mul_i32 s12, s3, s12
	s_add_u32 s12, s13, s12
	s_addc_u32 s13, 0, s14
	s_add_u32 s14, s12, 1
	s_addc_u32 s15, s13, 0
	s_add_u32 s16, s12, 2
	s_mul_i32 s18, s62, s13
	s_mul_hi_u32 s19, s62, s12
	s_addc_u32 s17, s13, 0
	s_add_i32 s19, s19, s18
	s_mul_i32 s18, s62, s12
	v_mov_b32_e32 v1, s18
	v_sub_co_u32_e32 v1, vcc, s2, v1
	s_cmp_lg_u64 vcc, 0
	s_subb_u32 s2, s3, s19
	v_subrev_co_u32_e32 v4, vcc, s62, v1
	s_cmp_lg_u64 vcc, 0
	s_subb_u32 s3, s2, 0
	v_readfirstlane_b32 s18, v4
	s_cmp_ge_u32 s18, s62
	s_cselect_b32 s18, -1, 0
	s_cmp_eq_u32 s3, 0
	s_cselect_b32 s3, s18, -1
	s_cmp_lg_u32 s3, 0
	s_cselect_b32 s3, s17, s15
	v_readfirstlane_b32 s15, v1
	s_cselect_b32 s14, s16, s14
	s_cmp_ge_u32 s15, s62
	s_cselect_b32 s15, -1, 0
	s_cmp_eq_u32 s2, 0
	s_cselect_b32 s2, s15, -1
	s_cmp_lg_u32 s2, 0
	s_cselect_b32 s3, s3, s13
	s_cselect_b32 s2, s14, s12
	s_xor_b64 s[2:3], s[2:3], s[10:11]
	s_sub_u32 s2, s2, s10
	s_subb_u32 s3, s3, s10
	s_cbranch_execnz .LBB25_5
.LBB25_4:
	v_cvt_f32_u32_e32 v1, s62
	s_sub_i32 s0, 0, s62
	s_mov_b32 s3, 0
	v_rcp_iflag_f32_e32 v1, v1
	v_mul_f32_e32 v1, 0x4f7ffffe, v1
	v_cvt_u32_f32_e32 v1, v1
	v_readfirstlane_b32 s1, v1
	s_mul_i32 s0, s0, s1
	s_mul_hi_u32 s0, s1, s0
	s_add_i32 s1, s1, s0
	s_mul_hi_u32 s0, s9, s1
	s_mul_i32 s2, s0, s62
	s_sub_i32 s2, s9, s2
	s_add_i32 s1, s0, 1
	s_sub_i32 s9, s2, s62
	s_cmp_ge_u32 s2, s62
	s_cselect_b32 s0, s1, s0
	s_cselect_b32 s2, s9, s2
	s_add_i32 s1, s0, 1
	s_cmp_ge_u32 s2, s62
	s_cselect_b32 s2, s1, s0
.LBB25_5:
	v_mov_b32_e32 v14, 0
	v_mov_b32_e32 v1, v14
	;; [unrolled: 1-line block ×3, first 2 shown]
	v_mad_u64_u32 v[16:17], s[0:1], s8, v4, v[0:1]
	s_add_u32 s0, s2, 1
	s_addc_u32 s1, s3, 0
	s_mul_hi_u32 s2, s7, s8
	s_mul_i32 s1, s33, s1
	s_mul_hi_u32 s3, s33, s0
	s_add_i32 s1, s3, s1
	s_mul_i32 s2, s2, s0
	s_add_i32 s1, s1, s2
	s_mul_i32 s0, s33, s0
	s_lshl_b64 s[26:27], s[0:1], 1
	v_cmp_gt_i64_e32 vcc, s[26:27], v[16:17]
	s_and_saveexec_b64 s[0:1], vcc
	s_cbranch_execz .LBB25_58
; %bb.6:
	s_mov_b32 s0, 0x5384540f
	v_mov_b32_e32 v0, v13
	v_add_co_u32_e32 v24, vcc, s0, v12
	s_mov_b32 s0, 0x646e171e
	v_add_co_u32_e32 v25, vcc, s0, v0
	s_mov_b32 s0, 0x1715609d
	;; [unrolled: 2-line block ×6, first 2 shown]
	v_alignbit_b32 v31, v3, v2, 2
	s_mov_b32 s64, 0xd2511f53
	v_add_co_u32_e32 v30, vcc, s0, v12
	v_mad_u64_u32 v[4:5], s[0:1], v31, s64, 0
	v_xor_b32_e32 v1, v5, v13
	v_xor_b32_e32 v1, v1, v17
	s_mov_b32 s65, 0xcd9e8d57
	v_mad_u64_u32 v[6:7], s[0:1], v1, s65, 0
	v_xor_b32_e32 v1, v30, v7
	v_mad_u64_u32 v[8:9], s[0:1], v16, s65, 0
	v_and_b32_e32 v20, 3, v2
	v_xor_b32_e32 v1, v1, v8
	v_xor_b32_e32 v2, v12, v9
	v_lshrrev_b32_e32 v32, 2, v3
	v_mad_u64_u32 v[10:11], s[0:1], v1, s64, 0
	v_xor_b32_e32 v2, v2, v32
	v_xor_b32_e32 v1, v29, v11
	v_mad_u64_u32 v[2:3], s[0:1], v2, s64, 0
	v_xor_b32_e32 v1, v1, v2
	v_mad_u64_u32 v[8:9], s[0:1], v1, s65, 0
	s_mov_b32 s0, 0xbb67ae85
	v_add_co_u32_e32 v33, vcc, s0, v0
	v_xor_b32_e32 v2, v33, v3
	v_xor_b32_e32 v2, v2, v4
	v_xor_b32_e32 v1, v28, v9
	v_mad_u64_u32 v[2:3], s[0:1], v2, s65, 0
	v_xor_b32_e32 v1, v1, v2
	v_mad_u64_u32 v[4:5], s[0:1], v1, s64, 0
	s_mov_b32 s0, 0x3c6ef372
	v_add_co_u32_e32 v34, vcc, s0, v12
	v_xor_b32_e32 v2, v34, v3
	;; [unrolled: 8-line block ×6, first 2 shown]
	v_add_co_u32_e32 v23, vcc, 0xdb3d7428, v0
	v_xor_b32_e32 v2, v2, v6
	v_xor_b32_e32 v1, v23, v5
	v_mad_u64_u32 v[2:3], s[0:1], v2, s64, 0
	v_xor_b32_e32 v1, v1, v2
	v_mad_u64_u32 v[6:7], s[0:1], v1, s65, 0
	s_mov_b32 s0, 0x1fd5c5a3
	v_add_co_u32_e32 v39, vcc, s0, v0
	v_xor_b32_e32 v0, v39, v3
	v_xor_b32_e32 v0, v0, v10
	v_mad_u64_u32 v[0:1], s[0:1], v0, s65, 0
	s_mov_b32 s0, 0xf1bbcdc8
	s_load_dwordx8 s[8:15], s[4:5], 0x30
	v_add_co_u32_e32 v40, vcc, s0, v12
	v_xor_b32_e32 v1, v40, v1
	v_xor_b32_e32 v1, v1, v8
	s_add_u32 s34, s4, 48
	v_mad_u64_u32 v[8:9], s[0:1], v1, s64, 0
	s_addc_u32 s35, s5, 0
	s_waitcnt lgkmcnt(0)
	s_add_i32 s0, s8, -1
	s_cmp_gt_u32 s0, 1
	s_cselect_b64 s[40:41], -1, 0
	s_cmp_lg_u32 s8, 0
	s_cselect_b64 s[42:43], -1, 0
	s_add_u32 s44, s4, 0xf4
	s_addc_u32 s45, s5, 0
	s_min_u32 s1, s0, 15
	s_cmp_gt_u32 s8, 1
	s_cselect_b64 s[46:47], -1, 0
	s_load_dwordx2 s[48:49], s[4:5], 0x148
	s_load_dwordx2 s[50:51], s[4:5], 0xf4
	s_load_dwordx4 s[28:31], s[4:5], 0x138
	s_add_i32 s1, s1, 1
	s_mov_b32 s8, s13
	s_and_b32 s13, s1, 3
	s_cmp_lg_u32 s0, 2
	s_cselect_b64 s[52:53], -1, 0
	s_and_b32 s15, s1, 28
	v_add_u32_e32 v21, 0x8ff34781, v12
	v_add_u32_e32 v22, 0x96a522ad, v13
	v_xor_b32_e32 v0, v7, v0
	v_xor_b32_e32 v1, v9, v4
	s_cmp_lg_u32 s13, 0
	s_mov_b32 s63, 0
	v_xor_b32_e32 v0, v21, v0
	v_xor_b32_e32 v2, v22, v1
	v_mov_b32_e32 v1, v6
	v_mov_b32_e32 v3, v8
	s_mov_b64 s[54:55], 0
	s_cselect_b64 s[56:57], -1, 0
	v_mov_b32_e32 v41, v16
	v_mov_b32_e32 v42, v17
	s_branch .LBB25_9
.LBB25_7:                               ;   in Loop: Header=BB25_9 Depth=1
	s_or_b64 exec, exec, s[0:1]
	v_mov_b32_e32 v1, s49
	v_add_co_u32_e32 v0, vcc, s48, v10
	v_addc_co_u32_e32 v1, vcc, v11, v1, vcc
	v_xor_b32_e32 v2, v0, v1
	v_ashrrev_i32_e32 v2, 31, v2
	v_ffbh_i32_e32 v3, v1
	v_add_u32_e32 v2, 32, v2
	v_add_u32_e32 v3, -1, v3
	v_min_u32_e32 v2, v3, v2
	v_lshlrev_b64 v[0:1], v2, v[0:1]
	v_min_u32_e32 v0, 1, v0
	v_or_b32_e32 v0, v1, v0
	v_cvt_f32_i32_e32 v0, v0
	v_sub_u32_e32 v1, 32, v2
	v_ldexp_f32 v0, v0, v1
	global_store_dword v8, v0, s[28:29]
.LBB25_8:                               ;   in Loop: Header=BB25_9 Depth=1
	s_or_b64 exec, exec, s[36:37]
	v_add_co_u32_e32 v16, vcc, s62, v16
	v_addc_co_u32_e32 v17, vcc, 0, v17, vcc
	v_mov_b32_e32 v7, v18
	v_cmp_le_i64_e32 vcc, s[26:27], v[16:17]
	v_pk_mov_b32 v[0:1], v[4:5], v[4:5] op_sel:[0,1]
	s_or_b64 s[54:55], vcc, s[54:55]
	v_pk_mov_b32 v[2:3], v[6:7], v[6:7] op_sel:[0,1]
	s_waitcnt lgkmcnt(0)
	s_barrier
	s_andn2_b64 exec, exec, s[54:55]
	s_cbranch_execz .LBB25_58
.LBB25_9:                               ; =>This Loop Header: Depth=1
                                        ;     Child Loop BB25_24 Depth 2
                                        ;     Child Loop BB25_30 Depth 2
	;; [unrolled: 1-line block ×4, first 2 shown]
	v_add_co_u32_e32 v31, vcc, 1, v31
	v_cndmask_b32_e64 v4, 0, 1, vcc
	v_addc_co_u32_e32 v32, vcc, 0, v32, vcc
	v_cmp_eq_u32_e32 vcc, 0, v32
	v_cndmask_b32_e32 v4, 0, v4, vcc
	v_add_u32_e32 v41, v4, v41
	v_cmp_eq_u32_e32 vcc, 0, v41
	v_cndmask_b32_e32 v4, 0, v4, vcc
	v_add_u32_e32 v42, v4, v42
	v_mad_u64_u32 v[4:5], s[0:1], v31, s64, 0
	v_mad_u64_u32 v[6:7], s[0:1], v41, s65, 0
	v_xor_b32_e32 v5, v5, v13
	v_xor_b32_e32 v7, v7, v12
	v_xor_b32_e32 v5, v42, v5
	v_xor_b32_e32 v7, v32, v7
	v_mad_u64_u32 v[10:11], s[0:1], v5, s65, 0
	v_mad_u64_u32 v[8:9], s[0:1], v7, s64, 0
	v_xor_b32_e32 v5, v30, v11
	v_xor_b32_e32 v5, v5, v6
	v_xor_b32_e32 v6, v33, v9
	v_xor_b32_e32 v6, v6, v4
	;; [unrolled: 6-line block ×10, first 2 shown]
	v_mov_b32_e32 v5, v10
	v_mov_b32_e32 v6, v11
	v_cmp_lt_i32_e32 vcc, 1, v20
	s_and_saveexec_b64 s[0:1], vcc
	s_xor_b64 s[0:1], exec, s[0:1]
	s_cbranch_execz .LBB25_15
; %bb.10:                               ;   in Loop: Header=BB25_9 Depth=1
	v_cmp_lt_i32_e32 vcc, 2, v20
	s_and_saveexec_b64 s[2:3], vcc
	s_xor_b64 s[2:3], exec, s[2:3]
; %bb.11:                               ;   in Loop: Header=BB25_9 Depth=1
	v_mov_b32_e32 v8, v3
	v_mov_b32_e32 v9, v4
	v_pk_mov_b32 v[0:1], v[8:9], v[8:9] op_sel:[0,1]
	v_pk_mov_b32 v[2:3], v[10:11], v[10:11] op_sel:[0,1]
                                        ; implicit-def: $vgpr10_vgpr11
; %bb.12:                               ;   in Loop: Header=BB25_9 Depth=1
	s_andn2_saveexec_b64 s[2:3], s[2:3]
; %bb.13:                               ;   in Loop: Header=BB25_9 Depth=1
	v_mov_b32_e32 v0, v2
	v_mov_b32_e32 v1, v3
	;; [unrolled: 1-line block ×4, first 2 shown]
; %bb.14:                               ;   in Loop: Header=BB25_9 Depth=1
	s_or_b64 exec, exec, s[2:3]
.LBB25_15:                              ;   in Loop: Header=BB25_9 Depth=1
	s_andn2_saveexec_b64 s[0:1], s[0:1]
	s_cbranch_execz .LBB25_19
; %bb.16:                               ;   in Loop: Header=BB25_9 Depth=1
	v_cmp_eq_u32_e32 vcc, 1, v20
	s_and_saveexec_b64 s[2:3], vcc
; %bb.17:                               ;   in Loop: Header=BB25_9 Depth=1
	v_mov_b32_e32 v0, v1
	v_mov_b32_e32 v1, v2
	;; [unrolled: 1-line block ×4, first 2 shown]
; %bb.18:                               ;   in Loop: Header=BB25_9 Depth=1
	s_or_b64 exec, exec, s[2:3]
.LBB25_19:                              ;   in Loop: Header=BB25_9 Depth=1
	s_or_b64 exec, exec, s[0:1]
	v_cndmask_b32_e64 v7, 0, 1, s[40:41]
	v_cmp_gt_i64_e32 vcc, s[24:25], v[16:17]
	v_cmp_ne_u32_e64 s[0:1], 1, v7
	s_and_saveexec_b64 s[58:59], vcc
	s_cbranch_execz .LBB25_39
; %bb.20:                               ;   in Loop: Header=BB25_9 Depth=1
	s_and_b64 vcc, exec, s[0:1]
	s_cbranch_vccnz .LBB25_26
; %bb.21:                               ;   in Loop: Header=BB25_9 Depth=1
	s_andn2_b64 vcc, exec, s[42:43]
	s_cbranch_vccnz .LBB25_27
; %bb.22:                               ;   in Loop: Header=BB25_9 Depth=1
	s_mov_b32 s4, 0
	s_andn2_b64 vcc, exec, s[52:53]
	v_mov_b32_e32 v8, 0
	s_cbranch_vccnz .LBB25_28
; %bb.23:                               ;   in Loop: Header=BB25_9 Depth=1
	s_mov_b32 s66, 0
	v_mov_b32_e32 v8, 0
	s_mov_b64 s[2:3], s[34:35]
	s_mov_b64 s[60:61], s[44:45]
	v_mov_b32_e32 v7, v16
.LBB25_24:                              ;   Parent Loop BB25_9 Depth=1
                                        ; =>  This Inner Loop Header: Depth=2
	s_load_dwordx8 s[16:23], s[2:3], 0x4
	s_load_dwordx4 s[4:7], s[2:3], 0x24
	s_load_dwordx4 s[36:39], s[60:61], 0x0
	s_add_u32 s2, s2, 48
	s_addc_u32 s3, s3, 0
	s_waitcnt lgkmcnt(0)
	v_mul_hi_u32 v9, s17, v7
	v_add_u32_e32 v9, v7, v9
	v_lshrrev_b32_e32 v9, s18, v9
	v_mul_lo_u32 v10, v9, s16
	v_mul_hi_u32 v11, s20, v9
	v_sub_u32_e32 v7, v7, v10
	v_add_u32_e32 v10, v9, v11
	v_lshrrev_b32_e32 v10, s21, v10
	v_mul_lo_u32 v11, v10, s19
	v_mul_hi_u32 v15, s23, v10
	v_sub_u32_e32 v9, v9, v11
	v_add_u32_e32 v11, v10, v15
	v_mul_lo_u32 v7, v7, s36
	v_mul_lo_u32 v9, v9, s37
	v_lshrrev_b32_e32 v11, s4, v11
	v_add3_u32 v8, v7, v8, v9
	v_mul_lo_u32 v7, v11, s22
	v_mul_hi_u32 v9, s6, v11
	v_sub_u32_e32 v7, v10, v7
	v_add_u32_e32 v9, v11, v9
	v_mul_lo_u32 v10, v7, s38
	v_lshrrev_b32_e32 v7, s7, v9
	s_add_i32 s66, s66, 4
	v_mul_lo_u32 v9, v7, s5
	s_add_u32 s60, s60, 16
	v_sub_u32_e32 v9, v11, v9
	s_addc_u32 s61, s61, 0
	v_mul_lo_u32 v9, v9, s39
	s_cmp_lg_u32 s15, s66
	v_add3_u32 v8, v10, v8, v9
	s_cbranch_scc1 .LBB25_24
; %bb.25:                               ;   in Loop: Header=BB25_9 Depth=1
	s_mov_b32 s4, s15
	s_andn2_b64 vcc, exec, s[56:57]
	s_cbranch_vccz .LBB25_29
	s_branch .LBB25_31
.LBB25_26:                              ;   in Loop: Header=BB25_9 Depth=1
                                        ; implicit-def: $vgpr8
	s_branch .LBB25_32
.LBB25_27:                              ;   in Loop: Header=BB25_9 Depth=1
	v_mov_b32_e32 v8, 0
	s_branch .LBB25_31
.LBB25_28:                              ;   in Loop: Header=BB25_9 Depth=1
	v_mov_b32_e32 v7, v16
	s_andn2_b64 vcc, exec, s[56:57]
	s_cbranch_vccnz .LBB25_31
.LBB25_29:                              ;   in Loop: Header=BB25_9 Depth=1
	s_lshl_b32 s2, s4, 2
	s_add_u32 s2, s44, s2
	s_addc_u32 s3, s45, 0
	s_mul_i32 s4, s4, 12
	s_add_u32 s4, s34, s4
	s_addc_u32 s5, s35, 0
	s_mov_b32 s6, s13
.LBB25_30:                              ;   Parent Loop BB25_9 Depth=1
                                        ; =>  This Inner Loop Header: Depth=2
	s_load_dwordx2 s[16:17], s[4:5], 0x4
	s_load_dword s7, s[4:5], 0xc
	s_load_dword s18, s[2:3], 0x0
	s_add_u32 s4, s4, 12
	s_addc_u32 s5, s5, 0
	s_waitcnt lgkmcnt(0)
	v_mul_hi_u32 v9, s17, v7
	v_add_u32_e32 v9, v7, v9
	v_lshrrev_b32_e32 v9, s7, v9
	s_add_u32 s2, s2, 4
	v_mul_lo_u32 v10, v9, s16
	s_addc_u32 s3, s3, 0
	s_add_i32 s6, s6, -1
	v_sub_u32_e32 v10, v7, v10
	s_cmp_lg_u32 s6, 0
	v_mov_b32_e32 v7, v9
	v_mad_u64_u32 v[8:9], s[16:17], v10, s18, v[8:9]
	s_cbranch_scc1 .LBB25_30
.LBB25_31:                              ;   in Loop: Header=BB25_9 Depth=1
	s_cbranch_execnz .LBB25_34
.LBB25_32:                              ;   in Loop: Header=BB25_9 Depth=1
	v_mul_hi_u32 v7, v16, s10
	v_add_u32_e32 v7, v7, v16
	v_lshrrev_b32_e32 v7, s11, v7
	v_mul_lo_u32 v8, v7, s9
	v_sub_u32_e32 v8, v16, v8
	s_andn2_b64 vcc, exec, s[46:47]
	s_waitcnt lgkmcnt(0)
	v_mul_lo_u32 v8, v8, s50
	s_cbranch_vccnz .LBB25_34
; %bb.33:                               ;   in Loop: Header=BB25_9 Depth=1
	v_mul_hi_u32 v9, s8, v7
	v_add_u32_e32 v9, v7, v9
	v_lshrrev_b32_e32 v9, s14, v9
	v_mul_lo_u32 v9, v9, s12
	v_sub_u32_e32 v7, v7, v9
	v_mad_u64_u32 v[8:9], s[2:3], v7, s51, v[8:9]
.LBB25_34:                              ;   in Loop: Header=BB25_9 Depth=1
	s_waitcnt lgkmcnt(0)
	v_or_b32_e32 v15, s31, v0
	v_cmp_ne_u64_e32 vcc, 0, v[14:15]
                                        ; implicit-def: $vgpr10_vgpr11
	s_and_saveexec_b64 s[2:3], vcc
	s_xor_b64 s[6:7], exec, s[2:3]
	s_cbranch_execz .LBB25_36
; %bb.35:                               ;   in Loop: Header=BB25_9 Depth=1
	v_cvt_f32_u32_e32 v7, s30
	v_cvt_f32_u32_e32 v9, s31
	s_sub_u32 s2, 0, s30
	s_subb_u32 s3, 0, s31
	v_mac_f32_e32 v7, 0x4f800000, v9
	v_rcp_f32_e32 v7, v7
	v_mul_f32_e32 v7, 0x5f7ffffc, v7
	v_mul_f32_e32 v9, 0x2f800000, v7
	v_trunc_f32_e32 v9, v9
	v_mac_f32_e32 v7, 0xcf800000, v9
	v_cvt_u32_f32_e32 v9, v9
	v_cvt_u32_f32_e32 v7, v7
	v_mul_lo_u32 v10, s2, v9
	v_mul_hi_u32 v15, s2, v7
	v_mul_lo_u32 v11, s3, v7
	v_add_u32_e32 v10, v15, v10
	v_mul_lo_u32 v19, s2, v7
	v_add_u32_e32 v10, v10, v11
	v_mul_hi_u32 v15, v7, v19
	v_mul_lo_u32 v43, v7, v10
	v_mul_hi_u32 v11, v7, v10
	v_add_co_u32_e32 v15, vcc, v15, v43
	v_addc_co_u32_e32 v11, vcc, 0, v11, vcc
	v_mul_hi_u32 v44, v9, v19
	v_mul_lo_u32 v19, v9, v19
	v_add_co_u32_e32 v15, vcc, v15, v19
	v_mul_hi_u32 v43, v9, v10
	v_addc_co_u32_e32 v11, vcc, v11, v44, vcc
	v_addc_co_u32_e32 v15, vcc, 0, v43, vcc
	v_mul_lo_u32 v10, v9, v10
	v_add_co_u32_e32 v10, vcc, v11, v10
	v_addc_co_u32_e32 v11, vcc, 0, v15, vcc
	v_add_co_u32_e32 v7, vcc, v7, v10
	v_addc_co_u32_e32 v9, vcc, v9, v11, vcc
	v_mul_lo_u32 v10, s2, v9
	v_mul_hi_u32 v11, s2, v7
	v_add_u32_e32 v10, v11, v10
	v_mul_lo_u32 v11, s3, v7
	v_add_u32_e32 v10, v10, v11
	v_mul_lo_u32 v15, s2, v7
	v_mul_hi_u32 v19, v9, v15
	v_mul_lo_u32 v43, v9, v15
	v_mul_lo_u32 v45, v7, v10
	v_mul_hi_u32 v15, v7, v15
	v_mul_hi_u32 v44, v7, v10
	v_add_co_u32_e32 v15, vcc, v15, v45
	v_addc_co_u32_e32 v44, vcc, 0, v44, vcc
	v_add_co_u32_e32 v15, vcc, v15, v43
	v_mul_hi_u32 v11, v9, v10
	v_addc_co_u32_e32 v15, vcc, v44, v19, vcc
	v_addc_co_u32_e32 v11, vcc, 0, v11, vcc
	v_mul_lo_u32 v10, v9, v10
	v_add_co_u32_e32 v10, vcc, v15, v10
	v_addc_co_u32_e32 v11, vcc, 0, v11, vcc
	v_add_co_u32_e32 v7, vcc, v7, v10
	v_addc_co_u32_e32 v9, vcc, v9, v11, vcc
	v_mad_u64_u32 v[10:11], s[2:3], v1, v9, 0
	v_mul_hi_u32 v15, v1, v7
	v_add_co_u32_e32 v15, vcc, v15, v10
	v_addc_co_u32_e32 v19, vcc, 0, v11, vcc
	v_mad_u64_u32 v[44:45], s[2:3], v0, v7, 0
	v_add_co_u32_e32 v7, vcc, v15, v44
	v_mad_u64_u32 v[10:11], s[2:3], v0, v9, 0
	v_addc_co_u32_e32 v7, vcc, v19, v45, vcc
	v_addc_co_u32_e32 v9, vcc, 0, v11, vcc
	v_add_co_u32_e32 v7, vcc, v7, v10
	v_addc_co_u32_e32 v9, vcc, 0, v9, vcc
	v_mul_lo_u32 v15, s31, v7
	v_mul_lo_u32 v9, s30, v9
	v_mad_u64_u32 v[10:11], s[2:3], s30, v7, 0
	v_add3_u32 v7, v11, v9, v15
	v_sub_u32_e32 v9, v0, v7
	v_mov_b32_e32 v11, s31
	v_sub_co_u32_e32 v10, vcc, v1, v10
	v_subb_co_u32_e64 v9, s[2:3], v9, v11, vcc
	v_subrev_co_u32_e64 v15, s[2:3], s30, v10
	v_subbrev_co_u32_e64 v19, s[4:5], 0, v9, s[2:3]
	v_cmp_le_u32_e64 s[4:5], s31, v19
	v_cndmask_b32_e64 v43, 0, -1, s[4:5]
	v_cmp_le_u32_e64 s[4:5], s30, v15
	v_subb_co_u32_e32 v0, vcc, v0, v7, vcc
	v_cndmask_b32_e64 v44, 0, -1, s[4:5]
	v_cmp_eq_u32_e64 s[4:5], s31, v19
	v_subb_co_u32_e64 v9, s[2:3], v9, v11, s[2:3]
	v_cmp_le_u32_e32 vcc, s31, v0
	v_cndmask_b32_e64 v43, v43, v44, s[4:5]
	v_subrev_co_u32_e64 v44, s[2:3], s30, v15
	v_cndmask_b32_e64 v7, 0, -1, vcc
	v_cmp_le_u32_e32 vcc, s30, v10
	v_subbrev_co_u32_e64 v9, s[2:3], 0, v9, s[2:3]
	v_cndmask_b32_e64 v11, 0, -1, vcc
	v_cmp_eq_u32_e32 vcc, s31, v0
	v_cmp_ne_u32_e64 s[2:3], 0, v43
	v_cndmask_b32_e32 v7, v7, v11, vcc
	v_cndmask_b32_e64 v9, v19, v9, s[2:3]
	v_cmp_ne_u32_e32 vcc, 0, v7
	v_cndmask_b32_e32 v11, v0, v9, vcc
	v_cndmask_b32_e64 v0, v15, v44, s[2:3]
	v_cndmask_b32_e32 v10, v10, v0, vcc
.LBB25_36:                              ;   in Loop: Header=BB25_9 Depth=1
	s_andn2_saveexec_b64 s[2:3], s[6:7]
	s_cbranch_execz .LBB25_38
; %bb.37:                               ;   in Loop: Header=BB25_9 Depth=1
	v_cvt_f32_u32_e32 v0, s30
	s_sub_i32 s4, 0, s30
	v_mov_b32_e32 v11, v14
	v_rcp_iflag_f32_e32 v0, v0
	v_mul_f32_e32 v0, 0x4f7ffffe, v0
	v_cvt_u32_f32_e32 v0, v0
	v_mul_lo_u32 v7, s4, v0
	v_mul_hi_u32 v7, v0, v7
	v_add_u32_e32 v0, v0, v7
	v_mul_hi_u32 v0, v1, v0
	v_mul_lo_u32 v0, v0, s30
	v_sub_u32_e32 v0, v1, v0
	v_subrev_u32_e32 v1, s30, v0
	v_cmp_le_u32_e32 vcc, s30, v0
	v_cndmask_b32_e32 v0, v0, v1, vcc
	v_subrev_u32_e32 v1, s30, v0
	v_cmp_le_u32_e32 vcc, s30, v0
	v_cndmask_b32_e32 v10, v0, v1, vcc
.LBB25_38:                              ;   in Loop: Header=BB25_9 Depth=1
	s_or_b64 exec, exec, s[2:3]
	v_mov_b32_e32 v1, s49
	v_add_co_u32_e32 v0, vcc, s48, v10
	v_addc_co_u32_e32 v1, vcc, v11, v1, vcc
	v_xor_b32_e32 v7, v0, v1
	v_ashrrev_i32_e32 v7, 31, v7
	v_ffbh_i32_e32 v9, v1
	v_add_u32_e32 v7, 32, v7
	v_add_u32_e32 v9, -1, v9
	v_min_u32_e32 v7, v9, v7
	v_lshlrev_b64 v[0:1], v7, v[0:1]
	v_min_u32_e32 v0, 1, v0
	v_or_b32_e32 v0, v1, v0
	v_cvt_f32_i32_e32 v0, v0
	v_sub_u32_e32 v1, 32, v7
	v_ldexp_f32 v0, v0, v1
	global_store_dword v8, v0, s[28:29]
.LBB25_39:                              ;   in Loop: Header=BB25_9 Depth=1
	s_or_b64 exec, exec, s[58:59]
	v_mov_b32_e32 v1, s63
	v_add_co_u32_e32 v0, vcc, s33, v16
	v_addc_co_u32_e32 v1, vcc, v17, v1, vcc
	v_cmp_gt_i64_e32 vcc, s[24:25], v[0:1]
	s_and_saveexec_b64 s[36:37], vcc
	s_cbranch_execz .LBB25_8
; %bb.40:                               ;   in Loop: Header=BB25_9 Depth=1
	s_and_b64 vcc, exec, s[0:1]
	s_cbranch_vccnz .LBB25_46
; %bb.41:                               ;   in Loop: Header=BB25_9 Depth=1
	s_andn2_b64 vcc, exec, s[42:43]
	s_cbranch_vccnz .LBB25_47
; %bb.42:                               ;   in Loop: Header=BB25_9 Depth=1
	s_mov_b32 s2, 0
	s_andn2_b64 vcc, exec, s[52:53]
	v_mov_b32_e32 v8, 0
	s_cbranch_vccnz .LBB25_48
; %bb.43:                               ;   in Loop: Header=BB25_9 Depth=1
	s_mov_b32 s60, 0
	v_mov_b32_e32 v8, 0
	s_mov_b64 s[38:39], s[34:35]
	s_mov_b64 s[58:59], s[44:45]
	v_mov_b32_e32 v1, v0
.LBB25_44:                              ;   Parent Loop BB25_9 Depth=1
                                        ; =>  This Inner Loop Header: Depth=2
	s_load_dwordx8 s[0:7], s[38:39], 0x4
	s_load_dwordx4 s[16:19], s[38:39], 0x24
	s_load_dwordx4 s[20:23], s[58:59], 0x0
	s_add_u32 s38, s38, 48
	s_addc_u32 s39, s39, 0
	s_waitcnt lgkmcnt(0)
	v_mul_hi_u32 v7, s1, v1
	v_add_u32_e32 v7, v1, v7
	v_lshrrev_b32_e32 v7, s2, v7
	v_mul_lo_u32 v9, v7, s0
	v_mul_hi_u32 v10, s4, v7
	v_sub_u32_e32 v1, v1, v9
	v_add_u32_e32 v9, v7, v10
	v_lshrrev_b32_e32 v9, s5, v9
	v_mul_lo_u32 v10, v9, s3
	v_mul_hi_u32 v11, s7, v9
	v_sub_u32_e32 v7, v7, v10
	v_add_u32_e32 v10, v9, v11
	v_mul_lo_u32 v1, v1, s20
	v_mul_lo_u32 v7, v7, s21
	v_lshrrev_b32_e32 v10, s16, v10
	v_add3_u32 v7, v1, v8, v7
	v_mul_lo_u32 v1, v10, s6
	v_mul_hi_u32 v8, s18, v10
	v_sub_u32_e32 v1, v9, v1
	v_add_u32_e32 v8, v10, v8
	v_mul_lo_u32 v9, v1, s22
	v_lshrrev_b32_e32 v1, s19, v8
	s_add_i32 s60, s60, 4
	v_mul_lo_u32 v8, v1, s17
	s_add_u32 s58, s58, 16
	v_sub_u32_e32 v8, v10, v8
	s_addc_u32 s59, s59, 0
	v_mul_lo_u32 v8, v8, s23
	s_cmp_eq_u32 s15, s60
	v_add3_u32 v8, v9, v7, v8
	s_cbranch_scc0 .LBB25_44
; %bb.45:                               ;   in Loop: Header=BB25_9 Depth=1
	s_mov_b32 s2, s15
	s_andn2_b64 vcc, exec, s[56:57]
	s_cbranch_vccz .LBB25_49
	s_branch .LBB25_51
.LBB25_46:                              ;   in Loop: Header=BB25_9 Depth=1
                                        ; implicit-def: $vgpr8
	s_branch .LBB25_52
.LBB25_47:                              ;   in Loop: Header=BB25_9 Depth=1
	v_mov_b32_e32 v8, 0
	s_branch .LBB25_51
.LBB25_48:                              ;   in Loop: Header=BB25_9 Depth=1
	v_mov_b32_e32 v1, v0
	s_andn2_b64 vcc, exec, s[56:57]
	s_cbranch_vccnz .LBB25_51
.LBB25_49:                              ;   in Loop: Header=BB25_9 Depth=1
	s_lshl_b32 s0, s2, 2
	s_add_u32 s0, s44, s0
	s_addc_u32 s1, s45, 0
	s_mul_i32 s2, s2, 12
	s_add_u32 s2, s34, s2
	s_addc_u32 s3, s35, 0
	s_mov_b32 s4, s13
.LBB25_50:                              ;   Parent Loop BB25_9 Depth=1
                                        ; =>  This Inner Loop Header: Depth=2
	s_load_dwordx2 s[6:7], s[2:3], 0x4
	s_load_dword s5, s[2:3], 0xc
	s_load_dword s16, s[0:1], 0x0
	s_add_u32 s2, s2, 12
	s_addc_u32 s3, s3, 0
	s_waitcnt lgkmcnt(0)
	v_mul_hi_u32 v7, s7, v1
	v_add_u32_e32 v7, v1, v7
	v_lshrrev_b32_e32 v7, s5, v7
	s_add_u32 s0, s0, 4
	v_mul_lo_u32 v9, v7, s6
	s_addc_u32 s1, s1, 0
	s_add_i32 s4, s4, -1
	v_sub_u32_e32 v9, v1, v9
	s_cmp_lg_u32 s4, 0
	v_mov_b32_e32 v1, v7
	v_mad_u64_u32 v[8:9], s[6:7], v9, s16, v[8:9]
	s_cbranch_scc1 .LBB25_50
.LBB25_51:                              ;   in Loop: Header=BB25_9 Depth=1
	s_cbranch_execnz .LBB25_54
.LBB25_52:                              ;   in Loop: Header=BB25_9 Depth=1
	v_mul_hi_u32 v1, v0, s10
	v_add_u32_e32 v1, v1, v0
	v_lshrrev_b32_e32 v1, s11, v1
	v_mul_lo_u32 v7, v1, s9
	v_sub_u32_e32 v0, v0, v7
	s_andn2_b64 vcc, exec, s[46:47]
	s_waitcnt lgkmcnt(0)
	v_mul_lo_u32 v8, v0, s50
	s_cbranch_vccnz .LBB25_54
; %bb.53:                               ;   in Loop: Header=BB25_9 Depth=1
	v_mul_hi_u32 v0, s8, v1
	v_add_u32_e32 v0, v1, v0
	v_lshrrev_b32_e32 v0, s14, v0
	v_mul_lo_u32 v0, v0, s12
	v_sub_u32_e32 v0, v1, v0
	v_mad_u64_u32 v[8:9], s[0:1], v0, s51, v[8:9]
.LBB25_54:                              ;   in Loop: Header=BB25_9 Depth=1
	s_waitcnt lgkmcnt(0)
	v_or_b32_e32 v15, s31, v2
	v_cmp_ne_u64_e32 vcc, 0, v[14:15]
                                        ; implicit-def: $vgpr10_vgpr11
	s_and_saveexec_b64 s[0:1], vcc
	s_xor_b64 s[4:5], exec, s[0:1]
	s_cbranch_execz .LBB25_56
; %bb.55:                               ;   in Loop: Header=BB25_9 Depth=1
	v_cvt_f32_u32_e32 v0, s30
	v_cvt_f32_u32_e32 v1, s31
	s_sub_u32 s0, 0, s30
	s_subb_u32 s1, 0, s31
	v_mac_f32_e32 v0, 0x4f800000, v1
	v_rcp_f32_e32 v0, v0
	v_mul_f32_e32 v0, 0x5f7ffffc, v0
	v_mul_f32_e32 v1, 0x2f800000, v0
	v_trunc_f32_e32 v1, v1
	v_mac_f32_e32 v0, 0xcf800000, v1
	v_cvt_u32_f32_e32 v1, v1
	v_cvt_u32_f32_e32 v0, v0
	v_mul_lo_u32 v7, s0, v1
	v_mul_hi_u32 v10, s0, v0
	v_mul_lo_u32 v9, s1, v0
	v_add_u32_e32 v7, v10, v7
	v_mul_lo_u32 v11, s0, v0
	v_add_u32_e32 v7, v7, v9
	v_mul_hi_u32 v10, v0, v11
	v_mul_lo_u32 v15, v0, v7
	v_mul_hi_u32 v9, v0, v7
	v_add_co_u32_e32 v10, vcc, v10, v15
	v_addc_co_u32_e32 v9, vcc, 0, v9, vcc
	v_mul_hi_u32 v19, v1, v11
	v_mul_lo_u32 v11, v1, v11
	v_add_co_u32_e32 v10, vcc, v10, v11
	v_mul_hi_u32 v15, v1, v7
	v_addc_co_u32_e32 v9, vcc, v9, v19, vcc
	v_addc_co_u32_e32 v10, vcc, 0, v15, vcc
	v_mul_lo_u32 v7, v1, v7
	v_add_co_u32_e32 v7, vcc, v9, v7
	v_addc_co_u32_e32 v9, vcc, 0, v10, vcc
	v_add_co_u32_e32 v0, vcc, v0, v7
	v_addc_co_u32_e32 v1, vcc, v1, v9, vcc
	v_mul_lo_u32 v7, s0, v1
	v_mul_hi_u32 v9, s0, v0
	v_add_u32_e32 v7, v9, v7
	v_mul_lo_u32 v9, s1, v0
	v_add_u32_e32 v7, v7, v9
	v_mul_lo_u32 v10, s0, v0
	v_mul_hi_u32 v11, v1, v10
	v_mul_lo_u32 v15, v1, v10
	v_mul_lo_u32 v43, v0, v7
	v_mul_hi_u32 v10, v0, v10
	v_mul_hi_u32 v19, v0, v7
	v_add_co_u32_e32 v10, vcc, v10, v43
	v_addc_co_u32_e32 v19, vcc, 0, v19, vcc
	v_add_co_u32_e32 v10, vcc, v10, v15
	v_mul_hi_u32 v9, v1, v7
	v_addc_co_u32_e32 v10, vcc, v19, v11, vcc
	v_addc_co_u32_e32 v9, vcc, 0, v9, vcc
	v_mul_lo_u32 v7, v1, v7
	v_add_co_u32_e32 v7, vcc, v10, v7
	v_addc_co_u32_e32 v9, vcc, 0, v9, vcc
	v_add_co_u32_e32 v7, vcc, v0, v7
	v_addc_co_u32_e32 v9, vcc, v1, v9, vcc
	v_mad_u64_u32 v[0:1], s[0:1], v3, v9, 0
	v_mul_hi_u32 v10, v3, v7
	v_add_co_u32_e32 v15, vcc, v10, v0
	v_addc_co_u32_e32 v19, vcc, 0, v1, vcc
	v_mad_u64_u32 v[10:11], s[0:1], v2, v7, 0
	v_add_co_u32_e32 v7, vcc, v15, v10
	v_mad_u64_u32 v[0:1], s[0:1], v2, v9, 0
	v_addc_co_u32_e32 v7, vcc, v19, v11, vcc
	v_addc_co_u32_e32 v1, vcc, 0, v1, vcc
	v_add_co_u32_e32 v0, vcc, v7, v0
	v_addc_co_u32_e32 v1, vcc, 0, v1, vcc
	v_mul_lo_u32 v7, s31, v0
	v_mul_lo_u32 v9, s30, v1
	v_mad_u64_u32 v[0:1], s[0:1], s30, v0, 0
	v_add3_u32 v1, v1, v9, v7
	v_sub_u32_e32 v7, v2, v1
	v_mov_b32_e32 v9, s31
	v_sub_co_u32_e32 v0, vcc, v3, v0
	v_subb_co_u32_e64 v3, s[0:1], v7, v9, vcc
	v_subrev_co_u32_e64 v7, s[0:1], s30, v0
	v_subbrev_co_u32_e64 v10, s[2:3], 0, v3, s[0:1]
	v_cmp_le_u32_e64 s[2:3], s31, v10
	v_cndmask_b32_e64 v11, 0, -1, s[2:3]
	v_cmp_le_u32_e64 s[2:3], s30, v7
	v_subb_co_u32_e64 v3, s[0:1], v3, v9, s[0:1]
	v_cndmask_b32_e64 v15, 0, -1, s[2:3]
	v_cmp_eq_u32_e64 s[2:3], s31, v10
	v_subrev_co_u32_e64 v9, s[0:1], s30, v7
	v_subb_co_u32_e32 v1, vcc, v2, v1, vcc
	v_cndmask_b32_e64 v11, v11, v15, s[2:3]
	v_subbrev_co_u32_e64 v3, s[0:1], 0, v3, s[0:1]
	v_cmp_le_u32_e32 vcc, s31, v1
	v_cmp_ne_u32_e64 s[0:1], 0, v11
	v_cndmask_b32_e64 v2, 0, -1, vcc
	v_cmp_le_u32_e32 vcc, s30, v0
	v_cndmask_b32_e64 v3, v10, v3, s[0:1]
	v_cndmask_b32_e64 v10, 0, -1, vcc
	v_cmp_eq_u32_e32 vcc, s31, v1
	v_cndmask_b32_e32 v2, v2, v10, vcc
	v_cmp_ne_u32_e32 vcc, 0, v2
	v_cndmask_b32_e32 v11, v1, v3, vcc
	v_cndmask_b32_e64 v1, v7, v9, s[0:1]
	v_cndmask_b32_e32 v10, v0, v1, vcc
                                        ; implicit-def: $vgpr0_vgpr1_vgpr2_vgpr3
.LBB25_56:                              ;   in Loop: Header=BB25_9 Depth=1
	s_andn2_saveexec_b64 s[0:1], s[4:5]
	s_cbranch_execz .LBB25_7
; %bb.57:                               ;   in Loop: Header=BB25_9 Depth=1
	v_cvt_f32_u32_e32 v0, s30
	s_sub_i32 s2, 0, s30
	v_mov_b32_e32 v11, v14
	v_rcp_iflag_f32_e32 v0, v0
	v_mul_f32_e32 v0, 0x4f7ffffe, v0
	v_cvt_u32_f32_e32 v0, v0
	v_mul_lo_u32 v1, s2, v0
	v_mul_hi_u32 v1, v0, v1
	v_add_u32_e32 v0, v0, v1
	v_mul_hi_u32 v0, v3, v0
	v_mul_lo_u32 v0, v0, s30
	v_sub_u32_e32 v0, v3, v0
	v_subrev_u32_e32 v1, s30, v0
	v_cmp_le_u32_e32 vcc, s30, v0
	v_cndmask_b32_e32 v0, v0, v1, vcc
	v_subrev_u32_e32 v1, s30, v0
	v_cmp_le_u32_e32 vcc, s30, v0
	v_cndmask_b32_e32 v10, v0, v1, vcc
	s_branch .LBB25_7
.LBB25_58:
	s_endpgm
.LBB25_59:
                                        ; implicit-def: $sgpr2_sgpr3
	s_andn2_b64 vcc, exec, s[0:1]
	s_cbranch_vccz .LBB25_4
	s_branch .LBB25_5
	.section	.rodata,"a",@progbits
	.p2align	6, 0x0
	.amdhsa_kernel _ZN2at6native12_GLOBAL__N_143distribution_elementwise_grid_stride_kernelImLi2EZZZNS0_9templates4cuda21random_from_to_kernelIPNS_17CUDAGeneratorImplEEEvRNS_18TensorIteratorBaseEmlT_ENKUlvE_clEvENKUlvE5_clEvEUlP25hiprandStatePhilox4_32_10E_ZNS1_27distribution_nullary_kernelIfm15HIP_vector_typeIyLj2EES7_SF_ZZZNS5_IS7_EEvS9_mlSA_ENKSB_clEvENKSC_clEvEUlmE_EEvS9_T2_RKT3_T4_EUlimE0_EEvlNS_15PhiloxCudaStateET1_SK_
		.amdhsa_group_segment_fixed_size 0
		.amdhsa_private_segment_fixed_size 0
		.amdhsa_kernarg_size 592
		.amdhsa_user_sgpr_count 6
		.amdhsa_user_sgpr_private_segment_buffer 1
		.amdhsa_user_sgpr_dispatch_ptr 0
		.amdhsa_user_sgpr_queue_ptr 0
		.amdhsa_user_sgpr_kernarg_segment_ptr 1
		.amdhsa_user_sgpr_dispatch_id 0
		.amdhsa_user_sgpr_flat_scratch_init 0
		.amdhsa_user_sgpr_kernarg_preload_length 0
		.amdhsa_user_sgpr_kernarg_preload_offset 0
		.amdhsa_user_sgpr_private_segment_size 0
		.amdhsa_uses_dynamic_stack 0
		.amdhsa_system_sgpr_private_segment_wavefront_offset 0
		.amdhsa_system_sgpr_workgroup_id_x 1
		.amdhsa_system_sgpr_workgroup_id_y 0
		.amdhsa_system_sgpr_workgroup_id_z 0
		.amdhsa_system_sgpr_workgroup_info 0
		.amdhsa_system_vgpr_workitem_id 0
		.amdhsa_next_free_vgpr 46
		.amdhsa_next_free_sgpr 67
		.amdhsa_accum_offset 48
		.amdhsa_reserve_vcc 1
		.amdhsa_reserve_flat_scratch 0
		.amdhsa_float_round_mode_32 0
		.amdhsa_float_round_mode_16_64 0
		.amdhsa_float_denorm_mode_32 3
		.amdhsa_float_denorm_mode_16_64 3
		.amdhsa_dx10_clamp 1
		.amdhsa_ieee_mode 1
		.amdhsa_fp16_overflow 0
		.amdhsa_tg_split 0
		.amdhsa_exception_fp_ieee_invalid_op 0
		.amdhsa_exception_fp_denorm_src 0
		.amdhsa_exception_fp_ieee_div_zero 0
		.amdhsa_exception_fp_ieee_overflow 0
		.amdhsa_exception_fp_ieee_underflow 0
		.amdhsa_exception_fp_ieee_inexact 0
		.amdhsa_exception_int_div_zero 0
	.end_amdhsa_kernel
	.section	.text._ZN2at6native12_GLOBAL__N_143distribution_elementwise_grid_stride_kernelImLi2EZZZNS0_9templates4cuda21random_from_to_kernelIPNS_17CUDAGeneratorImplEEEvRNS_18TensorIteratorBaseEmlT_ENKUlvE_clEvENKUlvE5_clEvEUlP25hiprandStatePhilox4_32_10E_ZNS1_27distribution_nullary_kernelIfm15HIP_vector_typeIyLj2EES7_SF_ZZZNS5_IS7_EEvS9_mlSA_ENKSB_clEvENKSC_clEvEUlmE_EEvS9_T2_RKT3_T4_EUlimE0_EEvlNS_15PhiloxCudaStateET1_SK_,"axG",@progbits,_ZN2at6native12_GLOBAL__N_143distribution_elementwise_grid_stride_kernelImLi2EZZZNS0_9templates4cuda21random_from_to_kernelIPNS_17CUDAGeneratorImplEEEvRNS_18TensorIteratorBaseEmlT_ENKUlvE_clEvENKUlvE5_clEvEUlP25hiprandStatePhilox4_32_10E_ZNS1_27distribution_nullary_kernelIfm15HIP_vector_typeIyLj2EES7_SF_ZZZNS5_IS7_EEvS9_mlSA_ENKSB_clEvENKSC_clEvEUlmE_EEvS9_T2_RKT3_T4_EUlimE0_EEvlNS_15PhiloxCudaStateET1_SK_,comdat
.Lfunc_end25:
	.size	_ZN2at6native12_GLOBAL__N_143distribution_elementwise_grid_stride_kernelImLi2EZZZNS0_9templates4cuda21random_from_to_kernelIPNS_17CUDAGeneratorImplEEEvRNS_18TensorIteratorBaseEmlT_ENKUlvE_clEvENKUlvE5_clEvEUlP25hiprandStatePhilox4_32_10E_ZNS1_27distribution_nullary_kernelIfm15HIP_vector_typeIyLj2EES7_SF_ZZZNS5_IS7_EEvS9_mlSA_ENKSB_clEvENKSC_clEvEUlmE_EEvS9_T2_RKT3_T4_EUlimE0_EEvlNS_15PhiloxCudaStateET1_SK_, .Lfunc_end25-_ZN2at6native12_GLOBAL__N_143distribution_elementwise_grid_stride_kernelImLi2EZZZNS0_9templates4cuda21random_from_to_kernelIPNS_17CUDAGeneratorImplEEEvRNS_18TensorIteratorBaseEmlT_ENKUlvE_clEvENKUlvE5_clEvEUlP25hiprandStatePhilox4_32_10E_ZNS1_27distribution_nullary_kernelIfm15HIP_vector_typeIyLj2EES7_SF_ZZZNS5_IS7_EEvS9_mlSA_ENKSB_clEvENKSC_clEvEUlmE_EEvS9_T2_RKT3_T4_EUlimE0_EEvlNS_15PhiloxCudaStateET1_SK_
                                        ; -- End function
	.section	.AMDGPU.csdata,"",@progbits
; Kernel info:
; codeLenInByte = 4792
; NumSgprs: 71
; NumVgprs: 46
; NumAgprs: 0
; TotalNumVgprs: 46
; ScratchSize: 0
; MemoryBound: 0
; FloatMode: 240
; IeeeMode: 1
; LDSByteSize: 0 bytes/workgroup (compile time only)
; SGPRBlocks: 8
; VGPRBlocks: 5
; NumSGPRsForWavesPerEU: 71
; NumVGPRsForWavesPerEU: 46
; AccumOffset: 48
; Occupancy: 8
; WaveLimiterHint : 1
; COMPUTE_PGM_RSRC2:SCRATCH_EN: 0
; COMPUTE_PGM_RSRC2:USER_SGPR: 6
; COMPUTE_PGM_RSRC2:TRAP_HANDLER: 0
; COMPUTE_PGM_RSRC2:TGID_X_EN: 1
; COMPUTE_PGM_RSRC2:TGID_Y_EN: 0
; COMPUTE_PGM_RSRC2:TGID_Z_EN: 0
; COMPUTE_PGM_RSRC2:TIDIG_COMP_CNT: 0
; COMPUTE_PGM_RSRC3_GFX90A:ACCUM_OFFSET: 11
; COMPUTE_PGM_RSRC3_GFX90A:TG_SPLIT: 0
	.section	.text._ZN2at6native12_GLOBAL__N_143distribution_elementwise_grid_stride_kernelIjLi4EZZZNS0_9templates4cuda21random_from_to_kernelIPNS_17CUDAGeneratorImplEEEvRNS_18TensorIteratorBaseEmlT_ENKUlvE_clEvENKUlvE5_clEvEUlP25hiprandStatePhilox4_32_10E0_ZNS1_27distribution_nullary_kernelIfj15HIP_vector_typeIjLj4EES7_SF_ZZZNS5_IS7_EEvS9_mlSA_ENKSB_clEvENKSC_clEvEUljE_EEvS9_T2_RKT3_T4_EUlijE_EEvlNS_15PhiloxCudaStateET1_SK_,"axG",@progbits,_ZN2at6native12_GLOBAL__N_143distribution_elementwise_grid_stride_kernelIjLi4EZZZNS0_9templates4cuda21random_from_to_kernelIPNS_17CUDAGeneratorImplEEEvRNS_18TensorIteratorBaseEmlT_ENKUlvE_clEvENKUlvE5_clEvEUlP25hiprandStatePhilox4_32_10E0_ZNS1_27distribution_nullary_kernelIfj15HIP_vector_typeIjLj4EES7_SF_ZZZNS5_IS7_EEvS9_mlSA_ENKSB_clEvENKSC_clEvEUljE_EEvS9_T2_RKT3_T4_EUlijE_EEvlNS_15PhiloxCudaStateET1_SK_,comdat
	.globl	_ZN2at6native12_GLOBAL__N_143distribution_elementwise_grid_stride_kernelIjLi4EZZZNS0_9templates4cuda21random_from_to_kernelIPNS_17CUDAGeneratorImplEEEvRNS_18TensorIteratorBaseEmlT_ENKUlvE_clEvENKUlvE5_clEvEUlP25hiprandStatePhilox4_32_10E0_ZNS1_27distribution_nullary_kernelIfj15HIP_vector_typeIjLj4EES7_SF_ZZZNS5_IS7_EEvS9_mlSA_ENKSB_clEvENKSC_clEvEUljE_EEvS9_T2_RKT3_T4_EUlijE_EEvlNS_15PhiloxCudaStateET1_SK_ ; -- Begin function _ZN2at6native12_GLOBAL__N_143distribution_elementwise_grid_stride_kernelIjLi4EZZZNS0_9templates4cuda21random_from_to_kernelIPNS_17CUDAGeneratorImplEEEvRNS_18TensorIteratorBaseEmlT_ENKUlvE_clEvENKUlvE5_clEvEUlP25hiprandStatePhilox4_32_10E0_ZNS1_27distribution_nullary_kernelIfj15HIP_vector_typeIjLj4EES7_SF_ZZZNS5_IS7_EEvS9_mlSA_ENKSB_clEvENKSC_clEvEUljE_EEvS9_T2_RKT3_T4_EUlijE_EEvlNS_15PhiloxCudaStateET1_SK_
	.p2align	8
	.type	_ZN2at6native12_GLOBAL__N_143distribution_elementwise_grid_stride_kernelIjLi4EZZZNS0_9templates4cuda21random_from_to_kernelIPNS_17CUDAGeneratorImplEEEvRNS_18TensorIteratorBaseEmlT_ENKUlvE_clEvENKUlvE5_clEvEUlP25hiprandStatePhilox4_32_10E0_ZNS1_27distribution_nullary_kernelIfj15HIP_vector_typeIjLj4EES7_SF_ZZZNS5_IS7_EEvS9_mlSA_ENKSB_clEvENKSC_clEvEUljE_EEvS9_T2_RKT3_T4_EUlijE_EEvlNS_15PhiloxCudaStateET1_SK_,@function
_ZN2at6native12_GLOBAL__N_143distribution_elementwise_grid_stride_kernelIjLi4EZZZNS0_9templates4cuda21random_from_to_kernelIPNS_17CUDAGeneratorImplEEEvRNS_18TensorIteratorBaseEmlT_ENKUlvE_clEvENKUlvE5_clEvEUlP25hiprandStatePhilox4_32_10E0_ZNS1_27distribution_nullary_kernelIfj15HIP_vector_typeIjLj4EES7_SF_ZZZNS5_IS7_EEvS9_mlSA_ENKSB_clEvENKSC_clEvEUljE_EEvS9_T2_RKT3_T4_EUlijE_EEvlNS_15PhiloxCudaStateET1_SK_: ; @_ZN2at6native12_GLOBAL__N_143distribution_elementwise_grid_stride_kernelIjLi4EZZZNS0_9templates4cuda21random_from_to_kernelIPNS_17CUDAGeneratorImplEEEvRNS_18TensorIteratorBaseEmlT_ENKUlvE_clEvENKUlvE5_clEvEUlP25hiprandStatePhilox4_32_10E0_ZNS1_27distribution_nullary_kernelIfj15HIP_vector_typeIjLj4EES7_SF_ZZZNS5_IS7_EEvS9_mlSA_ENKSB_clEvENKSC_clEvEUljE_EEvS9_T2_RKT3_T4_EUlijE_EEvlNS_15PhiloxCudaStateET1_SK_
; %bb.0:
	s_load_dword s7, s[4:5], 0x20
	s_load_dwordx2 s[10:11], s[4:5], 0x10
	s_load_dwordx4 s[0:3], s[4:5], 0x0
	s_mov_b32 s8, 0
	s_waitcnt lgkmcnt(0)
	s_bitcmp0_b32 s7, 0
	v_pk_mov_b32 v[2:3], s[10:11], s[10:11] op_sel:[0,1]
	v_pk_mov_b32 v[14:15], s[2:3], s[2:3] op_sel:[0,1]
	s_cbranch_scc1 .LBB26_2
; %bb.1:
	v_pk_mov_b32 v[2:3], s[10:11], s[10:11] op_sel:[0,1]
	flat_load_dwordx2 v[2:3], v[2:3]
	v_pk_mov_b32 v[4:5], s[2:3], s[2:3] op_sel:[0,1]
	flat_load_dwordx2 v[14:15], v[4:5]
	s_load_dwordx2 s[2:3], s[4:5], 0x18
	s_waitcnt lgkmcnt(0)
	v_mov_b32_e32 v1, s3
	s_waitcnt vmcnt(0)
	v_add_co_u32_e32 v2, vcc, s2, v2
	v_addc_co_u32_e32 v3, vcc, v3, v1, vcc
.LBB26_2:
	s_load_dword s2, s[4:5], 0x5c
	s_load_dword s14, s[4:5], 0x50
	s_waitcnt lgkmcnt(0)
	s_and_b32 s7, s2, 0xffff
	s_add_u32 s10, s0, -1
	s_mul_i32 s16, s14, s7
	s_addc_u32 s9, s1, -1
	s_lshl_b32 s17, s16, 2
	s_cmp_lg_u64 s[8:9], 0
	s_mov_b64 s[2:3], -1
	s_cbranch_scc0 .LBB26_35
; %bb.3:
	v_cvt_f32_u32_e32 v1, s17
	v_cvt_f32_ubyte0_e32 v4, 0
	s_sub_u32 s8, 0, s17
	s_subb_u32 s11, 0, 0
	v_madmk_f32 v1, v4, 0x4f800000, v1
	v_rcp_f32_e32 v1, v1
	v_mul_f32_e32 v1, 0x5f7ffffc, v1
	v_mul_f32_e32 v4, 0x2f800000, v1
	v_trunc_f32_e32 v4, v4
	v_madmk_f32 v1, v4, 0xcf800000, v1
	v_cvt_u32_f32_e32 v4, v4
	v_cvt_u32_f32_e32 v1, v1
	v_readfirstlane_b32 s12, v4
	v_readfirstlane_b32 s13, v1
	s_mul_i32 s15, s8, s12
	s_mul_hi_u32 s19, s8, s13
	s_mul_i32 s18, s11, s13
	s_add_i32 s15, s19, s15
	s_add_i32 s15, s15, s18
	s_mul_i32 s20, s8, s13
	s_mul_hi_u32 s18, s13, s15
	s_mul_i32 s19, s13, s15
	s_mul_hi_u32 s13, s13, s20
	s_add_u32 s13, s13, s19
	s_addc_u32 s18, 0, s18
	s_mul_hi_u32 s21, s12, s20
	s_mul_i32 s20, s12, s20
	s_add_u32 s13, s13, s20
	s_mul_hi_u32 s19, s12, s15
	s_addc_u32 s13, s18, s21
	s_addc_u32 s18, s19, 0
	s_mul_i32 s15, s12, s15
	s_add_u32 s13, s13, s15
	s_addc_u32 s15, 0, s18
	v_add_co_u32_e32 v1, vcc, s13, v1
	s_cmp_lg_u64 vcc, 0
	s_addc_u32 s12, s12, s15
	v_readfirstlane_b32 s15, v1
	s_mul_i32 s13, s8, s12
	s_mul_hi_u32 s18, s8, s15
	s_add_i32 s13, s18, s13
	s_mul_i32 s11, s11, s15
	s_add_i32 s13, s13, s11
	s_mul_i32 s8, s8, s15
	s_mul_hi_u32 s18, s12, s8
	s_mul_i32 s19, s12, s8
	s_mul_i32 s21, s15, s13
	s_mul_hi_u32 s8, s15, s8
	s_mul_hi_u32 s20, s15, s13
	s_add_u32 s8, s8, s21
	s_addc_u32 s15, 0, s20
	s_add_u32 s8, s8, s19
	s_mul_hi_u32 s11, s12, s13
	s_addc_u32 s8, s15, s18
	s_addc_u32 s11, s11, 0
	s_mul_i32 s13, s12, s13
	s_add_u32 s8, s8, s13
	s_addc_u32 s11, 0, s11
	v_add_co_u32_e32 v1, vcc, s8, v1
	s_cmp_lg_u64 vcc, 0
	s_addc_u32 s11, s12, s11
	s_ashr_i32 s12, s9, 31
	s_add_u32 s8, s10, s12
	s_mov_b32 s13, s12
	s_addc_u32 s9, s9, s12
	s_xor_b64 s[8:9], s[8:9], s[12:13]
	v_readfirstlane_b32 s19, v1
	s_mul_i32 s18, s8, s11
	s_mul_hi_u32 s20, s8, s19
	s_mul_hi_u32 s15, s8, s11
	s_add_u32 s18, s20, s18
	s_addc_u32 s15, 0, s15
	s_mul_hi_u32 s21, s9, s19
	s_mul_i32 s19, s9, s19
	s_add_u32 s18, s18, s19
	s_mul_hi_u32 s20, s9, s11
	s_addc_u32 s15, s15, s21
	s_addc_u32 s18, s20, 0
	s_mul_i32 s11, s9, s11
	s_add_u32 s11, s15, s11
	s_addc_u32 s15, 0, s18
	s_add_u32 s18, s11, 1
	s_addc_u32 s19, s15, 0
	s_add_u32 s20, s11, 2
	s_mul_i32 s22, s17, s15
	s_mul_hi_u32 s23, s17, s11
	s_addc_u32 s21, s15, 0
	s_add_i32 s23, s23, s22
	s_mul_i32 s22, s17, s11
	v_mov_b32_e32 v1, s22
	v_sub_co_u32_e32 v1, vcc, s8, v1
	s_cmp_lg_u64 vcc, 0
	s_subb_u32 s8, s9, s23
	v_subrev_co_u32_e32 v4, vcc, s17, v1
	s_cmp_lg_u64 vcc, 0
	s_subb_u32 s9, s8, 0
	v_readfirstlane_b32 s22, v4
	s_cmp_ge_u32 s22, s17
	s_cselect_b32 s22, -1, 0
	s_cmp_eq_u32 s9, 0
	s_cselect_b32 s9, s22, -1
	s_cmp_lg_u32 s9, 0
	s_cselect_b32 s9, s21, s19
	v_readfirstlane_b32 s19, v1
	s_cselect_b32 s18, s20, s18
	s_cmp_ge_u32 s19, s17
	s_cselect_b32 s19, -1, 0
	s_cmp_eq_u32 s8, 0
	s_cselect_b32 s8, s19, -1
	s_cmp_lg_u32 s8, 0
	s_cselect_b32 s9, s9, s15
	s_cselect_b32 s8, s18, s11
	s_xor_b64 s[8:9], s[8:9], s[12:13]
	s_sub_u32 s8, s8, s12
	s_subb_u32 s9, s9, s12
	s_cbranch_execnz .LBB26_5
.LBB26_4:
	v_cvt_f32_u32_e32 v1, s17
	s_sub_i32 s2, 0, s17
	s_mov_b32 s9, 0
	v_rcp_iflag_f32_e32 v1, v1
	v_mul_f32_e32 v1, 0x4f7ffffe, v1
	v_cvt_u32_f32_e32 v1, v1
	v_readfirstlane_b32 s3, v1
	s_mul_i32 s2, s2, s3
	s_mul_hi_u32 s2, s3, s2
	s_add_i32 s3, s3, s2
	s_mul_hi_u32 s2, s10, s3
	s_mul_i32 s8, s2, s17
	s_sub_i32 s8, s10, s8
	s_add_i32 s3, s2, 1
	s_sub_i32 s10, s8, s17
	s_cmp_ge_u32 s8, s17
	s_cselect_b32 s2, s3, s2
	s_cselect_b32 s8, s10, s8
	s_add_i32 s3, s2, 1
	s_cmp_ge_u32 s8, s17
	s_cselect_b32 s8, s3, s2
.LBB26_5:
	v_mov_b32_e32 v1, 0
	v_mov_b32_e32 v4, s6
	v_mad_u64_u32 v[16:17], s[2:3], s7, v4, v[0:1]
	s_add_u32 s2, s8, 1
	s_addc_u32 s3, s9, 0
	s_mul_hi_u32 s8, s14, s7
	s_mul_i32 s3, s16, s3
	s_mul_hi_u32 s9, s16, s2
	s_add_i32 s3, s9, s3
	s_mul_i32 s8, s8, s2
	s_add_i32 s3, s3, s8
	s_mul_i32 s2, s16, s2
	s_lshl_b64 s[2:3], s[2:3], 2
	v_cmp_gt_i64_e32 vcc, s[2:3], v[16:17]
	s_and_saveexec_b64 s[8:9], vcc
	s_cbranch_execz .LBB26_34
; %bb.6:
	s_load_dwordx2 s[12:13], s[4:5], 0x30
	s_load_dword s15, s[4:5], 0x38
	s_load_dwordx4 s[8:11], s[4:5], 0x40
	v_mov_b32_e32 v4, v15
	s_mov_b32 s4, 0xdb3d7428
	v_add_co_u32_e32 v23, vcc, s4, v4
	s_mov_b32 s4, 0x5384540f
	v_add_co_u32_e32 v24, vcc, s4, v14
	;; [unrolled: 2-line block ×7, first 2 shown]
	s_mov_b32 s4, 0x9e3779b9
	v_alignbit_b32 v31, v3, v2, 2
	s_mov_b32 s19, 0xd2511f53
	v_add_co_u32_e32 v30, vcc, s4, v14
	v_mad_u64_u32 v[6:7], s[4:5], v31, s19, 0
	v_and_b32_e32 v20, 3, v2
	v_xor_b32_e32 v2, v7, v15
	v_xor_b32_e32 v2, v2, v17
	s_mov_b32 s20, 0xcd9e8d57
	v_mad_u64_u32 v[8:9], s[4:5], v2, s20, 0
	v_xor_b32_e32 v2, v30, v9
	v_mad_u64_u32 v[10:11], s[4:5], v16, s20, 0
	v_xor_b32_e32 v2, v2, v10
	;; [unrolled: 2-line block ×3, first 2 shown]
	v_lshrrev_b32_e32 v32, 2, v3
	v_xor_b32_e32 v2, v2, v32
	v_xor_b32_e32 v5, v29, v13
	v_mad_u64_u32 v[2:3], s[4:5], v2, s19, 0
	v_xor_b32_e32 v2, v5, v2
	v_mad_u64_u32 v[10:11], s[4:5], v2, s20, 0
	s_mov_b32 s4, 0xbb67ae85
	v_add_co_u32_e32 v33, vcc, s4, v4
	v_xor_b32_e32 v2, v33, v3
	v_xor_b32_e32 v2, v2, v6
	v_xor_b32_e32 v5, v28, v11
	v_mad_u64_u32 v[2:3], s[4:5], v2, s20, 0
	v_xor_b32_e32 v2, v5, v2
	v_mad_u64_u32 v[6:7], s[4:5], v2, s19, 0
	s_mov_b32 s4, 0x3c6ef372
	v_add_co_u32_e32 v34, vcc, s4, v14
	v_xor_b32_e32 v2, v34, v3
	;; [unrolled: 8-line block ×7, first 2 shown]
	v_xor_b32_e32 v2, v2, v12
	v_mad_u64_u32 v[2:3], s[4:5], v2, s20, 0
	s_mov_b32 s4, 0xf1bbcdc8
	v_add_co_u32_e32 v40, vcc, s4, v14
	v_xor_b32_e32 v3, v40, v3
	v_xor_b32_e32 v3, v3, v10
	v_mad_u64_u32 v[10:11], s[4:5], v3, s19, 0
	s_mul_i32 s4, s6, s7
	v_xor_b32_e32 v3, v11, v6
	v_add_u32_e32 v6, s4, v0
	s_waitcnt lgkmcnt(0)
	s_mul_i32 s4, s14, s15
	s_mul_i32 s4, s4, s7
	s_lshl_b32 s25, s4, 2
	s_mul_i32 s4, s14, 3
	s_add_i32 s4, s6, s4
	s_mul_i32 s4, s4, s7
	v_mul_lo_u32 v41, s15, v6
	v_add_u32_e32 v6, s4, v0
	s_lshl_b32 s4, s14, 1
	s_add_i32 s4, s6, s4
	s_mul_i32 s4, s4, s7
	v_mul_lo_u32 v42, s15, v6
	v_add_u32_e32 v6, s4, v0
	s_add_i32 s4, s6, s14
	s_mul_i32 s4, s4, s7
	s_mov_b32 s18, 0
	v_add_u32_e32 v21, 0x8ff34781, v14
	v_add_u32_e32 v22, 0x96a522ad, v15
	v_xor_b32_e32 v2, v9, v2
	v_add_u32_e32 v0, s4, v0
	v_xor_b32_e32 v2, v21, v2
	v_xor_b32_e32 v4, v22, v3
	v_mov_b32_e32 v3, v8
	v_mov_b32_e32 v5, v10
	s_lshl_b32 s21, s16, 1
	s_mov_b32 s22, s18
	s_mul_i32 s23, s16, 3
	s_mov_b32 s24, s18
	v_mul_lo_u32 v43, s15, v6
	v_mul_lo_u32 v44, s15, v0
	s_mov_b64 s[4:5], 0
	s_mov_b32 s26, s18
	v_mov_b32_e32 v45, v16
	v_mov_b32_e32 v46, v17
	s_branch .LBB26_9
.LBB26_7:                               ;   in Loop: Header=BB26_9 Depth=1
	s_or_b64 exec, exec, s[14:15]
	v_mov_b32_e32 v3, s11
	v_add_co_u32_e32 v2, vcc, s10, v0
	v_addc_co_u32_e32 v3, vcc, v1, v3, vcc
	v_xor_b32_e32 v0, v2, v3
	v_ashrrev_i32_e32 v0, 31, v0
	v_ffbh_i32_e32 v10, v3
	v_add_u32_e32 v0, 32, v0
	v_add_u32_e32 v10, -1, v10
	v_min_u32_e32 v0, v10, v0
	v_lshlrev_b64 v[2:3], v0, v[2:3]
	v_min_u32_e32 v2, 1, v2
	v_or_b32_e32 v2, v3, v2
	v_cvt_f32_i32_e32 v10, v2
	v_add_u32_e32 v4, s26, v42
	v_ashrrev_i32_e32 v5, 31, v4
	v_mov_b32_e32 v9, s13
	v_add_co_u32_e32 v2, vcc, s12, v4
	v_sub_u32_e32 v0, 32, v0
	v_addc_co_u32_e32 v3, vcc, v9, v5, vcc
	v_ldexp_f32 v0, v10, v0
	global_store_dword v[2:3], v0, off
.LBB26_8:                               ;   in Loop: Header=BB26_9 Depth=1
	s_or_b64 exec, exec, s[6:7]
	v_add_co_u32_e32 v16, vcc, s17, v16
	v_addc_co_u32_e32 v17, vcc, 0, v17, vcc
	v_mov_b32_e32 v9, v18
	s_add_i32 s26, s26, s25
	v_cmp_le_i64_e32 vcc, s[2:3], v[16:17]
	v_pk_mov_b32 v[2:3], v[6:7], v[6:7] op_sel:[0,1]
	s_or_b64 s[4:5], vcc, s[4:5]
	v_pk_mov_b32 v[4:5], v[8:9], v[8:9] op_sel:[0,1]
	s_barrier
	s_andn2_b64 exec, exec, s[4:5]
	s_cbranch_execz .LBB26_34
.LBB26_9:                               ; =>This Inner Loop Header: Depth=1
	v_add_co_u32_e32 v31, vcc, 1, v31
	v_cndmask_b32_e64 v0, 0, 1, vcc
	v_addc_co_u32_e32 v32, vcc, 0, v32, vcc
	v_cmp_eq_u32_e32 vcc, 0, v32
	v_cndmask_b32_e32 v0, 0, v0, vcc
	v_add_u32_e32 v45, v0, v45
	v_cmp_eq_u32_e32 vcc, 0, v45
	v_cndmask_b32_e32 v0, 0, v0, vcc
	v_mad_u64_u32 v[6:7], s[6:7], v31, s19, 0
	v_mad_u64_u32 v[8:9], s[6:7], v45, s20, 0
	v_add_u32_e32 v46, v0, v46
	v_xor_b32_e32 v0, v9, v14
	v_xor_b32_e32 v7, v7, v15
	v_xor_b32_e32 v0, v32, v0
	v_xor_b32_e32 v7, v46, v7
	v_mad_u64_u32 v[10:11], s[6:7], v0, s19, 0
	v_mad_u64_u32 v[12:13], s[6:7], v7, s20, 0
	v_xor_b32_e32 v0, v30, v13
	v_xor_b32_e32 v7, v33, v11
	v_xor_b32_e32 v0, v0, v8
	v_xor_b32_e32 v8, v7, v6
	v_mad_u64_u32 v[6:7], s[6:7], v0, s19, 0
	v_mad_u64_u32 v[8:9], s[6:7], v8, s20, 0
	;; [unrolled: 6-line block ×9, first 2 shown]
	v_xor_b32_e32 v0, v13, v6
	v_xor_b32_e32 v6, v21, v0
	v_xor_b32_e32 v0, v19, v8
	v_xor_b32_e32 v13, v22, v0
	v_mov_b32_e32 v7, v12
	v_mov_b32_e32 v8, v13
	v_cmp_lt_i32_e32 vcc, 1, v20
	s_and_saveexec_b64 s[6:7], vcc
	s_xor_b64 s[6:7], exec, s[6:7]
	s_cbranch_execnz .LBB26_12
; %bb.10:                               ;   in Loop: Header=BB26_9 Depth=1
	s_andn2_saveexec_b64 s[6:7], s[6:7]
	s_cbranch_execnz .LBB26_17
.LBB26_11:                              ;   in Loop: Header=BB26_9 Depth=1
	s_or_b64 exec, exec, s[6:7]
	v_cmp_gt_i64_e32 vcc, s[0:1], v[16:17]
	s_and_saveexec_b64 s[6:7], vcc
	s_cbranch_execnz .LBB26_20
	s_branch .LBB26_23
.LBB26_12:                              ;   in Loop: Header=BB26_9 Depth=1
	v_cmp_lt_i32_e32 vcc, 2, v20
	s_and_saveexec_b64 s[14:15], vcc
	s_xor_b64 s[14:15], exec, s[14:15]
; %bb.13:                               ;   in Loop: Header=BB26_9 Depth=1
	v_mov_b32_e32 v10, v5
	v_mov_b32_e32 v11, v6
	v_pk_mov_b32 v[2:3], v[10:11], v[10:11] op_sel:[0,1]
	v_pk_mov_b32 v[4:5], v[12:13], v[12:13] op_sel:[0,1]
                                        ; implicit-def: $vgpr12_vgpr13
; %bb.14:                               ;   in Loop: Header=BB26_9 Depth=1
	s_andn2_saveexec_b64 s[14:15], s[14:15]
; %bb.15:                               ;   in Loop: Header=BB26_9 Depth=1
	v_mov_b32_e32 v2, v4
	v_mov_b32_e32 v3, v5
	v_mov_b32_e32 v4, v6
	v_mov_b32_e32 v5, v12
; %bb.16:                               ;   in Loop: Header=BB26_9 Depth=1
	s_or_b64 exec, exec, s[14:15]
	s_andn2_saveexec_b64 s[6:7], s[6:7]
	s_cbranch_execz .LBB26_11
.LBB26_17:                              ;   in Loop: Header=BB26_9 Depth=1
	v_cmp_eq_u32_e32 vcc, 1, v20
	s_and_saveexec_b64 s[14:15], vcc
; %bb.18:                               ;   in Loop: Header=BB26_9 Depth=1
	v_mov_b32_e32 v2, v3
	v_mov_b32_e32 v3, v4
	;; [unrolled: 1-line block ×4, first 2 shown]
; %bb.19:                               ;   in Loop: Header=BB26_9 Depth=1
	s_or_b64 exec, exec, s[14:15]
	s_or_b64 exec, exec, s[6:7]
	v_cmp_gt_i64_e32 vcc, s[0:1], v[16:17]
	s_and_saveexec_b64 s[6:7], vcc
	s_cbranch_execz .LBB26_23
.LBB26_20:                              ;   in Loop: Header=BB26_9 Depth=1
	v_mov_b32_e32 v0, v2
	v_cmp_le_u64_e32 vcc, s[8:9], v[0:1]
	s_and_saveexec_b64 s[14:15], vcc
	s_cbranch_execz .LBB26_22
; %bb.21:                               ;   in Loop: Header=BB26_9 Depth=1
	v_cvt_f32_u32_e32 v2, s8
	s_sub_i32 s27, 0, s8
	v_rcp_iflag_f32_e32 v2, v2
	v_mul_f32_e32 v2, 0x4f7ffffe, v2
	v_cvt_u32_f32_e32 v2, v2
	v_mul_lo_u32 v9, s27, v2
	v_mul_hi_u32 v9, v2, v9
	v_add_u32_e32 v2, v2, v9
	v_mul_hi_u32 v2, v0, v2
	v_mul_lo_u32 v2, v2, s8
	v_sub_u32_e32 v0, v0, v2
	v_subrev_u32_e32 v2, s8, v0
	v_cmp_le_u32_e32 vcc, s8, v0
	v_cndmask_b32_e32 v0, v0, v2, vcc
	v_subrev_u32_e32 v2, s8, v0
	v_cmp_le_u32_e32 vcc, s8, v0
	v_cndmask_b32_e32 v0, v0, v2, vcc
.LBB26_22:                              ;   in Loop: Header=BB26_9 Depth=1
	s_or_b64 exec, exec, s[14:15]
	v_mov_b32_e32 v11, s11
	v_add_co_u32_e32 v10, vcc, s10, v0
	v_addc_co_u32_e32 v11, vcc, v1, v11, vcc
	v_xor_b32_e32 v0, v10, v11
	v_ashrrev_i32_e32 v0, 31, v0
	v_ffbh_i32_e32 v13, v11
	v_add_u32_e32 v0, 32, v0
	v_add_u32_e32 v13, -1, v13
	v_min_u32_e32 v0, v13, v0
	v_lshlrev_b64 v[10:11], v0, v[10:11]
	v_min_u32_e32 v10, 1, v10
	v_or_b32_e32 v10, v11, v10
	v_cvt_f32_i32_e32 v13, v10
	v_add_u32_e32 v2, s26, v41
	v_ashrrev_i32_e32 v9, 31, v2
	v_mov_b32_e32 v12, s13
	v_add_co_u32_e32 v10, vcc, s12, v2
	v_sub_u32_e32 v0, 32, v0
	v_addc_co_u32_e32 v11, vcc, v12, v9, vcc
	v_ldexp_f32 v0, v13, v0
	global_store_dword v[10:11], v0, off
.LBB26_23:                              ;   in Loop: Header=BB26_9 Depth=1
	s_or_b64 exec, exec, s[6:7]
	v_mov_b32_e32 v0, s18
	v_add_co_u32_e32 v10, vcc, s16, v16
	v_addc_co_u32_e32 v11, vcc, v0, v17, vcc
	v_cmp_gt_i64_e32 vcc, s[0:1], v[10:11]
	s_and_saveexec_b64 s[6:7], vcc
	s_cbranch_execz .LBB26_27
; %bb.24:                               ;   in Loop: Header=BB26_9 Depth=1
	v_mov_b32_e32 v0, v3
	v_cmp_le_u64_e32 vcc, s[8:9], v[0:1]
	s_and_saveexec_b64 s[14:15], vcc
	s_cbranch_execz .LBB26_26
; %bb.25:                               ;   in Loop: Header=BB26_9 Depth=1
	v_cvt_f32_u32_e32 v2, s8
	s_sub_i32 s27, 0, s8
	v_rcp_iflag_f32_e32 v2, v2
	v_mul_f32_e32 v2, 0x4f7ffffe, v2
	v_cvt_u32_f32_e32 v2, v2
	v_mul_lo_u32 v3, s27, v2
	v_mul_hi_u32 v3, v2, v3
	v_add_u32_e32 v2, v2, v3
	v_mul_hi_u32 v2, v0, v2
	v_mul_lo_u32 v2, v2, s8
	v_sub_u32_e32 v0, v0, v2
	v_subrev_u32_e32 v2, s8, v0
	v_cmp_le_u32_e32 vcc, s8, v0
	v_cndmask_b32_e32 v0, v0, v2, vcc
	v_subrev_u32_e32 v2, s8, v0
	v_cmp_le_u32_e32 vcc, s8, v0
	v_cndmask_b32_e32 v0, v0, v2, vcc
.LBB26_26:                              ;   in Loop: Header=BB26_9 Depth=1
	s_or_b64 exec, exec, s[14:15]
	v_mov_b32_e32 v3, s11
	v_add_co_u32_e32 v2, vcc, s10, v0
	v_addc_co_u32_e32 v3, vcc, v1, v3, vcc
	v_xor_b32_e32 v0, v2, v3
	v_ashrrev_i32_e32 v0, 31, v0
	v_ffbh_i32_e32 v12, v3
	v_add_u32_e32 v0, 32, v0
	v_add_u32_e32 v12, -1, v12
	v_min_u32_e32 v0, v12, v0
	v_lshlrev_b64 v[2:3], v0, v[2:3]
	v_min_u32_e32 v2, 1, v2
	v_or_b32_e32 v2, v3, v2
	v_cvt_f32_i32_e32 v12, v2
	v_add_u32_e32 v9, s26, v44
	v_ashrrev_i32_e32 v10, 31, v9
	v_mov_b32_e32 v11, s13
	v_add_co_u32_e32 v2, vcc, s12, v9
	v_sub_u32_e32 v0, 32, v0
	v_addc_co_u32_e32 v3, vcc, v11, v10, vcc
	v_ldexp_f32 v0, v12, v0
	global_store_dword v[2:3], v0, off
.LBB26_27:                              ;   in Loop: Header=BB26_9 Depth=1
	s_or_b64 exec, exec, s[6:7]
	v_mov_b32_e32 v0, s22
	v_add_co_u32_e32 v2, vcc, s21, v16
	v_addc_co_u32_e32 v3, vcc, v0, v17, vcc
	v_cmp_gt_i64_e32 vcc, s[0:1], v[2:3]
	s_and_saveexec_b64 s[6:7], vcc
	s_cbranch_execz .LBB26_31
; %bb.28:                               ;   in Loop: Header=BB26_9 Depth=1
	v_mov_b32_e32 v0, v4
	v_cmp_le_u64_e32 vcc, s[8:9], v[0:1]
	s_and_saveexec_b64 s[14:15], vcc
	s_cbranch_execz .LBB26_30
; %bb.29:                               ;   in Loop: Header=BB26_9 Depth=1
	v_cvt_f32_u32_e32 v2, s8
	s_sub_i32 s27, 0, s8
	v_rcp_iflag_f32_e32 v2, v2
	v_mul_f32_e32 v2, 0x4f7ffffe, v2
	v_cvt_u32_f32_e32 v2, v2
	v_mul_lo_u32 v3, s27, v2
	v_mul_hi_u32 v3, v2, v3
	v_add_u32_e32 v2, v2, v3
	v_mul_hi_u32 v2, v0, v2
	v_mul_lo_u32 v2, v2, s8
	v_sub_u32_e32 v0, v0, v2
	v_subrev_u32_e32 v2, s8, v0
	v_cmp_le_u32_e32 vcc, s8, v0
	v_cndmask_b32_e32 v0, v0, v2, vcc
	v_subrev_u32_e32 v2, s8, v0
	v_cmp_le_u32_e32 vcc, s8, v0
	v_cndmask_b32_e32 v0, v0, v2, vcc
.LBB26_30:                              ;   in Loop: Header=BB26_9 Depth=1
	s_or_b64 exec, exec, s[14:15]
	v_mov_b32_e32 v3, s11
	v_add_co_u32_e32 v2, vcc, s10, v0
	v_addc_co_u32_e32 v3, vcc, v1, v3, vcc
	v_xor_b32_e32 v0, v2, v3
	v_ashrrev_i32_e32 v0, 31, v0
	v_ffbh_i32_e32 v11, v3
	v_add_u32_e32 v0, 32, v0
	v_add_u32_e32 v11, -1, v11
	v_min_u32_e32 v0, v11, v0
	v_lshlrev_b64 v[2:3], v0, v[2:3]
	v_min_u32_e32 v2, 1, v2
	v_or_b32_e32 v2, v3, v2
	v_cvt_f32_i32_e32 v11, v2
	v_add_u32_e32 v4, s26, v43
	v_ashrrev_i32_e32 v9, 31, v4
	v_mov_b32_e32 v10, s13
	v_add_co_u32_e32 v2, vcc, s12, v4
	v_sub_u32_e32 v0, 32, v0
	v_addc_co_u32_e32 v3, vcc, v10, v9, vcc
	v_ldexp_f32 v0, v11, v0
	global_store_dword v[2:3], v0, off
.LBB26_31:                              ;   in Loop: Header=BB26_9 Depth=1
	s_or_b64 exec, exec, s[6:7]
	v_mov_b32_e32 v0, s24
	v_add_co_u32_e32 v2, vcc, s23, v16
	v_addc_co_u32_e32 v3, vcc, v0, v17, vcc
	v_cmp_gt_i64_e32 vcc, s[0:1], v[2:3]
	s_and_saveexec_b64 s[6:7], vcc
	s_cbranch_execz .LBB26_8
; %bb.32:                               ;   in Loop: Header=BB26_9 Depth=1
	v_mov_b32_e32 v0, v5
	v_cmp_le_u64_e32 vcc, s[8:9], v[0:1]
	s_and_saveexec_b64 s[14:15], vcc
	s_cbranch_execz .LBB26_7
; %bb.33:                               ;   in Loop: Header=BB26_9 Depth=1
	v_cvt_f32_u32_e32 v2, s8
	s_sub_i32 s27, 0, s8
	v_rcp_iflag_f32_e32 v2, v2
	v_mul_f32_e32 v2, 0x4f7ffffe, v2
	v_cvt_u32_f32_e32 v2, v2
	v_mul_lo_u32 v3, s27, v2
	v_mul_hi_u32 v3, v2, v3
	v_add_u32_e32 v2, v2, v3
	v_mul_hi_u32 v2, v0, v2
	v_mul_lo_u32 v2, v2, s8
	v_sub_u32_e32 v0, v0, v2
	v_subrev_u32_e32 v2, s8, v0
	v_cmp_le_u32_e32 vcc, s8, v0
	v_cndmask_b32_e32 v0, v0, v2, vcc
	v_subrev_u32_e32 v2, s8, v0
	v_cmp_le_u32_e32 vcc, s8, v0
	v_cndmask_b32_e32 v0, v0, v2, vcc
	s_branch .LBB26_7
.LBB26_34:
	s_endpgm
.LBB26_35:
                                        ; implicit-def: $sgpr8_sgpr9
	s_andn2_b64 vcc, exec, s[2:3]
	s_cbranch_vccz .LBB26_4
	s_branch .LBB26_5
	.section	.rodata,"a",@progbits
	.p2align	6, 0x0
	.amdhsa_kernel _ZN2at6native12_GLOBAL__N_143distribution_elementwise_grid_stride_kernelIjLi4EZZZNS0_9templates4cuda21random_from_to_kernelIPNS_17CUDAGeneratorImplEEEvRNS_18TensorIteratorBaseEmlT_ENKUlvE_clEvENKUlvE5_clEvEUlP25hiprandStatePhilox4_32_10E0_ZNS1_27distribution_nullary_kernelIfj15HIP_vector_typeIjLj4EES7_SF_ZZZNS5_IS7_EEvS9_mlSA_ENKSB_clEvENKSC_clEvEUljE_EEvS9_T2_RKT3_T4_EUlijE_EEvlNS_15PhiloxCudaStateET1_SK_
		.amdhsa_group_segment_fixed_size 0
		.amdhsa_private_segment_fixed_size 0
		.amdhsa_kernarg_size 336
		.amdhsa_user_sgpr_count 6
		.amdhsa_user_sgpr_private_segment_buffer 1
		.amdhsa_user_sgpr_dispatch_ptr 0
		.amdhsa_user_sgpr_queue_ptr 0
		.amdhsa_user_sgpr_kernarg_segment_ptr 1
		.amdhsa_user_sgpr_dispatch_id 0
		.amdhsa_user_sgpr_flat_scratch_init 0
		.amdhsa_user_sgpr_kernarg_preload_length 0
		.amdhsa_user_sgpr_kernarg_preload_offset 0
		.amdhsa_user_sgpr_private_segment_size 0
		.amdhsa_uses_dynamic_stack 0
		.amdhsa_system_sgpr_private_segment_wavefront_offset 0
		.amdhsa_system_sgpr_workgroup_id_x 1
		.amdhsa_system_sgpr_workgroup_id_y 0
		.amdhsa_system_sgpr_workgroup_id_z 0
		.amdhsa_system_sgpr_workgroup_info 0
		.amdhsa_system_vgpr_workitem_id 0
		.amdhsa_next_free_vgpr 47
		.amdhsa_next_free_sgpr 28
		.amdhsa_accum_offset 48
		.amdhsa_reserve_vcc 1
		.amdhsa_reserve_flat_scratch 0
		.amdhsa_float_round_mode_32 0
		.amdhsa_float_round_mode_16_64 0
		.amdhsa_float_denorm_mode_32 3
		.amdhsa_float_denorm_mode_16_64 3
		.amdhsa_dx10_clamp 1
		.amdhsa_ieee_mode 1
		.amdhsa_fp16_overflow 0
		.amdhsa_tg_split 0
		.amdhsa_exception_fp_ieee_invalid_op 0
		.amdhsa_exception_fp_denorm_src 0
		.amdhsa_exception_fp_ieee_div_zero 0
		.amdhsa_exception_fp_ieee_overflow 0
		.amdhsa_exception_fp_ieee_underflow 0
		.amdhsa_exception_fp_ieee_inexact 0
		.amdhsa_exception_int_div_zero 0
	.end_amdhsa_kernel
	.section	.text._ZN2at6native12_GLOBAL__N_143distribution_elementwise_grid_stride_kernelIjLi4EZZZNS0_9templates4cuda21random_from_to_kernelIPNS_17CUDAGeneratorImplEEEvRNS_18TensorIteratorBaseEmlT_ENKUlvE_clEvENKUlvE5_clEvEUlP25hiprandStatePhilox4_32_10E0_ZNS1_27distribution_nullary_kernelIfj15HIP_vector_typeIjLj4EES7_SF_ZZZNS5_IS7_EEvS9_mlSA_ENKSB_clEvENKSC_clEvEUljE_EEvS9_T2_RKT3_T4_EUlijE_EEvlNS_15PhiloxCudaStateET1_SK_,"axG",@progbits,_ZN2at6native12_GLOBAL__N_143distribution_elementwise_grid_stride_kernelIjLi4EZZZNS0_9templates4cuda21random_from_to_kernelIPNS_17CUDAGeneratorImplEEEvRNS_18TensorIteratorBaseEmlT_ENKUlvE_clEvENKUlvE5_clEvEUlP25hiprandStatePhilox4_32_10E0_ZNS1_27distribution_nullary_kernelIfj15HIP_vector_typeIjLj4EES7_SF_ZZZNS5_IS7_EEvS9_mlSA_ENKSB_clEvENKSC_clEvEUljE_EEvS9_T2_RKT3_T4_EUlijE_EEvlNS_15PhiloxCudaStateET1_SK_,comdat
.Lfunc_end26:
	.size	_ZN2at6native12_GLOBAL__N_143distribution_elementwise_grid_stride_kernelIjLi4EZZZNS0_9templates4cuda21random_from_to_kernelIPNS_17CUDAGeneratorImplEEEvRNS_18TensorIteratorBaseEmlT_ENKUlvE_clEvENKUlvE5_clEvEUlP25hiprandStatePhilox4_32_10E0_ZNS1_27distribution_nullary_kernelIfj15HIP_vector_typeIjLj4EES7_SF_ZZZNS5_IS7_EEvS9_mlSA_ENKSB_clEvENKSC_clEvEUljE_EEvS9_T2_RKT3_T4_EUlijE_EEvlNS_15PhiloxCudaStateET1_SK_, .Lfunc_end26-_ZN2at6native12_GLOBAL__N_143distribution_elementwise_grid_stride_kernelIjLi4EZZZNS0_9templates4cuda21random_from_to_kernelIPNS_17CUDAGeneratorImplEEEvRNS_18TensorIteratorBaseEmlT_ENKUlvE_clEvENKUlvE5_clEvEUlP25hiprandStatePhilox4_32_10E0_ZNS1_27distribution_nullary_kernelIfj15HIP_vector_typeIjLj4EES7_SF_ZZZNS5_IS7_EEvS9_mlSA_ENKSB_clEvENKSC_clEvEUljE_EEvS9_T2_RKT3_T4_EUlijE_EEvlNS_15PhiloxCudaStateET1_SK_
                                        ; -- End function
	.section	.AMDGPU.csdata,"",@progbits
; Kernel info:
; codeLenInByte = 3052
; NumSgprs: 32
; NumVgprs: 47
; NumAgprs: 0
; TotalNumVgprs: 47
; ScratchSize: 0
; MemoryBound: 0
; FloatMode: 240
; IeeeMode: 1
; LDSByteSize: 0 bytes/workgroup (compile time only)
; SGPRBlocks: 3
; VGPRBlocks: 5
; NumSGPRsForWavesPerEU: 32
; NumVGPRsForWavesPerEU: 47
; AccumOffset: 48
; Occupancy: 8
; WaveLimiterHint : 0
; COMPUTE_PGM_RSRC2:SCRATCH_EN: 0
; COMPUTE_PGM_RSRC2:USER_SGPR: 6
; COMPUTE_PGM_RSRC2:TRAP_HANDLER: 0
; COMPUTE_PGM_RSRC2:TGID_X_EN: 1
; COMPUTE_PGM_RSRC2:TGID_Y_EN: 0
; COMPUTE_PGM_RSRC2:TGID_Z_EN: 0
; COMPUTE_PGM_RSRC2:TIDIG_COMP_CNT: 0
; COMPUTE_PGM_RSRC3_GFX90A:ACCUM_OFFSET: 11
; COMPUTE_PGM_RSRC3_GFX90A:TG_SPLIT: 0
	.section	.text._ZN2at6native12_GLOBAL__N_143distribution_elementwise_grid_stride_kernelIjLi4EZZZNS0_9templates4cuda21random_from_to_kernelIPNS_17CUDAGeneratorImplEEEvRNS_18TensorIteratorBaseEmlT_ENKUlvE_clEvENKUlvE5_clEvEUlP25hiprandStatePhilox4_32_10E0_ZNS1_27distribution_nullary_kernelIfj15HIP_vector_typeIjLj4EES7_SF_ZZZNS5_IS7_EEvS9_mlSA_ENKSB_clEvENKSC_clEvEUljE_EEvS9_T2_RKT3_T4_EUlijE0_EEvlNS_15PhiloxCudaStateET1_SK_,"axG",@progbits,_ZN2at6native12_GLOBAL__N_143distribution_elementwise_grid_stride_kernelIjLi4EZZZNS0_9templates4cuda21random_from_to_kernelIPNS_17CUDAGeneratorImplEEEvRNS_18TensorIteratorBaseEmlT_ENKUlvE_clEvENKUlvE5_clEvEUlP25hiprandStatePhilox4_32_10E0_ZNS1_27distribution_nullary_kernelIfj15HIP_vector_typeIjLj4EES7_SF_ZZZNS5_IS7_EEvS9_mlSA_ENKSB_clEvENKSC_clEvEUljE_EEvS9_T2_RKT3_T4_EUlijE0_EEvlNS_15PhiloxCudaStateET1_SK_,comdat
	.globl	_ZN2at6native12_GLOBAL__N_143distribution_elementwise_grid_stride_kernelIjLi4EZZZNS0_9templates4cuda21random_from_to_kernelIPNS_17CUDAGeneratorImplEEEvRNS_18TensorIteratorBaseEmlT_ENKUlvE_clEvENKUlvE5_clEvEUlP25hiprandStatePhilox4_32_10E0_ZNS1_27distribution_nullary_kernelIfj15HIP_vector_typeIjLj4EES7_SF_ZZZNS5_IS7_EEvS9_mlSA_ENKSB_clEvENKSC_clEvEUljE_EEvS9_T2_RKT3_T4_EUlijE0_EEvlNS_15PhiloxCudaStateET1_SK_ ; -- Begin function _ZN2at6native12_GLOBAL__N_143distribution_elementwise_grid_stride_kernelIjLi4EZZZNS0_9templates4cuda21random_from_to_kernelIPNS_17CUDAGeneratorImplEEEvRNS_18TensorIteratorBaseEmlT_ENKUlvE_clEvENKUlvE5_clEvEUlP25hiprandStatePhilox4_32_10E0_ZNS1_27distribution_nullary_kernelIfj15HIP_vector_typeIjLj4EES7_SF_ZZZNS5_IS7_EEvS9_mlSA_ENKSB_clEvENKSC_clEvEUljE_EEvS9_T2_RKT3_T4_EUlijE0_EEvlNS_15PhiloxCudaStateET1_SK_
	.p2align	8
	.type	_ZN2at6native12_GLOBAL__N_143distribution_elementwise_grid_stride_kernelIjLi4EZZZNS0_9templates4cuda21random_from_to_kernelIPNS_17CUDAGeneratorImplEEEvRNS_18TensorIteratorBaseEmlT_ENKUlvE_clEvENKUlvE5_clEvEUlP25hiprandStatePhilox4_32_10E0_ZNS1_27distribution_nullary_kernelIfj15HIP_vector_typeIjLj4EES7_SF_ZZZNS5_IS7_EEvS9_mlSA_ENKSB_clEvENKSC_clEvEUljE_EEvS9_T2_RKT3_T4_EUlijE0_EEvlNS_15PhiloxCudaStateET1_SK_,@function
_ZN2at6native12_GLOBAL__N_143distribution_elementwise_grid_stride_kernelIjLi4EZZZNS0_9templates4cuda21random_from_to_kernelIPNS_17CUDAGeneratorImplEEEvRNS_18TensorIteratorBaseEmlT_ENKUlvE_clEvENKUlvE5_clEvEUlP25hiprandStatePhilox4_32_10E0_ZNS1_27distribution_nullary_kernelIfj15HIP_vector_typeIjLj4EES7_SF_ZZZNS5_IS7_EEvS9_mlSA_ENKSB_clEvENKSC_clEvEUljE_EEvS9_T2_RKT3_T4_EUlijE0_EEvlNS_15PhiloxCudaStateET1_SK_: ; @_ZN2at6native12_GLOBAL__N_143distribution_elementwise_grid_stride_kernelIjLi4EZZZNS0_9templates4cuda21random_from_to_kernelIPNS_17CUDAGeneratorImplEEEvRNS_18TensorIteratorBaseEmlT_ENKUlvE_clEvENKUlvE5_clEvEUlP25hiprandStatePhilox4_32_10E0_ZNS1_27distribution_nullary_kernelIfj15HIP_vector_typeIjLj4EES7_SF_ZZZNS5_IS7_EEvS9_mlSA_ENKSB_clEvENKSC_clEvEUljE_EEvS9_T2_RKT3_T4_EUlijE0_EEvlNS_15PhiloxCudaStateET1_SK_
; %bb.0:
	s_load_dword s2, s[4:5], 0x20
	s_load_dwordx2 s[0:1], s[4:5], 0x10
	s_load_dwordx4 s[24:27], s[4:5], 0x0
	s_waitcnt lgkmcnt(0)
	s_bitcmp0_b32 s2, 0
	s_mov_b32 s2, 0
	v_pk_mov_b32 v[2:3], s[0:1], s[0:1] op_sel:[0,1]
	v_pk_mov_b32 v[14:15], s[26:27], s[26:27] op_sel:[0,1]
	s_cbranch_scc1 .LBB27_2
; %bb.1:
	v_pk_mov_b32 v[2:3], s[0:1], s[0:1] op_sel:[0,1]
	flat_load_dwordx2 v[2:3], v[2:3]
	v_pk_mov_b32 v[4:5], s[26:27], s[26:27] op_sel:[0,1]
	flat_load_dwordx2 v[14:15], v[4:5]
	s_load_dwordx2 s[0:1], s[4:5], 0x18
	s_waitcnt lgkmcnt(0)
	v_mov_b32_e32 v1, s1
	s_waitcnt vmcnt(0)
	v_add_co_u32_e32 v2, vcc, s0, v2
	v_addc_co_u32_e32 v3, vcc, v3, v1, vcc
.LBB27_2:
	s_load_dword s0, s[4:5], 0x15c
	s_load_dword s7, s[4:5], 0x150
	s_waitcnt lgkmcnt(0)
	s_and_b32 s8, s0, 0xffff
	s_add_u32 s9, s24, -1
	s_mul_i32 s33, s7, s8
	s_addc_u32 s3, s25, -1
	s_lshl_b32 s62, s33, 2
	s_cmp_lg_u64 s[2:3], 0
	s_mov_b64 s[0:1], -1
	s_cbranch_scc0 .LBB27_91
; %bb.3:
	v_cvt_f32_u32_e32 v1, s62
	v_cvt_f32_ubyte0_e32 v4, 0
	s_sub_u32 s2, 0, s62
	s_subb_u32 s10, 0, 0
	v_madmk_f32 v1, v4, 0x4f800000, v1
	v_rcp_f32_e32 v1, v1
	v_mul_f32_e32 v1, 0x5f7ffffc, v1
	v_mul_f32_e32 v4, 0x2f800000, v1
	v_trunc_f32_e32 v4, v4
	v_madmk_f32 v1, v4, 0xcf800000, v1
	v_cvt_u32_f32_e32 v4, v4
	v_cvt_u32_f32_e32 v1, v1
	v_readfirstlane_b32 s11, v4
	v_readfirstlane_b32 s12, v1
	s_mul_i32 s13, s2, s11
	s_mul_hi_u32 s15, s2, s12
	s_mul_i32 s14, s10, s12
	s_add_i32 s13, s15, s13
	s_add_i32 s13, s13, s14
	s_mul_i32 s16, s2, s12
	s_mul_hi_u32 s14, s12, s13
	s_mul_i32 s15, s12, s13
	s_mul_hi_u32 s12, s12, s16
	s_add_u32 s12, s12, s15
	s_addc_u32 s14, 0, s14
	s_mul_hi_u32 s17, s11, s16
	s_mul_i32 s16, s11, s16
	s_add_u32 s12, s12, s16
	s_mul_hi_u32 s15, s11, s13
	s_addc_u32 s12, s14, s17
	s_addc_u32 s14, s15, 0
	s_mul_i32 s13, s11, s13
	s_add_u32 s12, s12, s13
	s_addc_u32 s13, 0, s14
	v_add_co_u32_e32 v1, vcc, s12, v1
	s_cmp_lg_u64 vcc, 0
	s_addc_u32 s11, s11, s13
	v_readfirstlane_b32 s13, v1
	s_mul_i32 s12, s2, s11
	s_mul_hi_u32 s14, s2, s13
	s_add_i32 s12, s14, s12
	s_mul_i32 s10, s10, s13
	s_add_i32 s12, s12, s10
	s_mul_i32 s2, s2, s13
	s_mul_hi_u32 s14, s11, s2
	s_mul_i32 s15, s11, s2
	s_mul_i32 s17, s13, s12
	s_mul_hi_u32 s2, s13, s2
	s_mul_hi_u32 s16, s13, s12
	s_add_u32 s2, s2, s17
	s_addc_u32 s13, 0, s16
	s_add_u32 s2, s2, s15
	s_mul_hi_u32 s10, s11, s12
	s_addc_u32 s2, s13, s14
	s_addc_u32 s10, s10, 0
	s_mul_i32 s12, s11, s12
	s_add_u32 s2, s2, s12
	s_addc_u32 s10, 0, s10
	v_add_co_u32_e32 v1, vcc, s2, v1
	s_cmp_lg_u64 vcc, 0
	s_addc_u32 s12, s11, s10
	s_ashr_i32 s10, s3, 31
	s_add_u32 s2, s9, s10
	s_mov_b32 s11, s10
	s_addc_u32 s3, s3, s10
	s_xor_b64 s[2:3], s[2:3], s[10:11]
	v_readfirstlane_b32 s15, v1
	s_mul_i32 s14, s2, s12
	s_mul_hi_u32 s16, s2, s15
	s_mul_hi_u32 s13, s2, s12
	s_add_u32 s14, s16, s14
	s_addc_u32 s13, 0, s13
	s_mul_hi_u32 s17, s3, s15
	s_mul_i32 s15, s3, s15
	s_add_u32 s14, s14, s15
	s_mul_hi_u32 s16, s3, s12
	s_addc_u32 s13, s13, s17
	s_addc_u32 s14, s16, 0
	s_mul_i32 s12, s3, s12
	s_add_u32 s12, s13, s12
	s_addc_u32 s13, 0, s14
	s_add_u32 s14, s12, 1
	s_addc_u32 s15, s13, 0
	s_add_u32 s16, s12, 2
	s_mul_i32 s18, s62, s13
	s_mul_hi_u32 s19, s62, s12
	s_addc_u32 s17, s13, 0
	s_add_i32 s19, s19, s18
	s_mul_i32 s18, s62, s12
	v_mov_b32_e32 v1, s18
	v_sub_co_u32_e32 v1, vcc, s2, v1
	s_cmp_lg_u64 vcc, 0
	s_subb_u32 s2, s3, s19
	v_subrev_co_u32_e32 v4, vcc, s62, v1
	s_cmp_lg_u64 vcc, 0
	s_subb_u32 s3, s2, 0
	v_readfirstlane_b32 s18, v4
	s_cmp_ge_u32 s18, s62
	s_cselect_b32 s18, -1, 0
	s_cmp_eq_u32 s3, 0
	s_cselect_b32 s3, s18, -1
	s_cmp_lg_u32 s3, 0
	s_cselect_b32 s3, s17, s15
	v_readfirstlane_b32 s15, v1
	s_cselect_b32 s14, s16, s14
	s_cmp_ge_u32 s15, s62
	s_cselect_b32 s15, -1, 0
	s_cmp_eq_u32 s2, 0
	s_cselect_b32 s2, s15, -1
	s_cmp_lg_u32 s2, 0
	s_cselect_b32 s3, s3, s13
	s_cselect_b32 s2, s14, s12
	s_xor_b64 s[2:3], s[2:3], s[10:11]
	s_sub_u32 s2, s2, s10
	s_subb_u32 s3, s3, s10
	s_cbranch_execnz .LBB27_5
.LBB27_4:
	v_cvt_f32_u32_e32 v1, s62
	s_sub_i32 s0, 0, s62
	s_mov_b32 s3, 0
	v_rcp_iflag_f32_e32 v1, v1
	v_mul_f32_e32 v1, 0x4f7ffffe, v1
	v_cvt_u32_f32_e32 v1, v1
	v_readfirstlane_b32 s1, v1
	s_mul_i32 s0, s0, s1
	s_mul_hi_u32 s0, s1, s0
	s_add_i32 s1, s1, s0
	s_mul_hi_u32 s0, s9, s1
	s_mul_i32 s2, s0, s62
	s_sub_i32 s2, s9, s2
	s_add_i32 s1, s0, 1
	s_sub_i32 s9, s2, s62
	s_cmp_ge_u32 s2, s62
	s_cselect_b32 s0, s1, s0
	s_cselect_b32 s2, s9, s2
	s_add_i32 s1, s0, 1
	s_cmp_ge_u32 s2, s62
	s_cselect_b32 s2, s1, s0
.LBB27_5:
	v_mov_b32_e32 v1, 0
	v_mov_b32_e32 v4, s6
	v_mad_u64_u32 v[16:17], s[0:1], s8, v4, v[0:1]
	s_add_u32 s0, s2, 1
	s_addc_u32 s1, s3, 0
	s_mul_hi_u32 s2, s7, s8
	s_mul_i32 s1, s33, s1
	s_mul_hi_u32 s3, s33, s0
	s_add_i32 s1, s3, s1
	s_mul_i32 s2, s2, s0
	s_add_i32 s1, s1, s2
	s_mul_i32 s0, s33, s0
	s_lshl_b64 s[26:27], s[0:1], 2
	v_cmp_gt_i64_e32 vcc, s[26:27], v[16:17]
	s_and_saveexec_b64 s[0:1], vcc
	s_cbranch_execz .LBB27_90
; %bb.6:
	s_mov_b32 s0, 0x5384540f
	v_mov_b32_e32 v0, v15
	v_add_co_u32_e32 v24, vcc, s0, v14
	s_mov_b32 s0, 0x646e171e
	v_add_co_u32_e32 v25, vcc, s0, v0
	s_mov_b32 s0, 0x1715609d
	;; [unrolled: 2-line block ×6, first 2 shown]
	v_alignbit_b32 v31, v3, v2, 2
	s_mov_b32 s64, 0xd2511f53
	v_add_co_u32_e32 v30, vcc, s0, v14
	v_mad_u64_u32 v[4:5], s[0:1], v31, s64, 0
	v_and_b32_e32 v20, 3, v2
	v_xor_b32_e32 v2, v5, v15
	v_xor_b32_e32 v2, v2, v17
	s_mov_b32 s65, 0xcd9e8d57
	v_mad_u64_u32 v[6:7], s[0:1], v2, s65, 0
	v_xor_b32_e32 v2, v30, v7
	v_mad_u64_u32 v[8:9], s[0:1], v16, s65, 0
	v_xor_b32_e32 v2, v2, v8
	;; [unrolled: 2-line block ×3, first 2 shown]
	v_lshrrev_b32_e32 v32, 2, v3
	v_xor_b32_e32 v2, v2, v32
	v_xor_b32_e32 v5, v29, v11
	v_mad_u64_u32 v[2:3], s[0:1], v2, s64, 0
	v_xor_b32_e32 v2, v5, v2
	v_mad_u64_u32 v[8:9], s[0:1], v2, s65, 0
	s_mov_b32 s0, 0xbb67ae85
	v_add_co_u32_e32 v33, vcc, s0, v0
	v_xor_b32_e32 v2, v33, v3
	v_xor_b32_e32 v2, v2, v4
	v_xor_b32_e32 v5, v28, v9
	v_mad_u64_u32 v[2:3], s[0:1], v2, s65, 0
	v_xor_b32_e32 v2, v5, v2
	v_mad_u64_u32 v[4:5], s[0:1], v2, s64, 0
	s_mov_b32 s0, 0x3c6ef372
	v_add_co_u32_e32 v34, vcc, s0, v14
	v_xor_b32_e32 v2, v34, v3
	;; [unrolled: 8-line block ×6, first 2 shown]
	v_add_co_u32_e32 v23, vcc, 0xdb3d7428, v0
	v_xor_b32_e32 v2, v2, v6
	v_xor_b32_e32 v5, v23, v5
	v_mad_u64_u32 v[2:3], s[0:1], v2, s64, 0
	v_xor_b32_e32 v2, v5, v2
	v_mad_u64_u32 v[6:7], s[0:1], v2, s65, 0
	s_mov_b32 s0, 0x1fd5c5a3
	v_add_co_u32_e32 v39, vcc, s0, v0
	v_xor_b32_e32 v0, v39, v3
	v_xor_b32_e32 v0, v0, v10
	v_mad_u64_u32 v[2:3], s[0:1], v0, s65, 0
	s_mov_b32 s0, 0xf1bbcdc8
	s_load_dwordx8 s[8:15], s[4:5], 0x30
	v_add_u32_e32 v21, 0x8ff34781, v14
	v_xor_b32_e32 v0, v7, v2
	v_add_co_u32_e32 v40, vcc, s0, v14
	v_xor_b32_e32 v2, v21, v0
	v_xor_b32_e32 v0, v40, v3
	;; [unrolled: 1-line block ×3, first 2 shown]
	s_add_u32 s34, s4, 48
	v_mad_u64_u32 v[8:9], s[0:1], v0, s64, 0
	s_addc_u32 s35, s5, 0
	s_waitcnt lgkmcnt(0)
	s_add_i32 s0, s8, -1
	s_cmp_gt_u32 s0, 1
	s_cselect_b64 s[40:41], -1, 0
	s_cmp_lg_u32 s8, 0
	s_cselect_b64 s[42:43], -1, 0
	s_add_u32 s44, s4, 0xf4
	s_addc_u32 s45, s5, 0
	s_min_u32 s1, s0, 15
	s_cmp_gt_u32 s8, 1
	s_cselect_b64 s[46:47], -1, 0
	s_load_dwordx2 s[48:49], s[4:5], 0x148
	s_load_dwordx2 s[50:51], s[4:5], 0xf4
	s_load_dwordx4 s[28:31], s[4:5], 0x138
	s_add_i32 s1, s1, 1
	s_mov_b32 s8, s13
	s_lshl_b32 s13, s33, 1
	s_and_b32 s68, s1, 3
	s_cmp_lg_u32 s0, 2
	s_cselect_b64 s[52:53], -1, 0
	s_and_b32 s69, s1, 28
	s_mov_b32 s63, 0
	v_add_u32_e32 v22, 0x96a522ad, v15
	v_xor_b32_e32 v0, v9, v4
	s_cmp_lg_u32 s68, 0
	v_xor_b32_e32 v4, v22, v0
	v_mov_b32_e32 v3, v6
	v_mov_b32_e32 v5, v8
	s_mov_b32 s15, s63
	s_mul_i32 s66, s33, 3
	s_mov_b32 s67, s63
	s_mov_b64 s[54:55], 0
	s_cselect_b64 s[56:57], -1, 0
	v_mov_b32_e32 v41, v16
	v_mov_b32_e32 v42, v17
	s_branch .LBB27_9
.LBB27_7:                               ;   in Loop: Header=BB27_9 Depth=1
	s_or_b64 exec, exec, s[0:1]
	v_mov_b32_e32 v3, s49
	v_add_co_u32_e32 v4, vcc, s48, v0
	v_addc_co_u32_e32 v5, vcc, v1, v3, vcc
	v_xor_b32_e32 v0, v4, v5
	v_ashrrev_i32_e32 v0, 31, v0
	v_ffbh_i32_e32 v3, v5
	v_add_u32_e32 v0, 32, v0
	v_add_u32_e32 v3, -1, v3
	v_min_u32_e32 v0, v3, v0
	v_lshlrev_b64 v[4:5], v0, v[4:5]
	v_min_u32_e32 v3, 1, v4
	v_or_b32_e32 v3, v5, v3
	v_cvt_f32_i32_e32 v3, v3
	v_sub_u32_e32 v0, 32, v0
	v_ldexp_f32 v0, v3, v0
	global_store_dword v2, v0, s[28:29]
.LBB27_8:                               ;   in Loop: Header=BB27_9 Depth=1
	s_or_b64 exec, exec, s[36:37]
	v_add_co_u32_e32 v16, vcc, s62, v16
	v_addc_co_u32_e32 v17, vcc, 0, v17, vcc
	v_mov_b32_e32 v9, v18
	v_cmp_le_i64_e32 vcc, s[26:27], v[16:17]
	v_pk_mov_b32 v[2:3], v[6:7], v[6:7] op_sel:[0,1]
	s_or_b64 s[54:55], vcc, s[54:55]
	v_pk_mov_b32 v[4:5], v[8:9], v[8:9] op_sel:[0,1]
	s_waitcnt lgkmcnt(0)
	s_barrier
	s_andn2_b64 exec, exec, s[54:55]
	s_cbranch_execz .LBB27_90
.LBB27_9:                               ; =>This Loop Header: Depth=1
                                        ;     Child Loop BB27_24 Depth 2
                                        ;     Child Loop BB27_30 Depth 2
	;; [unrolled: 1-line block ×8, first 2 shown]
	v_add_co_u32_e32 v31, vcc, 1, v31
	v_cndmask_b32_e64 v0, 0, 1, vcc
	v_addc_co_u32_e32 v32, vcc, 0, v32, vcc
	v_cmp_eq_u32_e32 vcc, 0, v32
	v_cndmask_b32_e32 v0, 0, v0, vcc
	v_add_u32_e32 v41, v0, v41
	v_cmp_eq_u32_e32 vcc, 0, v41
	v_cndmask_b32_e32 v0, 0, v0, vcc
	v_mad_u64_u32 v[6:7], s[0:1], v31, s64, 0
	v_mad_u64_u32 v[8:9], s[0:1], v41, s65, 0
	v_add_u32_e32 v42, v0, v42
	v_xor_b32_e32 v0, v9, v14
	v_xor_b32_e32 v7, v7, v15
	v_xor_b32_e32 v0, v32, v0
	v_xor_b32_e32 v7, v42, v7
	v_mad_u64_u32 v[10:11], s[0:1], v0, s64, 0
	v_mad_u64_u32 v[12:13], s[0:1], v7, s65, 0
	v_xor_b32_e32 v0, v30, v13
	v_xor_b32_e32 v7, v33, v11
	v_xor_b32_e32 v0, v0, v8
	v_xor_b32_e32 v8, v7, v6
	v_mad_u64_u32 v[6:7], s[0:1], v0, s64, 0
	v_mad_u64_u32 v[8:9], s[0:1], v8, s65, 0
	;; [unrolled: 6-line block ×9, first 2 shown]
	v_xor_b32_e32 v0, v13, v6
	v_xor_b32_e32 v6, v21, v0
	;; [unrolled: 1-line block ×4, first 2 shown]
	v_mov_b32_e32 v7, v12
	v_mov_b32_e32 v8, v13
	v_cmp_lt_i32_e32 vcc, 1, v20
	s_and_saveexec_b64 s[0:1], vcc
	s_xor_b64 s[0:1], exec, s[0:1]
	s_cbranch_execz .LBB27_15
; %bb.10:                               ;   in Loop: Header=BB27_9 Depth=1
	v_cmp_lt_i32_e32 vcc, 2, v20
	s_and_saveexec_b64 s[2:3], vcc
	s_xor_b64 s[2:3], exec, s[2:3]
; %bb.11:                               ;   in Loop: Header=BB27_9 Depth=1
	v_mov_b32_e32 v10, v5
	v_mov_b32_e32 v11, v6
	v_pk_mov_b32 v[2:3], v[10:11], v[10:11] op_sel:[0,1]
	v_pk_mov_b32 v[4:5], v[12:13], v[12:13] op_sel:[0,1]
                                        ; implicit-def: $vgpr12_vgpr13
; %bb.12:                               ;   in Loop: Header=BB27_9 Depth=1
	s_andn2_saveexec_b64 s[2:3], s[2:3]
; %bb.13:                               ;   in Loop: Header=BB27_9 Depth=1
	v_mov_b32_e32 v2, v4
	v_mov_b32_e32 v3, v5
	;; [unrolled: 1-line block ×4, first 2 shown]
; %bb.14:                               ;   in Loop: Header=BB27_9 Depth=1
	s_or_b64 exec, exec, s[2:3]
.LBB27_15:                              ;   in Loop: Header=BB27_9 Depth=1
	s_andn2_saveexec_b64 s[0:1], s[0:1]
	s_cbranch_execz .LBB27_19
; %bb.16:                               ;   in Loop: Header=BB27_9 Depth=1
	v_cmp_eq_u32_e32 vcc, 1, v20
	s_and_saveexec_b64 s[2:3], vcc
; %bb.17:                               ;   in Loop: Header=BB27_9 Depth=1
	v_mov_b32_e32 v2, v3
	v_mov_b32_e32 v3, v4
	;; [unrolled: 1-line block ×4, first 2 shown]
; %bb.18:                               ;   in Loop: Header=BB27_9 Depth=1
	s_or_b64 exec, exec, s[2:3]
.LBB27_19:                              ;   in Loop: Header=BB27_9 Depth=1
	s_or_b64 exec, exec, s[0:1]
	v_cndmask_b32_e64 v0, 0, 1, s[40:41]
	v_cmp_gt_i64_e32 vcc, s[24:25], v[16:17]
	v_cmp_ne_u32_e64 s[0:1], 1, v0
	s_and_saveexec_b64 s[2:3], vcc
	s_cbranch_execz .LBB27_37
; %bb.20:                               ;   in Loop: Header=BB27_9 Depth=1
	s_and_b64 vcc, exec, s[0:1]
	s_cbranch_vccnz .LBB27_26
; %bb.21:                               ;   in Loop: Header=BB27_9 Depth=1
	s_andn2_b64 vcc, exec, s[42:43]
	s_cbranch_vccnz .LBB27_27
; %bb.22:                               ;   in Loop: Header=BB27_9 Depth=1
	s_mov_b32 s6, 0
	s_andn2_b64 vcc, exec, s[52:53]
	v_mov_b32_e32 v10, 0
	s_cbranch_vccnz .LBB27_28
; %bb.23:                               ;   in Loop: Header=BB27_9 Depth=1
	s_mov_b32 s70, 0
	v_mov_b32_e32 v10, 0
	s_mov_b64 s[58:59], s[34:35]
	s_mov_b64 s[60:61], s[44:45]
	v_mov_b32_e32 v0, v16
.LBB27_24:                              ;   Parent Loop BB27_9 Depth=1
                                        ; =>  This Inner Loop Header: Depth=2
	s_load_dwordx8 s[16:23], s[58:59], 0x4
	s_load_dwordx4 s[4:7], s[58:59], 0x24
	s_load_dwordx4 s[36:39], s[60:61], 0x0
	s_add_u32 s58, s58, 48
	s_addc_u32 s59, s59, 0
	s_waitcnt lgkmcnt(0)
	v_mul_hi_u32 v9, s17, v0
	v_add_u32_e32 v9, v0, v9
	v_lshrrev_b32_e32 v9, s18, v9
	v_mul_lo_u32 v11, v9, s16
	v_mul_hi_u32 v12, s20, v9
	v_sub_u32_e32 v0, v0, v11
	v_add_u32_e32 v11, v9, v12
	v_lshrrev_b32_e32 v11, s21, v11
	v_mul_lo_u32 v12, v11, s19
	v_mul_hi_u32 v13, s23, v11
	v_sub_u32_e32 v9, v9, v12
	v_add_u32_e32 v12, v11, v13
	v_mul_lo_u32 v0, v0, s36
	v_mul_lo_u32 v9, v9, s37
	v_lshrrev_b32_e32 v12, s4, v12
	v_add3_u32 v9, v0, v10, v9
	v_mul_lo_u32 v0, v12, s22
	v_mul_hi_u32 v10, s6, v12
	v_sub_u32_e32 v0, v11, v0
	v_add_u32_e32 v10, v12, v10
	v_mul_lo_u32 v11, v0, s38
	v_lshrrev_b32_e32 v0, s7, v10
	s_add_i32 s70, s70, 4
	v_mul_lo_u32 v10, v0, s5
	s_add_u32 s60, s60, 16
	v_sub_u32_e32 v10, v12, v10
	s_addc_u32 s61, s61, 0
	v_mul_lo_u32 v10, v10, s39
	s_cmp_lg_u32 s69, s70
	v_add3_u32 v10, v11, v9, v10
	s_cbranch_scc1 .LBB27_24
; %bb.25:                               ;   in Loop: Header=BB27_9 Depth=1
	s_mov_b32 s6, s69
	s_andn2_b64 vcc, exec, s[56:57]
	s_cbranch_vccz .LBB27_29
	s_branch .LBB27_31
.LBB27_26:                              ;   in Loop: Header=BB27_9 Depth=1
                                        ; implicit-def: $vgpr10
	s_branch .LBB27_32
.LBB27_27:                              ;   in Loop: Header=BB27_9 Depth=1
	v_mov_b32_e32 v10, 0
	s_branch .LBB27_31
.LBB27_28:                              ;   in Loop: Header=BB27_9 Depth=1
	v_mov_b32_e32 v0, v16
	s_andn2_b64 vcc, exec, s[56:57]
	s_cbranch_vccnz .LBB27_31
.LBB27_29:                              ;   in Loop: Header=BB27_9 Depth=1
	s_lshl_b32 s4, s6, 2
	s_add_u32 s4, s44, s4
	s_addc_u32 s5, s45, 0
	s_mul_i32 s6, s6, 12
	s_add_u32 s6, s34, s6
	s_addc_u32 s7, s35, 0
	s_mov_b32 s16, s68
.LBB27_30:                              ;   Parent Loop BB27_9 Depth=1
                                        ; =>  This Inner Loop Header: Depth=2
	s_load_dwordx2 s[18:19], s[6:7], 0x4
	s_load_dword s17, s[6:7], 0xc
	s_load_dword s20, s[4:5], 0x0
	s_add_u32 s6, s6, 12
	s_addc_u32 s7, s7, 0
	s_waitcnt lgkmcnt(0)
	v_mul_hi_u32 v9, s19, v0
	v_add_u32_e32 v9, v0, v9
	v_lshrrev_b32_e32 v9, s17, v9
	s_add_u32 s4, s4, 4
	v_mul_lo_u32 v11, v9, s18
	s_addc_u32 s5, s5, 0
	s_add_i32 s16, s16, -1
	v_sub_u32_e32 v11, v0, v11
	s_cmp_lg_u32 s16, 0
	v_mov_b32_e32 v0, v9
	v_mad_u64_u32 v[10:11], s[18:19], v11, s20, v[10:11]
	s_cbranch_scc1 .LBB27_30
.LBB27_31:                              ;   in Loop: Header=BB27_9 Depth=1
	s_cbranch_execnz .LBB27_34
.LBB27_32:                              ;   in Loop: Header=BB27_9 Depth=1
	v_mul_hi_u32 v0, v16, s10
	v_add_u32_e32 v0, v0, v16
	v_lshrrev_b32_e32 v0, s11, v0
	v_mul_lo_u32 v9, v0, s9
	v_sub_u32_e32 v9, v16, v9
	s_andn2_b64 vcc, exec, s[46:47]
	s_waitcnt lgkmcnt(0)
	v_mul_lo_u32 v10, v9, s50
	s_cbranch_vccnz .LBB27_34
; %bb.33:                               ;   in Loop: Header=BB27_9 Depth=1
	v_mul_hi_u32 v9, s8, v0
	v_add_u32_e32 v9, v0, v9
	v_lshrrev_b32_e32 v9, s14, v9
	v_mul_lo_u32 v9, v9, s12
	v_sub_u32_e32 v0, v0, v9
	v_mad_u64_u32 v[10:11], s[4:5], v0, s51, v[10:11]
.LBB27_34:                              ;   in Loop: Header=BB27_9 Depth=1
	v_mov_b32_e32 v0, v2
	s_waitcnt lgkmcnt(0)
	v_cmp_le_u64_e32 vcc, s[30:31], v[0:1]
	s_and_saveexec_b64 s[4:5], vcc
	s_cbranch_execz .LBB27_36
; %bb.35:                               ;   in Loop: Header=BB27_9 Depth=1
	v_cvt_f32_u32_e32 v2, s30
	s_sub_i32 s6, 0, s30
	v_rcp_iflag_f32_e32 v2, v2
	v_mul_f32_e32 v2, 0x4f7ffffe, v2
	v_cvt_u32_f32_e32 v2, v2
	v_mul_lo_u32 v9, s6, v2
	v_mul_hi_u32 v9, v2, v9
	v_add_u32_e32 v2, v2, v9
	v_mul_hi_u32 v2, v0, v2
	v_mul_lo_u32 v2, v2, s30
	v_sub_u32_e32 v0, v0, v2
	v_subrev_u32_e32 v2, s30, v0
	v_cmp_le_u32_e32 vcc, s30, v0
	v_cndmask_b32_e32 v0, v0, v2, vcc
	v_subrev_u32_e32 v2, s30, v0
	v_cmp_le_u32_e32 vcc, s30, v0
	v_cndmask_b32_e32 v0, v0, v2, vcc
.LBB27_36:                              ;   in Loop: Header=BB27_9 Depth=1
	s_or_b64 exec, exec, s[4:5]
	v_mov_b32_e32 v2, s49
	v_add_co_u32_e32 v12, vcc, s48, v0
	v_addc_co_u32_e32 v13, vcc, v1, v2, vcc
	v_xor_b32_e32 v0, v12, v13
	v_ashrrev_i32_e32 v0, 31, v0
	v_ffbh_i32_e32 v2, v13
	v_add_u32_e32 v0, 32, v0
	v_add_u32_e32 v2, -1, v2
	v_min_u32_e32 v0, v2, v0
	v_lshlrev_b64 v[12:13], v0, v[12:13]
	v_min_u32_e32 v2, 1, v12
	v_or_b32_e32 v2, v13, v2
	v_cvt_f32_i32_e32 v2, v2
	v_sub_u32_e32 v0, 32, v0
	v_ldexp_f32 v0, v2, v0
	global_store_dword v10, v0, s[28:29]
.LBB27_37:                              ;   in Loop: Header=BB27_9 Depth=1
	s_or_b64 exec, exec, s[2:3]
	v_mov_b32_e32 v0, s63
	v_add_co_u32_e32 v12, vcc, s33, v16
	v_addc_co_u32_e32 v13, vcc, v17, v0, vcc
	v_cmp_gt_i64_e32 vcc, s[24:25], v[12:13]
	s_and_saveexec_b64 s[2:3], vcc
	s_cbranch_execz .LBB27_55
; %bb.38:                               ;   in Loop: Header=BB27_9 Depth=1
	s_and_b64 vcc, exec, s[0:1]
	s_cbranch_vccnz .LBB27_44
; %bb.39:                               ;   in Loop: Header=BB27_9 Depth=1
	s_andn2_b64 vcc, exec, s[42:43]
	s_cbranch_vccnz .LBB27_45
; %bb.40:                               ;   in Loop: Header=BB27_9 Depth=1
	s_mov_b32 s6, 0
	s_andn2_b64 vcc, exec, s[52:53]
	v_mov_b32_e32 v10, 0
	s_cbranch_vccnz .LBB27_46
; %bb.41:                               ;   in Loop: Header=BB27_9 Depth=1
	s_mov_b32 s70, 0
	v_mov_b32_e32 v10, 0
	s_mov_b64 s[58:59], s[34:35]
	s_mov_b64 s[60:61], s[44:45]
	v_mov_b32_e32 v0, v12
.LBB27_42:                              ;   Parent Loop BB27_9 Depth=1
                                        ; =>  This Inner Loop Header: Depth=2
	s_load_dwordx8 s[16:23], s[58:59], 0x4
	s_load_dwordx4 s[4:7], s[58:59], 0x24
	s_load_dwordx4 s[36:39], s[60:61], 0x0
	s_add_u32 s58, s58, 48
	s_addc_u32 s59, s59, 0
	s_waitcnt lgkmcnt(0)
	v_mul_hi_u32 v2, s17, v0
	v_add_u32_e32 v2, v0, v2
	v_lshrrev_b32_e32 v2, s18, v2
	v_mul_lo_u32 v9, v2, s16
	v_mul_hi_u32 v11, s20, v2
	v_sub_u32_e32 v0, v0, v9
	v_add_u32_e32 v9, v2, v11
	v_lshrrev_b32_e32 v9, s21, v9
	v_mul_lo_u32 v11, v9, s19
	v_mul_hi_u32 v13, s23, v9
	v_sub_u32_e32 v2, v2, v11
	v_add_u32_e32 v11, v9, v13
	v_mul_lo_u32 v0, v0, s36
	v_mul_lo_u32 v2, v2, s37
	v_lshrrev_b32_e32 v11, s4, v11
	v_add3_u32 v2, v0, v10, v2
	v_mul_lo_u32 v0, v11, s22
	v_mul_hi_u32 v10, s6, v11
	v_sub_u32_e32 v0, v9, v0
	v_add_u32_e32 v9, v11, v10
	v_mul_lo_u32 v10, v0, s38
	v_lshrrev_b32_e32 v0, s7, v9
	s_add_i32 s70, s70, 4
	v_mul_lo_u32 v9, v0, s5
	s_add_u32 s60, s60, 16
	v_sub_u32_e32 v9, v11, v9
	s_addc_u32 s61, s61, 0
	v_mul_lo_u32 v9, v9, s39
	s_cmp_eq_u32 s69, s70
	v_add3_u32 v10, v10, v2, v9
	s_cbranch_scc0 .LBB27_42
; %bb.43:                               ;   in Loop: Header=BB27_9 Depth=1
	s_mov_b32 s6, s69
	s_andn2_b64 vcc, exec, s[56:57]
	s_cbranch_vccz .LBB27_47
	s_branch .LBB27_49
.LBB27_44:                              ;   in Loop: Header=BB27_9 Depth=1
                                        ; implicit-def: $vgpr10
	s_branch .LBB27_50
.LBB27_45:                              ;   in Loop: Header=BB27_9 Depth=1
	v_mov_b32_e32 v10, 0
	s_branch .LBB27_49
.LBB27_46:                              ;   in Loop: Header=BB27_9 Depth=1
	v_mov_b32_e32 v0, v12
	s_andn2_b64 vcc, exec, s[56:57]
	s_cbranch_vccnz .LBB27_49
.LBB27_47:                              ;   in Loop: Header=BB27_9 Depth=1
	s_lshl_b32 s4, s6, 2
	s_add_u32 s4, s44, s4
	s_addc_u32 s5, s45, 0
	s_mul_i32 s6, s6, 12
	s_add_u32 s6, s34, s6
	s_addc_u32 s7, s35, 0
	s_mov_b32 s16, s68
.LBB27_48:                              ;   Parent Loop BB27_9 Depth=1
                                        ; =>  This Inner Loop Header: Depth=2
	s_load_dwordx2 s[18:19], s[6:7], 0x4
	s_load_dword s17, s[6:7], 0xc
	s_load_dword s20, s[4:5], 0x0
	s_add_u32 s6, s6, 12
	s_addc_u32 s7, s7, 0
	s_waitcnt lgkmcnt(0)
	v_mul_hi_u32 v2, s19, v0
	v_add_u32_e32 v2, v0, v2
	v_lshrrev_b32_e32 v2, s17, v2
	s_add_u32 s4, s4, 4
	v_mul_lo_u32 v9, v2, s18
	s_addc_u32 s5, s5, 0
	s_add_i32 s16, s16, -1
	v_sub_u32_e32 v9, v0, v9
	s_cmp_lg_u32 s16, 0
	v_mov_b32_e32 v0, v2
	v_mad_u64_u32 v[10:11], s[18:19], v9, s20, v[10:11]
	s_cbranch_scc1 .LBB27_48
.LBB27_49:                              ;   in Loop: Header=BB27_9 Depth=1
	s_cbranch_execnz .LBB27_52
.LBB27_50:                              ;   in Loop: Header=BB27_9 Depth=1
	v_mul_hi_u32 v0, v12, s10
	v_add_u32_e32 v0, v0, v12
	v_lshrrev_b32_e32 v0, s11, v0
	v_mul_lo_u32 v2, v0, s9
	v_sub_u32_e32 v2, v12, v2
	s_andn2_b64 vcc, exec, s[46:47]
	s_waitcnt lgkmcnt(0)
	v_mul_lo_u32 v10, v2, s50
	s_cbranch_vccnz .LBB27_52
; %bb.51:                               ;   in Loop: Header=BB27_9 Depth=1
	v_mul_hi_u32 v2, s8, v0
	v_add_u32_e32 v2, v0, v2
	v_lshrrev_b32_e32 v2, s14, v2
	v_mul_lo_u32 v2, v2, s12
	v_sub_u32_e32 v0, v0, v2
	v_mad_u64_u32 v[10:11], s[4:5], v0, s51, v[10:11]
.LBB27_52:                              ;   in Loop: Header=BB27_9 Depth=1
	v_mov_b32_e32 v0, v3
	s_waitcnt lgkmcnt(0)
	v_cmp_le_u64_e32 vcc, s[30:31], v[0:1]
	s_and_saveexec_b64 s[4:5], vcc
	s_cbranch_execz .LBB27_54
; %bb.53:                               ;   in Loop: Header=BB27_9 Depth=1
	v_cvt_f32_u32_e32 v2, s30
	s_sub_i32 s6, 0, s30
	v_rcp_iflag_f32_e32 v2, v2
	v_mul_f32_e32 v2, 0x4f7ffffe, v2
	v_cvt_u32_f32_e32 v2, v2
	v_mul_lo_u32 v3, s6, v2
	v_mul_hi_u32 v3, v2, v3
	v_add_u32_e32 v2, v2, v3
	v_mul_hi_u32 v2, v0, v2
	v_mul_lo_u32 v2, v2, s30
	v_sub_u32_e32 v0, v0, v2
	v_subrev_u32_e32 v2, s30, v0
	v_cmp_le_u32_e32 vcc, s30, v0
	v_cndmask_b32_e32 v0, v0, v2, vcc
	v_subrev_u32_e32 v2, s30, v0
	v_cmp_le_u32_e32 vcc, s30, v0
	v_cndmask_b32_e32 v0, v0, v2, vcc
.LBB27_54:                              ;   in Loop: Header=BB27_9 Depth=1
	s_or_b64 exec, exec, s[4:5]
	v_mov_b32_e32 v3, s49
	v_add_co_u32_e32 v2, vcc, s48, v0
	v_addc_co_u32_e32 v3, vcc, v1, v3, vcc
	v_xor_b32_e32 v0, v2, v3
	v_ashrrev_i32_e32 v0, 31, v0
	v_ffbh_i32_e32 v9, v3
	v_add_u32_e32 v0, 32, v0
	v_add_u32_e32 v9, -1, v9
	v_min_u32_e32 v0, v9, v0
	v_lshlrev_b64 v[2:3], v0, v[2:3]
	v_min_u32_e32 v2, 1, v2
	v_or_b32_e32 v2, v3, v2
	v_cvt_f32_i32_e32 v2, v2
	v_sub_u32_e32 v0, 32, v0
	v_ldexp_f32 v0, v2, v0
	global_store_dword v10, v0, s[28:29]
.LBB27_55:                              ;   in Loop: Header=BB27_9 Depth=1
	s_or_b64 exec, exec, s[2:3]
	v_mov_b32_e32 v0, s15
	v_add_co_u32_e32 v10, vcc, s13, v16
	v_addc_co_u32_e32 v11, vcc, v17, v0, vcc
	v_cmp_gt_i64_e32 vcc, s[24:25], v[10:11]
	s_and_saveexec_b64 s[2:3], vcc
	s_cbranch_execz .LBB27_73
; %bb.56:                               ;   in Loop: Header=BB27_9 Depth=1
	s_and_b64 vcc, exec, s[0:1]
	s_cbranch_vccnz .LBB27_62
; %bb.57:                               ;   in Loop: Header=BB27_9 Depth=1
	s_andn2_b64 vcc, exec, s[42:43]
	s_cbranch_vccnz .LBB27_63
; %bb.58:                               ;   in Loop: Header=BB27_9 Depth=1
	s_mov_b32 s6, 0
	s_andn2_b64 vcc, exec, s[52:53]
	v_mov_b32_e32 v2, 0
	s_cbranch_vccnz .LBB27_64
; %bb.59:                               ;   in Loop: Header=BB27_9 Depth=1
	s_mov_b32 s70, 0
	v_mov_b32_e32 v2, 0
	s_mov_b64 s[58:59], s[34:35]
	s_mov_b64 s[60:61], s[44:45]
	v_mov_b32_e32 v0, v10
.LBB27_60:                              ;   Parent Loop BB27_9 Depth=1
                                        ; =>  This Inner Loop Header: Depth=2
	s_load_dwordx8 s[16:23], s[58:59], 0x4
	s_load_dwordx4 s[4:7], s[58:59], 0x24
	s_load_dwordx4 s[36:39], s[60:61], 0x0
	s_add_u32 s58, s58, 48
	s_addc_u32 s59, s59, 0
	s_waitcnt lgkmcnt(0)
	v_mul_hi_u32 v3, s17, v0
	v_add_u32_e32 v3, v0, v3
	v_lshrrev_b32_e32 v3, s18, v3
	v_mul_lo_u32 v9, v3, s16
	v_mul_hi_u32 v11, s20, v3
	v_sub_u32_e32 v0, v0, v9
	v_add_u32_e32 v9, v3, v11
	v_lshrrev_b32_e32 v9, s21, v9
	v_mul_lo_u32 v11, v9, s19
	v_mul_hi_u32 v12, s23, v9
	v_sub_u32_e32 v3, v3, v11
	v_add_u32_e32 v11, v9, v12
	v_mul_lo_u32 v0, v0, s36
	v_mul_lo_u32 v3, v3, s37
	v_lshrrev_b32_e32 v11, s4, v11
	v_add3_u32 v2, v0, v2, v3
	v_mul_lo_u32 v0, v11, s22
	v_mul_hi_u32 v3, s6, v11
	v_sub_u32_e32 v0, v9, v0
	v_add_u32_e32 v3, v11, v3
	v_mul_lo_u32 v9, v0, s38
	v_lshrrev_b32_e32 v0, s7, v3
	s_add_i32 s70, s70, 4
	v_mul_lo_u32 v3, v0, s5
	s_add_u32 s60, s60, 16
	v_sub_u32_e32 v3, v11, v3
	s_addc_u32 s61, s61, 0
	v_mul_lo_u32 v3, v3, s39
	s_cmp_eq_u32 s69, s70
	v_add3_u32 v2, v9, v2, v3
	s_cbranch_scc0 .LBB27_60
; %bb.61:                               ;   in Loop: Header=BB27_9 Depth=1
	s_mov_b32 s6, s69
	s_andn2_b64 vcc, exec, s[56:57]
	s_cbranch_vccz .LBB27_65
	s_branch .LBB27_67
.LBB27_62:                              ;   in Loop: Header=BB27_9 Depth=1
                                        ; implicit-def: $vgpr2
	s_branch .LBB27_68
.LBB27_63:                              ;   in Loop: Header=BB27_9 Depth=1
	v_mov_b32_e32 v2, 0
	s_branch .LBB27_67
.LBB27_64:                              ;   in Loop: Header=BB27_9 Depth=1
	v_mov_b32_e32 v0, v10
	s_andn2_b64 vcc, exec, s[56:57]
	s_cbranch_vccnz .LBB27_67
.LBB27_65:                              ;   in Loop: Header=BB27_9 Depth=1
	s_lshl_b32 s4, s6, 2
	s_add_u32 s4, s44, s4
	s_addc_u32 s5, s45, 0
	s_mul_i32 s6, s6, 12
	s_add_u32 s6, s34, s6
	s_addc_u32 s7, s35, 0
	s_mov_b32 s16, s68
.LBB27_66:                              ;   Parent Loop BB27_9 Depth=1
                                        ; =>  This Inner Loop Header: Depth=2
	s_load_dwordx2 s[18:19], s[6:7], 0x4
	s_load_dword s17, s[6:7], 0xc
	s_load_dword s20, s[4:5], 0x0
	s_add_u32 s6, s6, 12
	s_addc_u32 s7, s7, 0
	s_waitcnt lgkmcnt(0)
	v_mul_hi_u32 v3, s19, v0
	v_add_u32_e32 v3, v0, v3
	v_lshrrev_b32_e32 v3, s17, v3
	s_add_u32 s4, s4, 4
	v_mul_lo_u32 v9, v3, s18
	s_addc_u32 s5, s5, 0
	s_add_i32 s16, s16, -1
	v_sub_u32_e32 v9, v0, v9
	s_cmp_lg_u32 s16, 0
	v_mov_b32_e32 v0, v3
	v_mad_u64_u32 v[2:3], s[18:19], v9, s20, v[2:3]
	s_cbranch_scc1 .LBB27_66
.LBB27_67:                              ;   in Loop: Header=BB27_9 Depth=1
	s_cbranch_execnz .LBB27_70
.LBB27_68:                              ;   in Loop: Header=BB27_9 Depth=1
	v_mul_hi_u32 v0, v10, s10
	v_add_u32_e32 v0, v0, v10
	v_lshrrev_b32_e32 v0, s11, v0
	v_mul_lo_u32 v2, v0, s9
	v_sub_u32_e32 v2, v10, v2
	s_andn2_b64 vcc, exec, s[46:47]
	s_waitcnt lgkmcnt(0)
	v_mul_lo_u32 v2, v2, s50
	s_cbranch_vccnz .LBB27_70
; %bb.69:                               ;   in Loop: Header=BB27_9 Depth=1
	v_mul_hi_u32 v3, s8, v0
	v_add_u32_e32 v3, v0, v3
	v_lshrrev_b32_e32 v3, s14, v3
	v_mul_lo_u32 v3, v3, s12
	v_sub_u32_e32 v0, v0, v3
	v_mad_u64_u32 v[2:3], s[4:5], v0, s51, v[2:3]
.LBB27_70:                              ;   in Loop: Header=BB27_9 Depth=1
	v_mov_b32_e32 v0, v4
	s_waitcnt lgkmcnt(0)
	v_cmp_le_u64_e32 vcc, s[30:31], v[0:1]
	s_and_saveexec_b64 s[4:5], vcc
	s_cbranch_execz .LBB27_72
; %bb.71:                               ;   in Loop: Header=BB27_9 Depth=1
	v_cvt_f32_u32_e32 v3, s30
	s_sub_i32 s6, 0, s30
	v_rcp_iflag_f32_e32 v3, v3
	v_mul_f32_e32 v3, 0x4f7ffffe, v3
	v_cvt_u32_f32_e32 v3, v3
	v_mul_lo_u32 v4, s6, v3
	v_mul_hi_u32 v4, v3, v4
	v_add_u32_e32 v3, v3, v4
	v_mul_hi_u32 v3, v0, v3
	v_mul_lo_u32 v3, v3, s30
	v_sub_u32_e32 v0, v0, v3
	v_subrev_u32_e32 v3, s30, v0
	v_cmp_le_u32_e32 vcc, s30, v0
	v_cndmask_b32_e32 v0, v0, v3, vcc
	v_subrev_u32_e32 v3, s30, v0
	v_cmp_le_u32_e32 vcc, s30, v0
	v_cndmask_b32_e32 v0, v0, v3, vcc
.LBB27_72:                              ;   in Loop: Header=BB27_9 Depth=1
	s_or_b64 exec, exec, s[4:5]
	v_mov_b32_e32 v3, s49
	v_add_co_u32_e32 v10, vcc, s48, v0
	v_addc_co_u32_e32 v11, vcc, v1, v3, vcc
	v_xor_b32_e32 v0, v10, v11
	v_ashrrev_i32_e32 v0, 31, v0
	v_ffbh_i32_e32 v3, v11
	v_add_u32_e32 v0, 32, v0
	v_add_u32_e32 v3, -1, v3
	v_min_u32_e32 v0, v3, v0
	v_lshlrev_b64 v[10:11], v0, v[10:11]
	v_min_u32_e32 v3, 1, v10
	v_or_b32_e32 v3, v11, v3
	v_cvt_f32_i32_e32 v3, v3
	v_sub_u32_e32 v0, 32, v0
	v_ldexp_f32 v0, v3, v0
	global_store_dword v2, v0, s[28:29]
.LBB27_73:                              ;   in Loop: Header=BB27_9 Depth=1
	s_or_b64 exec, exec, s[2:3]
	v_mov_b32_e32 v0, s67
	v_add_co_u32_e32 v10, vcc, s66, v16
	v_addc_co_u32_e32 v11, vcc, v17, v0, vcc
	v_cmp_gt_i64_e32 vcc, s[24:25], v[10:11]
	s_and_saveexec_b64 s[36:37], vcc
	s_cbranch_execz .LBB27_8
; %bb.74:                               ;   in Loop: Header=BB27_9 Depth=1
	s_and_b64 vcc, exec, s[0:1]
	s_cbranch_vccnz .LBB27_80
; %bb.75:                               ;   in Loop: Header=BB27_9 Depth=1
	s_andn2_b64 vcc, exec, s[42:43]
	s_cbranch_vccnz .LBB27_81
; %bb.76:                               ;   in Loop: Header=BB27_9 Depth=1
	s_mov_b32 s2, 0
	s_andn2_b64 vcc, exec, s[52:53]
	v_mov_b32_e32 v2, 0
	s_cbranch_vccnz .LBB27_82
; %bb.77:                               ;   in Loop: Header=BB27_9 Depth=1
	s_mov_b32 s60, 0
	v_mov_b32_e32 v2, 0
	s_mov_b64 s[38:39], s[34:35]
	s_mov_b64 s[58:59], s[44:45]
	v_mov_b32_e32 v0, v10
.LBB27_78:                              ;   Parent Loop BB27_9 Depth=1
                                        ; =>  This Inner Loop Header: Depth=2
	s_load_dwordx8 s[0:7], s[38:39], 0x4
	s_load_dwordx4 s[16:19], s[38:39], 0x24
	s_load_dwordx4 s[20:23], s[58:59], 0x0
	s_add_u32 s38, s38, 48
	s_addc_u32 s39, s39, 0
	s_waitcnt lgkmcnt(0)
	v_mul_hi_u32 v3, s1, v0
	v_add_u32_e32 v3, v0, v3
	v_lshrrev_b32_e32 v3, s2, v3
	v_mul_lo_u32 v4, v3, s0
	v_mul_hi_u32 v9, s4, v3
	v_sub_u32_e32 v0, v0, v4
	v_add_u32_e32 v4, v3, v9
	v_lshrrev_b32_e32 v4, s5, v4
	v_mul_lo_u32 v9, v4, s3
	v_mul_hi_u32 v11, s7, v4
	v_sub_u32_e32 v3, v3, v9
	v_add_u32_e32 v9, v4, v11
	v_mul_lo_u32 v0, v0, s20
	v_mul_lo_u32 v3, v3, s21
	v_lshrrev_b32_e32 v9, s16, v9
	v_add3_u32 v2, v0, v2, v3
	v_mul_lo_u32 v0, v9, s6
	v_mul_hi_u32 v3, s18, v9
	v_sub_u32_e32 v0, v4, v0
	v_add_u32_e32 v3, v9, v3
	v_mul_lo_u32 v4, v0, s22
	v_lshrrev_b32_e32 v0, s19, v3
	s_add_i32 s60, s60, 4
	v_mul_lo_u32 v3, v0, s17
	s_add_u32 s58, s58, 16
	v_sub_u32_e32 v3, v9, v3
	s_addc_u32 s59, s59, 0
	v_mul_lo_u32 v3, v3, s23
	s_cmp_eq_u32 s69, s60
	v_add3_u32 v2, v4, v2, v3
	s_cbranch_scc0 .LBB27_78
; %bb.79:                               ;   in Loop: Header=BB27_9 Depth=1
	s_mov_b32 s2, s69
	s_andn2_b64 vcc, exec, s[56:57]
	s_cbranch_vccz .LBB27_83
	s_branch .LBB27_85
.LBB27_80:                              ;   in Loop: Header=BB27_9 Depth=1
                                        ; implicit-def: $vgpr2
	s_branch .LBB27_86
.LBB27_81:                              ;   in Loop: Header=BB27_9 Depth=1
	v_mov_b32_e32 v2, 0
	s_branch .LBB27_85
.LBB27_82:                              ;   in Loop: Header=BB27_9 Depth=1
	v_mov_b32_e32 v0, v10
	s_andn2_b64 vcc, exec, s[56:57]
	s_cbranch_vccnz .LBB27_85
.LBB27_83:                              ;   in Loop: Header=BB27_9 Depth=1
	s_lshl_b32 s0, s2, 2
	s_add_u32 s0, s44, s0
	s_addc_u32 s1, s45, 0
	s_mul_i32 s2, s2, 12
	s_add_u32 s2, s34, s2
	s_addc_u32 s3, s35, 0
	s_mov_b32 s4, s68
.LBB27_84:                              ;   Parent Loop BB27_9 Depth=1
                                        ; =>  This Inner Loop Header: Depth=2
	s_load_dwordx2 s[6:7], s[2:3], 0x4
	s_load_dword s5, s[2:3], 0xc
	s_load_dword s16, s[0:1], 0x0
	s_add_u32 s2, s2, 12
	s_addc_u32 s3, s3, 0
	s_waitcnt lgkmcnt(0)
	v_mul_hi_u32 v3, s7, v0
	v_add_u32_e32 v3, v0, v3
	v_lshrrev_b32_e32 v3, s5, v3
	s_add_u32 s0, s0, 4
	v_mul_lo_u32 v4, v3, s6
	s_addc_u32 s1, s1, 0
	s_add_i32 s4, s4, -1
	v_sub_u32_e32 v4, v0, v4
	s_cmp_lg_u32 s4, 0
	v_mov_b32_e32 v0, v3
	v_mad_u64_u32 v[2:3], s[6:7], v4, s16, v[2:3]
	s_cbranch_scc1 .LBB27_84
.LBB27_85:                              ;   in Loop: Header=BB27_9 Depth=1
	s_cbranch_execnz .LBB27_88
.LBB27_86:                              ;   in Loop: Header=BB27_9 Depth=1
	v_mul_hi_u32 v0, v10, s10
	v_add_u32_e32 v0, v0, v10
	v_lshrrev_b32_e32 v0, s11, v0
	v_mul_lo_u32 v2, v0, s9
	v_sub_u32_e32 v2, v10, v2
	s_andn2_b64 vcc, exec, s[46:47]
	s_waitcnt lgkmcnt(0)
	v_mul_lo_u32 v2, v2, s50
	s_cbranch_vccnz .LBB27_88
; %bb.87:                               ;   in Loop: Header=BB27_9 Depth=1
	v_mul_hi_u32 v3, s8, v0
	v_add_u32_e32 v3, v0, v3
	v_lshrrev_b32_e32 v3, s14, v3
	v_mul_lo_u32 v3, v3, s12
	v_sub_u32_e32 v0, v0, v3
	v_mad_u64_u32 v[2:3], s[0:1], v0, s51, v[2:3]
.LBB27_88:                              ;   in Loop: Header=BB27_9 Depth=1
	v_mov_b32_e32 v0, v5
	s_waitcnt lgkmcnt(0)
	v_cmp_le_u64_e32 vcc, s[30:31], v[0:1]
	s_and_saveexec_b64 s[0:1], vcc
	s_cbranch_execz .LBB27_7
; %bb.89:                               ;   in Loop: Header=BB27_9 Depth=1
	v_cvt_f32_u32_e32 v3, s30
	s_sub_i32 s2, 0, s30
	v_rcp_iflag_f32_e32 v3, v3
	v_mul_f32_e32 v3, 0x4f7ffffe, v3
	v_cvt_u32_f32_e32 v3, v3
	v_mul_lo_u32 v4, s2, v3
	v_mul_hi_u32 v4, v3, v4
	v_add_u32_e32 v3, v3, v4
	v_mul_hi_u32 v3, v0, v3
	v_mul_lo_u32 v3, v3, s30
	v_sub_u32_e32 v0, v0, v3
	v_subrev_u32_e32 v3, s30, v0
	v_cmp_le_u32_e32 vcc, s30, v0
	v_cndmask_b32_e32 v0, v0, v3, vcc
	v_subrev_u32_e32 v3, s30, v0
	v_cmp_le_u32_e32 vcc, s30, v0
	v_cndmask_b32_e32 v0, v0, v3, vcc
	s_branch .LBB27_7
.LBB27_90:
	s_endpgm
.LBB27_91:
                                        ; implicit-def: $sgpr2_sgpr3
	s_andn2_b64 vcc, exec, s[0:1]
	s_cbranch_vccz .LBB27_4
	s_branch .LBB27_5
	.section	.rodata,"a",@progbits
	.p2align	6, 0x0
	.amdhsa_kernel _ZN2at6native12_GLOBAL__N_143distribution_elementwise_grid_stride_kernelIjLi4EZZZNS0_9templates4cuda21random_from_to_kernelIPNS_17CUDAGeneratorImplEEEvRNS_18TensorIteratorBaseEmlT_ENKUlvE_clEvENKUlvE5_clEvEUlP25hiprandStatePhilox4_32_10E0_ZNS1_27distribution_nullary_kernelIfj15HIP_vector_typeIjLj4EES7_SF_ZZZNS5_IS7_EEvS9_mlSA_ENKSB_clEvENKSC_clEvEUljE_EEvS9_T2_RKT3_T4_EUlijE0_EEvlNS_15PhiloxCudaStateET1_SK_
		.amdhsa_group_segment_fixed_size 0
		.amdhsa_private_segment_fixed_size 0
		.amdhsa_kernarg_size 592
		.amdhsa_user_sgpr_count 6
		.amdhsa_user_sgpr_private_segment_buffer 1
		.amdhsa_user_sgpr_dispatch_ptr 0
		.amdhsa_user_sgpr_queue_ptr 0
		.amdhsa_user_sgpr_kernarg_segment_ptr 1
		.amdhsa_user_sgpr_dispatch_id 0
		.amdhsa_user_sgpr_flat_scratch_init 0
		.amdhsa_user_sgpr_kernarg_preload_length 0
		.amdhsa_user_sgpr_kernarg_preload_offset 0
		.amdhsa_user_sgpr_private_segment_size 0
		.amdhsa_uses_dynamic_stack 0
		.amdhsa_system_sgpr_private_segment_wavefront_offset 0
		.amdhsa_system_sgpr_workgroup_id_x 1
		.amdhsa_system_sgpr_workgroup_id_y 0
		.amdhsa_system_sgpr_workgroup_id_z 0
		.amdhsa_system_sgpr_workgroup_info 0
		.amdhsa_system_vgpr_workitem_id 0
		.amdhsa_next_free_vgpr 43
		.amdhsa_next_free_sgpr 71
		.amdhsa_accum_offset 44
		.amdhsa_reserve_vcc 1
		.amdhsa_reserve_flat_scratch 0
		.amdhsa_float_round_mode_32 0
		.amdhsa_float_round_mode_16_64 0
		.amdhsa_float_denorm_mode_32 3
		.amdhsa_float_denorm_mode_16_64 3
		.amdhsa_dx10_clamp 1
		.amdhsa_ieee_mode 1
		.amdhsa_fp16_overflow 0
		.amdhsa_tg_split 0
		.amdhsa_exception_fp_ieee_invalid_op 0
		.amdhsa_exception_fp_denorm_src 0
		.amdhsa_exception_fp_ieee_div_zero 0
		.amdhsa_exception_fp_ieee_overflow 0
		.amdhsa_exception_fp_ieee_underflow 0
		.amdhsa_exception_fp_ieee_inexact 0
		.amdhsa_exception_int_div_zero 0
	.end_amdhsa_kernel
	.section	.text._ZN2at6native12_GLOBAL__N_143distribution_elementwise_grid_stride_kernelIjLi4EZZZNS0_9templates4cuda21random_from_to_kernelIPNS_17CUDAGeneratorImplEEEvRNS_18TensorIteratorBaseEmlT_ENKUlvE_clEvENKUlvE5_clEvEUlP25hiprandStatePhilox4_32_10E0_ZNS1_27distribution_nullary_kernelIfj15HIP_vector_typeIjLj4EES7_SF_ZZZNS5_IS7_EEvS9_mlSA_ENKSB_clEvENKSC_clEvEUljE_EEvS9_T2_RKT3_T4_EUlijE0_EEvlNS_15PhiloxCudaStateET1_SK_,"axG",@progbits,_ZN2at6native12_GLOBAL__N_143distribution_elementwise_grid_stride_kernelIjLi4EZZZNS0_9templates4cuda21random_from_to_kernelIPNS_17CUDAGeneratorImplEEEvRNS_18TensorIteratorBaseEmlT_ENKUlvE_clEvENKUlvE5_clEvEUlP25hiprandStatePhilox4_32_10E0_ZNS1_27distribution_nullary_kernelIfj15HIP_vector_typeIjLj4EES7_SF_ZZZNS5_IS7_EEvS9_mlSA_ENKSB_clEvENKSC_clEvEUljE_EEvS9_T2_RKT3_T4_EUlijE0_EEvlNS_15PhiloxCudaStateET1_SK_,comdat
.Lfunc_end27:
	.size	_ZN2at6native12_GLOBAL__N_143distribution_elementwise_grid_stride_kernelIjLi4EZZZNS0_9templates4cuda21random_from_to_kernelIPNS_17CUDAGeneratorImplEEEvRNS_18TensorIteratorBaseEmlT_ENKUlvE_clEvENKUlvE5_clEvEUlP25hiprandStatePhilox4_32_10E0_ZNS1_27distribution_nullary_kernelIfj15HIP_vector_typeIjLj4EES7_SF_ZZZNS5_IS7_EEvS9_mlSA_ENKSB_clEvENKSC_clEvEUljE_EEvS9_T2_RKT3_T4_EUlijE0_EEvlNS_15PhiloxCudaStateET1_SK_, .Lfunc_end27-_ZN2at6native12_GLOBAL__N_143distribution_elementwise_grid_stride_kernelIjLi4EZZZNS0_9templates4cuda21random_from_to_kernelIPNS_17CUDAGeneratorImplEEEvRNS_18TensorIteratorBaseEmlT_ENKUlvE_clEvENKUlvE5_clEvEUlP25hiprandStatePhilox4_32_10E0_ZNS1_27distribution_nullary_kernelIfj15HIP_vector_typeIjLj4EES7_SF_ZZZNS5_IS7_EEvS9_mlSA_ENKSB_clEvENKSC_clEvEUljE_EEvS9_T2_RKT3_T4_EUlijE0_EEvlNS_15PhiloxCudaStateET1_SK_
                                        ; -- End function
	.section	.AMDGPU.csdata,"",@progbits
; Kernel info:
; codeLenInByte = 5044
; NumSgprs: 75
; NumVgprs: 43
; NumAgprs: 0
; TotalNumVgprs: 43
; ScratchSize: 0
; MemoryBound: 0
; FloatMode: 240
; IeeeMode: 1
; LDSByteSize: 0 bytes/workgroup (compile time only)
; SGPRBlocks: 9
; VGPRBlocks: 5
; NumSGPRsForWavesPerEU: 75
; NumVGPRsForWavesPerEU: 43
; AccumOffset: 44
; Occupancy: 8
; WaveLimiterHint : 1
; COMPUTE_PGM_RSRC2:SCRATCH_EN: 0
; COMPUTE_PGM_RSRC2:USER_SGPR: 6
; COMPUTE_PGM_RSRC2:TRAP_HANDLER: 0
; COMPUTE_PGM_RSRC2:TGID_X_EN: 1
; COMPUTE_PGM_RSRC2:TGID_Y_EN: 0
; COMPUTE_PGM_RSRC2:TGID_Z_EN: 0
; COMPUTE_PGM_RSRC2:TIDIG_COMP_CNT: 0
; COMPUTE_PGM_RSRC3_GFX90A:ACCUM_OFFSET: 10
; COMPUTE_PGM_RSRC3_GFX90A:TG_SPLIT: 0
	.section	.text._ZN2at6native12_GLOBAL__N_143distribution_elementwise_grid_stride_kernelImLi2EZZZNS0_9templates4cuda21random_from_to_kernelIPNS_17CUDAGeneratorImplEEEvRNS_18TensorIteratorBaseEmlT_ENKUlvE_clEvENKUlvE6_clEvEUlP25hiprandStatePhilox4_32_10E_ZNS1_27distribution_nullary_kernelIbm15HIP_vector_typeIyLj2EES7_SF_ZZZNS5_IS7_EEvS9_mlSA_ENKSB_clEvENKSC_clEvEUlmE_EEvS9_T2_RKT3_T4_EUlimE_EEvlNS_15PhiloxCudaStateET1_SK_,"axG",@progbits,_ZN2at6native12_GLOBAL__N_143distribution_elementwise_grid_stride_kernelImLi2EZZZNS0_9templates4cuda21random_from_to_kernelIPNS_17CUDAGeneratorImplEEEvRNS_18TensorIteratorBaseEmlT_ENKUlvE_clEvENKUlvE6_clEvEUlP25hiprandStatePhilox4_32_10E_ZNS1_27distribution_nullary_kernelIbm15HIP_vector_typeIyLj2EES7_SF_ZZZNS5_IS7_EEvS9_mlSA_ENKSB_clEvENKSC_clEvEUlmE_EEvS9_T2_RKT3_T4_EUlimE_EEvlNS_15PhiloxCudaStateET1_SK_,comdat
	.globl	_ZN2at6native12_GLOBAL__N_143distribution_elementwise_grid_stride_kernelImLi2EZZZNS0_9templates4cuda21random_from_to_kernelIPNS_17CUDAGeneratorImplEEEvRNS_18TensorIteratorBaseEmlT_ENKUlvE_clEvENKUlvE6_clEvEUlP25hiprandStatePhilox4_32_10E_ZNS1_27distribution_nullary_kernelIbm15HIP_vector_typeIyLj2EES7_SF_ZZZNS5_IS7_EEvS9_mlSA_ENKSB_clEvENKSC_clEvEUlmE_EEvS9_T2_RKT3_T4_EUlimE_EEvlNS_15PhiloxCudaStateET1_SK_ ; -- Begin function _ZN2at6native12_GLOBAL__N_143distribution_elementwise_grid_stride_kernelImLi2EZZZNS0_9templates4cuda21random_from_to_kernelIPNS_17CUDAGeneratorImplEEEvRNS_18TensorIteratorBaseEmlT_ENKUlvE_clEvENKUlvE6_clEvEUlP25hiprandStatePhilox4_32_10E_ZNS1_27distribution_nullary_kernelIbm15HIP_vector_typeIyLj2EES7_SF_ZZZNS5_IS7_EEvS9_mlSA_ENKSB_clEvENKSC_clEvEUlmE_EEvS9_T2_RKT3_T4_EUlimE_EEvlNS_15PhiloxCudaStateET1_SK_
	.p2align	8
	.type	_ZN2at6native12_GLOBAL__N_143distribution_elementwise_grid_stride_kernelImLi2EZZZNS0_9templates4cuda21random_from_to_kernelIPNS_17CUDAGeneratorImplEEEvRNS_18TensorIteratorBaseEmlT_ENKUlvE_clEvENKUlvE6_clEvEUlP25hiprandStatePhilox4_32_10E_ZNS1_27distribution_nullary_kernelIbm15HIP_vector_typeIyLj2EES7_SF_ZZZNS5_IS7_EEvS9_mlSA_ENKSB_clEvENKSC_clEvEUlmE_EEvS9_T2_RKT3_T4_EUlimE_EEvlNS_15PhiloxCudaStateET1_SK_,@function
_ZN2at6native12_GLOBAL__N_143distribution_elementwise_grid_stride_kernelImLi2EZZZNS0_9templates4cuda21random_from_to_kernelIPNS_17CUDAGeneratorImplEEEvRNS_18TensorIteratorBaseEmlT_ENKUlvE_clEvENKUlvE6_clEvEUlP25hiprandStatePhilox4_32_10E_ZNS1_27distribution_nullary_kernelIbm15HIP_vector_typeIyLj2EES7_SF_ZZZNS5_IS7_EEvS9_mlSA_ENKSB_clEvENKSC_clEvEUlmE_EEvS9_T2_RKT3_T4_EUlimE_EEvlNS_15PhiloxCudaStateET1_SK_: ; @_ZN2at6native12_GLOBAL__N_143distribution_elementwise_grid_stride_kernelImLi2EZZZNS0_9templates4cuda21random_from_to_kernelIPNS_17CUDAGeneratorImplEEEvRNS_18TensorIteratorBaseEmlT_ENKUlvE_clEvENKUlvE6_clEvEUlP25hiprandStatePhilox4_32_10E_ZNS1_27distribution_nullary_kernelIbm15HIP_vector_typeIyLj2EES7_SF_ZZZNS5_IS7_EEvS9_mlSA_ENKSB_clEvENKSC_clEvEUlmE_EEvS9_T2_RKT3_T4_EUlimE_EEvlNS_15PhiloxCudaStateET1_SK_
; %bb.0:
	s_load_dword s2, s[4:5], 0x20
	s_load_dwordx2 s[0:1], s[4:5], 0x10
	s_load_dwordx4 s[8:11], s[4:5], 0x0
	s_waitcnt lgkmcnt(0)
	s_bitcmp0_b32 s2, 0
	s_mov_b32 s2, 0
	v_pk_mov_b32 v[2:3], s[0:1], s[0:1] op_sel:[0,1]
	v_pk_mov_b32 v[14:15], s[10:11], s[10:11] op_sel:[0,1]
	s_cbranch_scc1 .LBB28_2
; %bb.1:
	v_pk_mov_b32 v[2:3], s[0:1], s[0:1] op_sel:[0,1]
	flat_load_dwordx2 v[2:3], v[2:3]
	v_pk_mov_b32 v[4:5], s[10:11], s[10:11] op_sel:[0,1]
	flat_load_dwordx2 v[14:15], v[4:5]
	s_load_dwordx2 s[0:1], s[4:5], 0x18
	s_waitcnt lgkmcnt(0)
	v_mov_b32_e32 v1, s1
	s_waitcnt vmcnt(0)
	v_add_co_u32_e32 v2, vcc, s0, v2
	v_addc_co_u32_e32 v3, vcc, v3, v1, vcc
.LBB28_2:
	s_load_dword s0, s[4:5], 0x5c
	s_load_dword s18, s[4:5], 0x50
	s_waitcnt lgkmcnt(0)
	s_and_b32 s7, s0, 0xffff
	s_add_u32 s10, s8, -1
	s_mul_i32 s20, s18, s7
	s_addc_u32 s3, s9, -1
	s_lshl_b32 s21, s20, 1
	s_cmp_lg_u64 s[2:3], 0
	s_mov_b64 s[0:1], -1
	s_cbranch_scc0 .LBB28_31
; %bb.3:
	v_cvt_f32_u32_e32 v1, s21
	v_cvt_f32_ubyte0_e32 v4, 0
	s_sub_u32 s2, 0, s21
	s_subb_u32 s11, 0, 0
	v_madmk_f32 v1, v4, 0x4f800000, v1
	v_rcp_f32_e32 v1, v1
	v_mul_f32_e32 v1, 0x5f7ffffc, v1
	v_mul_f32_e32 v4, 0x2f800000, v1
	v_trunc_f32_e32 v4, v4
	v_madmk_f32 v1, v4, 0xcf800000, v1
	v_cvt_u32_f32_e32 v4, v4
	v_cvt_u32_f32_e32 v1, v1
	v_readfirstlane_b32 s12, v4
	v_readfirstlane_b32 s13, v1
	s_mul_i32 s14, s2, s12
	s_mul_hi_u32 s16, s2, s13
	s_mul_i32 s15, s11, s13
	s_add_i32 s14, s16, s14
	s_add_i32 s14, s14, s15
	s_mul_i32 s17, s2, s13
	s_mul_hi_u32 s15, s13, s14
	s_mul_i32 s16, s13, s14
	s_mul_hi_u32 s13, s13, s17
	s_add_u32 s13, s13, s16
	s_addc_u32 s15, 0, s15
	s_mul_hi_u32 s19, s12, s17
	s_mul_i32 s17, s12, s17
	s_add_u32 s13, s13, s17
	s_mul_hi_u32 s16, s12, s14
	s_addc_u32 s13, s15, s19
	s_addc_u32 s15, s16, 0
	s_mul_i32 s14, s12, s14
	s_add_u32 s13, s13, s14
	s_addc_u32 s14, 0, s15
	v_add_co_u32_e32 v1, vcc, s13, v1
	s_cmp_lg_u64 vcc, 0
	s_addc_u32 s12, s12, s14
	v_readfirstlane_b32 s14, v1
	s_mul_i32 s13, s2, s12
	s_mul_hi_u32 s15, s2, s14
	s_add_i32 s13, s15, s13
	s_mul_i32 s11, s11, s14
	s_add_i32 s13, s13, s11
	s_mul_i32 s2, s2, s14
	s_mul_hi_u32 s15, s12, s2
	s_mul_i32 s16, s12, s2
	s_mul_i32 s19, s14, s13
	s_mul_hi_u32 s2, s14, s2
	s_mul_hi_u32 s17, s14, s13
	s_add_u32 s2, s2, s19
	s_addc_u32 s14, 0, s17
	s_add_u32 s2, s2, s16
	s_mul_hi_u32 s11, s12, s13
	s_addc_u32 s2, s14, s15
	s_addc_u32 s11, s11, 0
	s_mul_i32 s13, s12, s13
	s_add_u32 s2, s2, s13
	s_addc_u32 s11, 0, s11
	v_add_co_u32_e32 v1, vcc, s2, v1
	s_cmp_lg_u64 vcc, 0
	s_addc_u32 s11, s12, s11
	s_ashr_i32 s12, s3, 31
	s_add_u32 s2, s10, s12
	s_mov_b32 s13, s12
	s_addc_u32 s3, s3, s12
	s_xor_b64 s[2:3], s[2:3], s[12:13]
	v_readfirstlane_b32 s16, v1
	s_mul_i32 s15, s2, s11
	s_mul_hi_u32 s17, s2, s16
	s_mul_hi_u32 s14, s2, s11
	s_add_u32 s15, s17, s15
	s_addc_u32 s14, 0, s14
	s_mul_hi_u32 s19, s3, s16
	s_mul_i32 s16, s3, s16
	s_add_u32 s15, s15, s16
	s_mul_hi_u32 s17, s3, s11
	s_addc_u32 s14, s14, s19
	s_addc_u32 s15, s17, 0
	s_mul_i32 s11, s3, s11
	s_add_u32 s11, s14, s11
	s_addc_u32 s14, 0, s15
	s_add_u32 s15, s11, 1
	s_addc_u32 s16, s14, 0
	s_add_u32 s17, s11, 2
	s_mul_i32 s22, s21, s14
	s_mul_hi_u32 s23, s21, s11
	s_addc_u32 s19, s14, 0
	s_add_i32 s23, s23, s22
	s_mul_i32 s22, s21, s11
	v_mov_b32_e32 v1, s22
	v_sub_co_u32_e32 v1, vcc, s2, v1
	s_cmp_lg_u64 vcc, 0
	s_subb_u32 s2, s3, s23
	v_subrev_co_u32_e32 v4, vcc, s21, v1
	s_cmp_lg_u64 vcc, 0
	s_subb_u32 s3, s2, 0
	v_readfirstlane_b32 s22, v4
	s_cmp_ge_u32 s22, s21
	s_cselect_b32 s22, -1, 0
	s_cmp_eq_u32 s3, 0
	s_cselect_b32 s3, s22, -1
	s_cmp_lg_u32 s3, 0
	s_cselect_b32 s3, s19, s16
	v_readfirstlane_b32 s16, v1
	s_cselect_b32 s15, s17, s15
	s_cmp_ge_u32 s16, s21
	s_cselect_b32 s16, -1, 0
	s_cmp_eq_u32 s2, 0
	s_cselect_b32 s2, s16, -1
	s_cmp_lg_u32 s2, 0
	s_cselect_b32 s3, s3, s14
	s_cselect_b32 s2, s15, s11
	s_xor_b64 s[2:3], s[2:3], s[12:13]
	s_sub_u32 s2, s2, s12
	s_subb_u32 s3, s3, s12
	s_cbranch_execnz .LBB28_5
.LBB28_4:
	v_cvt_f32_u32_e32 v1, s21
	s_sub_i32 s0, 0, s21
	s_mov_b32 s3, 0
	v_rcp_iflag_f32_e32 v1, v1
	v_mul_f32_e32 v1, 0x4f7ffffe, v1
	v_cvt_u32_f32_e32 v1, v1
	v_readfirstlane_b32 s1, v1
	s_mul_i32 s0, s0, s1
	s_mul_hi_u32 s0, s1, s0
	s_add_i32 s1, s1, s0
	s_mul_hi_u32 s0, s10, s1
	s_mul_i32 s2, s0, s21
	s_sub_i32 s2, s10, s2
	s_add_i32 s1, s0, 1
	s_sub_i32 s10, s2, s21
	s_cmp_ge_u32 s2, s21
	s_cselect_b32 s0, s1, s0
	s_cselect_b32 s2, s10, s2
	s_add_i32 s1, s0, 1
	s_cmp_ge_u32 s2, s21
	s_cselect_b32 s2, s1, s0
.LBB28_5:
	v_mov_b32_e32 v16, 0
	v_mov_b32_e32 v1, v16
	;; [unrolled: 1-line block ×3, first 2 shown]
	v_mad_u64_u32 v[18:19], s[0:1], s7, v4, v[0:1]
	s_add_u32 s0, s2, 1
	s_addc_u32 s1, s3, 0
	s_mul_hi_u32 s2, s18, s7
	s_mul_i32 s1, s20, s1
	s_mul_hi_u32 s3, s20, s0
	s_add_i32 s1, s3, s1
	s_mul_i32 s2, s2, s0
	s_add_i32 s1, s1, s2
	s_mul_i32 s0, s20, s0
	s_lshl_b64 s[10:11], s[0:1], 1
	v_cmp_gt_i64_e32 vcc, s[10:11], v[18:19]
	s_and_saveexec_b64 s[0:1], vcc
	s_cbranch_execz .LBB28_30
; %bb.6:
	v_mov_b32_e32 v4, v15
	s_mov_b32 s0, 0xdb3d7428
	v_add_co_u32_e32 v23, vcc, s0, v4
	s_mov_b32 s0, 0x5384540f
	v_add_co_u32_e32 v24, vcc, s0, v14
	;; [unrolled: 2-line block ×7, first 2 shown]
	s_mov_b32 s0, 0x9e3779b9
	v_alignbit_b32 v31, v3, v2, 2
	s_mov_b32 s23, 0xd2511f53
	v_add_co_u32_e32 v30, vcc, s0, v14
	v_mad_u64_u32 v[6:7], s[0:1], v31, s23, 0
	v_xor_b32_e32 v1, v7, v15
	v_xor_b32_e32 v1, v1, v19
	s_mov_b32 s24, 0xcd9e8d57
	v_mad_u64_u32 v[8:9], s[0:1], v1, s24, 0
	v_xor_b32_e32 v1, v30, v9
	v_mad_u64_u32 v[10:11], s[0:1], v18, s24, 0
	v_and_b32_e32 v20, 3, v2
	v_xor_b32_e32 v1, v1, v10
	v_xor_b32_e32 v2, v14, v11
	v_lshrrev_b32_e32 v32, 2, v3
	v_mad_u64_u32 v[12:13], s[0:1], v1, s23, 0
	v_xor_b32_e32 v2, v2, v32
	v_xor_b32_e32 v1, v29, v13
	v_mad_u64_u32 v[2:3], s[0:1], v2, s23, 0
	v_xor_b32_e32 v1, v1, v2
	v_mad_u64_u32 v[10:11], s[0:1], v1, s24, 0
	s_mov_b32 s0, 0xbb67ae85
	v_add_co_u32_e32 v33, vcc, s0, v4
	v_xor_b32_e32 v2, v33, v3
	v_xor_b32_e32 v2, v2, v6
	v_xor_b32_e32 v1, v28, v11
	v_mad_u64_u32 v[2:3], s[0:1], v2, s24, 0
	v_xor_b32_e32 v1, v1, v2
	v_mad_u64_u32 v[6:7], s[0:1], v1, s23, 0
	s_mov_b32 s0, 0x3c6ef372
	v_add_co_u32_e32 v34, vcc, s0, v14
	v_xor_b32_e32 v2, v34, v3
	;; [unrolled: 8-line block ×7, first 2 shown]
	v_xor_b32_e32 v1, v1, v12
	v_mad_u64_u32 v[2:3], s[0:1], v1, s24, 0
	s_mov_b32 s0, 0xf1bbcdc8
	v_add_u32_e32 v21, 0x8ff34781, v14
	v_xor_b32_e32 v1, v9, v2
	v_add_co_u32_e32 v40, vcc, s0, v14
	s_load_dwordx2 s[16:17], s[4:5], 0x30
	s_load_dword s2, s[4:5], 0x38
	s_load_dwordx4 s[12:15], s[4:5], 0x40
	v_xor_b32_e32 v2, v21, v1
	v_xor_b32_e32 v1, v40, v3
	;; [unrolled: 1-line block ×3, first 2 shown]
	v_mad_u64_u32 v[10:11], s[0:1], v1, s23, 0
	v_add_u32_e32 v22, 0x96a522ad, v15
	v_xor_b32_e32 v1, v11, v6
	s_mul_i32 s0, s6, s7
	v_xor_b32_e32 v4, v22, v1
	v_add_u32_e32 v1, s0, v0
	s_waitcnt lgkmcnt(0)
	s_mul_i32 s0, s18, s2
	s_sub_u32 s14, 0, s14
	s_mul_i32 s0, s0, s7
	s_subb_u32 s15, 0, s15
	s_lshl_b32 s25, s0, 1
	s_add_i32 s0, s6, s18
	s_mul_i32 s0, s0, s7
	s_mov_b32 s22, 0
	v_add_u32_e32 v0, s0, v0
	v_mov_b32_e32 v3, v8
	v_mov_b32_e32 v5, v10
	s_mov_b64 s[4:5], 0
	v_mul_lo_u32 v41, s2, v1
	v_mul_lo_u32 v42, s2, v0
	s_mov_b32 s26, s22
	v_mov_b32_e32 v43, v18
	v_mov_b32_e32 v44, v19
	s_branch .LBB28_9
.LBB28_7:                               ;   in Loop: Header=BB28_9 Depth=1
	s_or_b64 exec, exec, s[0:1]
	v_add_u32_e32 v1, s26, v42
	v_ashrrev_i32_e32 v3, 31, v1
	v_mov_b32_e32 v4, s17
	v_add_co_u32_e32 v2, vcc, s16, v1
	v_addc_co_u32_e32 v3, vcc, v4, v3, vcc
	v_cmp_ne_u64_e32 vcc, s[14:15], v[10:11]
	v_cndmask_b32_e64 v1, 0, 1, vcc
	global_store_byte v[2:3], v1, off
.LBB28_8:                               ;   in Loop: Header=BB28_9 Depth=1
	s_or_b64 exec, exec, s[6:7]
	v_add_co_u32_e32 v18, vcc, s21, v18
	v_addc_co_u32_e32 v19, vcc, 0, v19, vcc
	v_mov_b32_e32 v9, v0
	s_add_i32 s26, s26, s25
	v_cmp_le_i64_e32 vcc, s[10:11], v[18:19]
	v_pk_mov_b32 v[2:3], v[6:7], v[6:7] op_sel:[0,1]
	s_or_b64 s[4:5], vcc, s[4:5]
	v_pk_mov_b32 v[4:5], v[8:9], v[8:9] op_sel:[0,1]
	s_barrier
	s_andn2_b64 exec, exec, s[4:5]
	s_cbranch_execz .LBB28_30
.LBB28_9:                               ; =>This Inner Loop Header: Depth=1
	v_add_co_u32_e32 v31, vcc, 1, v31
	v_cndmask_b32_e64 v0, 0, 1, vcc
	v_addc_co_u32_e32 v32, vcc, 0, v32, vcc
	v_cmp_eq_u32_e32 vcc, 0, v32
	v_cndmask_b32_e32 v0, 0, v0, vcc
	v_add_u32_e32 v43, v0, v43
	v_cmp_eq_u32_e32 vcc, 0, v43
	v_cndmask_b32_e32 v0, 0, v0, vcc
	v_add_u32_e32 v44, v0, v44
	v_mad_u64_u32 v[0:1], s[0:1], v31, s23, 0
	v_mad_u64_u32 v[6:7], s[0:1], v43, s24, 0
	v_xor_b32_e32 v1, v1, v15
	v_xor_b32_e32 v7, v7, v14
	v_xor_b32_e32 v1, v44, v1
	v_xor_b32_e32 v7, v32, v7
	v_mad_u64_u32 v[10:11], s[0:1], v1, s24, 0
	v_mad_u64_u32 v[8:9], s[0:1], v7, s23, 0
	v_xor_b32_e32 v1, v30, v11
	v_xor_b32_e32 v1, v1, v6
	v_xor_b32_e32 v6, v33, v9
	v_xor_b32_e32 v6, v6, v0
	;; [unrolled: 6-line block ×10, first 2 shown]
	v_mov_b32_e32 v7, v12
	v_mov_b32_e32 v8, v13
	v_cmp_lt_i32_e32 vcc, 1, v20
	s_and_saveexec_b64 s[0:1], vcc
	s_xor_b64 s[0:1], exec, s[0:1]
	s_cbranch_execnz .LBB28_12
; %bb.10:                               ;   in Loop: Header=BB28_9 Depth=1
	s_andn2_saveexec_b64 s[0:1], s[0:1]
	s_cbranch_execnz .LBB28_17
.LBB28_11:                              ;   in Loop: Header=BB28_9 Depth=1
	s_or_b64 exec, exec, s[0:1]
	v_cmp_gt_i64_e32 vcc, s[8:9], v[18:19]
	s_and_saveexec_b64 s[6:7], vcc
	s_cbranch_execnz .LBB28_20
	s_branch .LBB28_25
.LBB28_12:                              ;   in Loop: Header=BB28_9 Depth=1
	v_cmp_lt_i32_e32 vcc, 2, v20
	s_and_saveexec_b64 s[2:3], vcc
	s_xor_b64 s[2:3], exec, s[2:3]
; %bb.13:                               ;   in Loop: Header=BB28_9 Depth=1
	v_mov_b32_e32 v10, v5
	v_mov_b32_e32 v11, v6
	v_pk_mov_b32 v[2:3], v[10:11], v[10:11] op_sel:[0,1]
	v_pk_mov_b32 v[4:5], v[12:13], v[12:13] op_sel:[0,1]
                                        ; implicit-def: $vgpr12_vgpr13
; %bb.14:                               ;   in Loop: Header=BB28_9 Depth=1
	s_andn2_saveexec_b64 s[2:3], s[2:3]
; %bb.15:                               ;   in Loop: Header=BB28_9 Depth=1
	v_mov_b32_e32 v2, v4
	v_mov_b32_e32 v3, v5
	;; [unrolled: 1-line block ×4, first 2 shown]
; %bb.16:                               ;   in Loop: Header=BB28_9 Depth=1
	s_or_b64 exec, exec, s[2:3]
	s_andn2_saveexec_b64 s[0:1], s[0:1]
	s_cbranch_execz .LBB28_11
.LBB28_17:                              ;   in Loop: Header=BB28_9 Depth=1
	v_cmp_eq_u32_e32 vcc, 1, v20
	s_and_saveexec_b64 s[2:3], vcc
; %bb.18:                               ;   in Loop: Header=BB28_9 Depth=1
	v_mov_b32_e32 v2, v3
	v_mov_b32_e32 v3, v4
	;; [unrolled: 1-line block ×4, first 2 shown]
; %bb.19:                               ;   in Loop: Header=BB28_9 Depth=1
	s_or_b64 exec, exec, s[2:3]
	s_or_b64 exec, exec, s[0:1]
	v_cmp_gt_i64_e32 vcc, s[8:9], v[18:19]
	s_and_saveexec_b64 s[6:7], vcc
	s_cbranch_execz .LBB28_25
.LBB28_20:                              ;   in Loop: Header=BB28_9 Depth=1
	v_or_b32_e32 v17, s13, v2
	v_cmp_ne_u64_e32 vcc, 0, v[16:17]
                                        ; implicit-def: $vgpr10_vgpr11
	s_and_saveexec_b64 s[0:1], vcc
	s_xor_b64 s[18:19], exec, s[0:1]
	s_cbranch_execz .LBB28_22
; %bb.21:                               ;   in Loop: Header=BB28_9 Depth=1
	v_cvt_f32_u32_e32 v1, s12
	v_cvt_f32_u32_e32 v9, s13
	s_sub_u32 s0, 0, s12
	s_subb_u32 s1, 0, s13
	v_mac_f32_e32 v1, 0x4f800000, v9
	v_rcp_f32_e32 v1, v1
	v_mul_f32_e32 v1, 0x5f7ffffc, v1
	v_mul_f32_e32 v9, 0x2f800000, v1
	v_trunc_f32_e32 v9, v9
	v_mac_f32_e32 v1, 0xcf800000, v9
	v_cvt_u32_f32_e32 v9, v9
	v_cvt_u32_f32_e32 v1, v1
	v_mul_lo_u32 v10, s0, v9
	v_mul_hi_u32 v12, s0, v1
	v_mul_lo_u32 v11, s1, v1
	v_add_u32_e32 v10, v12, v10
	v_mul_lo_u32 v13, s0, v1
	v_add_u32_e32 v10, v10, v11
	v_mul_hi_u32 v12, v1, v13
	v_mul_lo_u32 v17, v1, v10
	v_mul_hi_u32 v11, v1, v10
	v_add_co_u32_e32 v12, vcc, v12, v17
	v_addc_co_u32_e32 v11, vcc, 0, v11, vcc
	v_mul_hi_u32 v45, v9, v13
	v_mul_lo_u32 v13, v9, v13
	v_add_co_u32_e32 v12, vcc, v12, v13
	v_mul_hi_u32 v17, v9, v10
	v_addc_co_u32_e32 v11, vcc, v11, v45, vcc
	v_addc_co_u32_e32 v12, vcc, 0, v17, vcc
	v_mul_lo_u32 v10, v9, v10
	v_add_co_u32_e32 v10, vcc, v11, v10
	v_addc_co_u32_e32 v11, vcc, 0, v12, vcc
	v_add_co_u32_e32 v1, vcc, v1, v10
	v_addc_co_u32_e32 v9, vcc, v9, v11, vcc
	v_mul_lo_u32 v10, s0, v9
	v_mul_hi_u32 v11, s0, v1
	v_add_u32_e32 v10, v11, v10
	v_mul_lo_u32 v11, s1, v1
	v_add_u32_e32 v10, v10, v11
	v_mul_lo_u32 v12, s0, v1
	v_mul_hi_u32 v13, v9, v12
	v_mul_lo_u32 v17, v9, v12
	v_mul_lo_u32 v46, v1, v10
	v_mul_hi_u32 v12, v1, v12
	v_mul_hi_u32 v45, v1, v10
	v_add_co_u32_e32 v12, vcc, v12, v46
	v_addc_co_u32_e32 v45, vcc, 0, v45, vcc
	v_add_co_u32_e32 v12, vcc, v12, v17
	v_mul_hi_u32 v11, v9, v10
	v_addc_co_u32_e32 v12, vcc, v45, v13, vcc
	v_addc_co_u32_e32 v11, vcc, 0, v11, vcc
	v_mul_lo_u32 v10, v9, v10
	v_add_co_u32_e32 v10, vcc, v12, v10
	v_addc_co_u32_e32 v11, vcc, 0, v11, vcc
	v_add_co_u32_e32 v1, vcc, v1, v10
	v_addc_co_u32_e32 v9, vcc, v9, v11, vcc
	v_mad_u64_u32 v[10:11], s[0:1], v3, v9, 0
	v_mul_hi_u32 v12, v3, v1
	v_add_co_u32_e32 v17, vcc, v12, v10
	v_addc_co_u32_e32 v45, vcc, 0, v11, vcc
	v_mad_u64_u32 v[12:13], s[0:1], v2, v1, 0
	v_add_co_u32_e32 v1, vcc, v17, v12
	v_mad_u64_u32 v[10:11], s[0:1], v2, v9, 0
	v_addc_co_u32_e32 v1, vcc, v45, v13, vcc
	v_addc_co_u32_e32 v9, vcc, 0, v11, vcc
	v_add_co_u32_e32 v1, vcc, v1, v10
	v_addc_co_u32_e32 v9, vcc, 0, v9, vcc
	v_mul_lo_u32 v12, s13, v1
	v_mul_lo_u32 v9, s12, v9
	v_mad_u64_u32 v[10:11], s[0:1], s12, v1, 0
	v_add3_u32 v1, v11, v9, v12
	v_sub_u32_e32 v9, v2, v1
	v_mov_b32_e32 v11, s13
	v_sub_co_u32_e32 v10, vcc, v3, v10
	v_subb_co_u32_e64 v9, s[0:1], v9, v11, vcc
	v_subrev_co_u32_e64 v12, s[0:1], s12, v10
	v_subbrev_co_u32_e64 v13, s[2:3], 0, v9, s[0:1]
	v_cmp_le_u32_e64 s[2:3], s13, v13
	v_cndmask_b32_e64 v17, 0, -1, s[2:3]
	v_cmp_le_u32_e64 s[2:3], s12, v12
	v_subb_co_u32_e32 v1, vcc, v2, v1, vcc
	v_cndmask_b32_e64 v45, 0, -1, s[2:3]
	v_cmp_eq_u32_e64 s[2:3], s13, v13
	v_subb_co_u32_e64 v9, s[0:1], v9, v11, s[0:1]
	v_cmp_le_u32_e32 vcc, s13, v1
	v_cndmask_b32_e64 v17, v17, v45, s[2:3]
	v_subrev_co_u32_e64 v45, s[0:1], s12, v12
	v_cndmask_b32_e64 v2, 0, -1, vcc
	v_cmp_le_u32_e32 vcc, s12, v10
	v_subbrev_co_u32_e64 v9, s[0:1], 0, v9, s[0:1]
	v_cndmask_b32_e64 v11, 0, -1, vcc
	v_cmp_eq_u32_e32 vcc, s13, v1
	v_cmp_ne_u32_e64 s[0:1], 0, v17
	v_cndmask_b32_e32 v2, v2, v11, vcc
	v_cndmask_b32_e64 v9, v13, v9, s[0:1]
	v_cmp_ne_u32_e32 vcc, 0, v2
	v_cndmask_b32_e32 v11, v1, v9, vcc
	v_cndmask_b32_e64 v1, v12, v45, s[0:1]
	v_cndmask_b32_e32 v10, v10, v1, vcc
.LBB28_22:                              ;   in Loop: Header=BB28_9 Depth=1
	s_andn2_saveexec_b64 s[0:1], s[18:19]
	s_cbranch_execz .LBB28_24
; %bb.23:                               ;   in Loop: Header=BB28_9 Depth=1
	v_cvt_f32_u32_e32 v1, s12
	s_sub_i32 s2, 0, s12
	v_mov_b32_e32 v11, v16
	v_rcp_iflag_f32_e32 v1, v1
	v_mul_f32_e32 v1, 0x4f7ffffe, v1
	v_cvt_u32_f32_e32 v1, v1
	v_mul_lo_u32 v2, s2, v1
	v_mul_hi_u32 v2, v1, v2
	v_add_u32_e32 v1, v1, v2
	v_mul_hi_u32 v1, v3, v1
	v_mul_lo_u32 v1, v1, s12
	v_sub_u32_e32 v1, v3, v1
	v_subrev_u32_e32 v2, s12, v1
	v_cmp_le_u32_e32 vcc, s12, v1
	v_cndmask_b32_e32 v1, v1, v2, vcc
	v_subrev_u32_e32 v2, s12, v1
	v_cmp_le_u32_e32 vcc, s12, v1
	v_cndmask_b32_e32 v10, v1, v2, vcc
.LBB28_24:                              ;   in Loop: Header=BB28_9 Depth=1
	s_or_b64 exec, exec, s[0:1]
	v_add_u32_e32 v1, s26, v41
	v_ashrrev_i32_e32 v3, 31, v1
	v_mov_b32_e32 v9, s17
	v_add_co_u32_e32 v2, vcc, s16, v1
	v_addc_co_u32_e32 v3, vcc, v9, v3, vcc
	v_cmp_ne_u64_e32 vcc, s[14:15], v[10:11]
	v_cndmask_b32_e64 v1, 0, 1, vcc
	global_store_byte v[2:3], v1, off
.LBB28_25:                              ;   in Loop: Header=BB28_9 Depth=1
	s_or_b64 exec, exec, s[6:7]
	v_mov_b32_e32 v1, s22
	v_add_co_u32_e32 v2, vcc, s20, v18
	v_addc_co_u32_e32 v3, vcc, v1, v19, vcc
	v_cmp_gt_i64_e32 vcc, s[8:9], v[2:3]
	s_and_saveexec_b64 s[6:7], vcc
	s_cbranch_execz .LBB28_8
; %bb.26:                               ;   in Loop: Header=BB28_9 Depth=1
	v_or_b32_e32 v17, s13, v4
	v_cmp_ne_u64_e32 vcc, 0, v[16:17]
                                        ; implicit-def: $vgpr10_vgpr11
	s_and_saveexec_b64 s[0:1], vcc
	s_xor_b64 s[18:19], exec, s[0:1]
	s_cbranch_execz .LBB28_28
; %bb.27:                               ;   in Loop: Header=BB28_9 Depth=1
	v_cvt_f32_u32_e32 v1, s12
	v_cvt_f32_u32_e32 v2, s13
	s_sub_u32 s0, 0, s12
	s_subb_u32 s1, 0, s13
	v_mac_f32_e32 v1, 0x4f800000, v2
	v_rcp_f32_e32 v1, v1
	v_mul_f32_e32 v1, 0x5f7ffffc, v1
	v_mul_f32_e32 v2, 0x2f800000, v1
	v_trunc_f32_e32 v2, v2
	v_mac_f32_e32 v1, 0xcf800000, v2
	v_cvt_u32_f32_e32 v2, v2
	v_cvt_u32_f32_e32 v1, v1
	v_mul_lo_u32 v3, s0, v2
	v_mul_hi_u32 v10, s0, v1
	v_mul_lo_u32 v9, s1, v1
	v_add_u32_e32 v3, v10, v3
	v_mul_lo_u32 v11, s0, v1
	v_add_u32_e32 v3, v3, v9
	v_mul_hi_u32 v10, v1, v11
	v_mul_lo_u32 v12, v1, v3
	v_mul_hi_u32 v9, v1, v3
	v_add_co_u32_e32 v10, vcc, v10, v12
	v_addc_co_u32_e32 v9, vcc, 0, v9, vcc
	v_mul_hi_u32 v13, v2, v11
	v_mul_lo_u32 v11, v2, v11
	v_add_co_u32_e32 v10, vcc, v10, v11
	v_mul_hi_u32 v12, v2, v3
	v_addc_co_u32_e32 v9, vcc, v9, v13, vcc
	v_addc_co_u32_e32 v10, vcc, 0, v12, vcc
	v_mul_lo_u32 v3, v2, v3
	v_add_co_u32_e32 v3, vcc, v9, v3
	v_addc_co_u32_e32 v9, vcc, 0, v10, vcc
	v_add_co_u32_e32 v1, vcc, v1, v3
	v_addc_co_u32_e32 v2, vcc, v2, v9, vcc
	v_mul_lo_u32 v3, s0, v2
	v_mul_hi_u32 v9, s0, v1
	v_add_u32_e32 v3, v9, v3
	v_mul_lo_u32 v9, s1, v1
	v_add_u32_e32 v3, v3, v9
	v_mul_lo_u32 v10, s0, v1
	v_mul_hi_u32 v11, v2, v10
	v_mul_lo_u32 v12, v2, v10
	v_mul_lo_u32 v17, v1, v3
	v_mul_hi_u32 v10, v1, v10
	v_mul_hi_u32 v13, v1, v3
	v_add_co_u32_e32 v10, vcc, v10, v17
	v_addc_co_u32_e32 v13, vcc, 0, v13, vcc
	v_add_co_u32_e32 v10, vcc, v10, v12
	v_mul_hi_u32 v9, v2, v3
	v_addc_co_u32_e32 v10, vcc, v13, v11, vcc
	v_addc_co_u32_e32 v9, vcc, 0, v9, vcc
	v_mul_lo_u32 v3, v2, v3
	v_add_co_u32_e32 v3, vcc, v10, v3
	v_addc_co_u32_e32 v9, vcc, 0, v9, vcc
	v_add_co_u32_e32 v1, vcc, v1, v3
	v_addc_co_u32_e32 v9, vcc, v2, v9, vcc
	v_mad_u64_u32 v[2:3], s[0:1], v5, v9, 0
	v_mul_hi_u32 v10, v5, v1
	v_add_co_u32_e32 v12, vcc, v10, v2
	v_addc_co_u32_e32 v13, vcc, 0, v3, vcc
	v_mad_u64_u32 v[10:11], s[0:1], v4, v1, 0
	v_add_co_u32_e32 v1, vcc, v12, v10
	v_mad_u64_u32 v[2:3], s[0:1], v4, v9, 0
	v_addc_co_u32_e32 v1, vcc, v13, v11, vcc
	v_addc_co_u32_e32 v3, vcc, 0, v3, vcc
	v_add_co_u32_e32 v1, vcc, v1, v2
	v_addc_co_u32_e32 v2, vcc, 0, v3, vcc
	v_mul_lo_u32 v9, s13, v1
	v_mul_lo_u32 v10, s12, v2
	v_mad_u64_u32 v[2:3], s[0:1], s12, v1, 0
	v_add3_u32 v1, v3, v10, v9
	v_sub_u32_e32 v3, v4, v1
	v_mov_b32_e32 v9, s13
	v_sub_co_u32_e32 v2, vcc, v5, v2
	v_subb_co_u32_e64 v3, s[0:1], v3, v9, vcc
	v_subrev_co_u32_e64 v5, s[0:1], s12, v2
	v_subbrev_co_u32_e64 v10, s[2:3], 0, v3, s[0:1]
	v_cmp_le_u32_e64 s[2:3], s13, v10
	v_cndmask_b32_e64 v11, 0, -1, s[2:3]
	v_cmp_le_u32_e64 s[2:3], s12, v5
	v_subb_co_u32_e64 v3, s[0:1], v3, v9, s[0:1]
	v_cndmask_b32_e64 v12, 0, -1, s[2:3]
	v_cmp_eq_u32_e64 s[2:3], s13, v10
	v_subrev_co_u32_e64 v9, s[0:1], s12, v5
	v_subb_co_u32_e32 v1, vcc, v4, v1, vcc
	v_cndmask_b32_e64 v11, v11, v12, s[2:3]
	v_subbrev_co_u32_e64 v3, s[0:1], 0, v3, s[0:1]
	v_cmp_le_u32_e32 vcc, s13, v1
	v_cmp_ne_u32_e64 s[0:1], 0, v11
	v_cndmask_b32_e64 v4, 0, -1, vcc
	v_cmp_le_u32_e32 vcc, s12, v2
	v_cndmask_b32_e64 v3, v10, v3, s[0:1]
	v_cndmask_b32_e64 v10, 0, -1, vcc
	v_cmp_eq_u32_e32 vcc, s13, v1
	v_cndmask_b32_e32 v4, v4, v10, vcc
	v_cmp_ne_u32_e32 vcc, 0, v4
	v_cndmask_b32_e32 v11, v1, v3, vcc
	v_cndmask_b32_e64 v1, v5, v9, s[0:1]
	v_cndmask_b32_e32 v10, v2, v1, vcc
                                        ; implicit-def: $vgpr2_vgpr3_vgpr4_vgpr5
.LBB28_28:                              ;   in Loop: Header=BB28_9 Depth=1
	s_andn2_saveexec_b64 s[0:1], s[18:19]
	s_cbranch_execz .LBB28_7
; %bb.29:                               ;   in Loop: Header=BB28_9 Depth=1
	v_cvt_f32_u32_e32 v1, s12
	s_sub_i32 s2, 0, s12
	v_mov_b32_e32 v11, v16
	v_rcp_iflag_f32_e32 v1, v1
	v_mul_f32_e32 v1, 0x4f7ffffe, v1
	v_cvt_u32_f32_e32 v1, v1
	v_mul_lo_u32 v2, s2, v1
	v_mul_hi_u32 v2, v1, v2
	v_add_u32_e32 v1, v1, v2
	v_mul_hi_u32 v1, v5, v1
	v_mul_lo_u32 v1, v1, s12
	v_sub_u32_e32 v1, v5, v1
	v_subrev_u32_e32 v2, s12, v1
	v_cmp_le_u32_e32 vcc, s12, v1
	v_cndmask_b32_e32 v1, v1, v2, vcc
	v_subrev_u32_e32 v2, s12, v1
	v_cmp_le_u32_e32 vcc, s12, v1
	v_cndmask_b32_e32 v10, v1, v2, vcc
	s_branch .LBB28_7
.LBB28_30:
	s_endpgm
.LBB28_31:
                                        ; implicit-def: $sgpr2_sgpr3
	s_andn2_b64 vcc, exec, s[0:1]
	s_cbranch_vccz .LBB28_4
	s_branch .LBB28_5
	.section	.rodata,"a",@progbits
	.p2align	6, 0x0
	.amdhsa_kernel _ZN2at6native12_GLOBAL__N_143distribution_elementwise_grid_stride_kernelImLi2EZZZNS0_9templates4cuda21random_from_to_kernelIPNS_17CUDAGeneratorImplEEEvRNS_18TensorIteratorBaseEmlT_ENKUlvE_clEvENKUlvE6_clEvEUlP25hiprandStatePhilox4_32_10E_ZNS1_27distribution_nullary_kernelIbm15HIP_vector_typeIyLj2EES7_SF_ZZZNS5_IS7_EEvS9_mlSA_ENKSB_clEvENKSC_clEvEUlmE_EEvS9_T2_RKT3_T4_EUlimE_EEvlNS_15PhiloxCudaStateET1_SK_
		.amdhsa_group_segment_fixed_size 0
		.amdhsa_private_segment_fixed_size 0
		.amdhsa_kernarg_size 336
		.amdhsa_user_sgpr_count 6
		.amdhsa_user_sgpr_private_segment_buffer 1
		.amdhsa_user_sgpr_dispatch_ptr 0
		.amdhsa_user_sgpr_queue_ptr 0
		.amdhsa_user_sgpr_kernarg_segment_ptr 1
		.amdhsa_user_sgpr_dispatch_id 0
		.amdhsa_user_sgpr_flat_scratch_init 0
		.amdhsa_user_sgpr_kernarg_preload_length 0
		.amdhsa_user_sgpr_kernarg_preload_offset 0
		.amdhsa_user_sgpr_private_segment_size 0
		.amdhsa_uses_dynamic_stack 0
		.amdhsa_system_sgpr_private_segment_wavefront_offset 0
		.amdhsa_system_sgpr_workgroup_id_x 1
		.amdhsa_system_sgpr_workgroup_id_y 0
		.amdhsa_system_sgpr_workgroup_id_z 0
		.amdhsa_system_sgpr_workgroup_info 0
		.amdhsa_system_vgpr_workitem_id 0
		.amdhsa_next_free_vgpr 48
		.amdhsa_next_free_sgpr 27
		.amdhsa_accum_offset 48
		.amdhsa_reserve_vcc 1
		.amdhsa_reserve_flat_scratch 0
		.amdhsa_float_round_mode_32 0
		.amdhsa_float_round_mode_16_64 0
		.amdhsa_float_denorm_mode_32 3
		.amdhsa_float_denorm_mode_16_64 3
		.amdhsa_dx10_clamp 1
		.amdhsa_ieee_mode 1
		.amdhsa_fp16_overflow 0
		.amdhsa_tg_split 0
		.amdhsa_exception_fp_ieee_invalid_op 0
		.amdhsa_exception_fp_denorm_src 0
		.amdhsa_exception_fp_ieee_div_zero 0
		.amdhsa_exception_fp_ieee_overflow 0
		.amdhsa_exception_fp_ieee_underflow 0
		.amdhsa_exception_fp_ieee_inexact 0
		.amdhsa_exception_int_div_zero 0
	.end_amdhsa_kernel
	.section	.text._ZN2at6native12_GLOBAL__N_143distribution_elementwise_grid_stride_kernelImLi2EZZZNS0_9templates4cuda21random_from_to_kernelIPNS_17CUDAGeneratorImplEEEvRNS_18TensorIteratorBaseEmlT_ENKUlvE_clEvENKUlvE6_clEvEUlP25hiprandStatePhilox4_32_10E_ZNS1_27distribution_nullary_kernelIbm15HIP_vector_typeIyLj2EES7_SF_ZZZNS5_IS7_EEvS9_mlSA_ENKSB_clEvENKSC_clEvEUlmE_EEvS9_T2_RKT3_T4_EUlimE_EEvlNS_15PhiloxCudaStateET1_SK_,"axG",@progbits,_ZN2at6native12_GLOBAL__N_143distribution_elementwise_grid_stride_kernelImLi2EZZZNS0_9templates4cuda21random_from_to_kernelIPNS_17CUDAGeneratorImplEEEvRNS_18TensorIteratorBaseEmlT_ENKUlvE_clEvENKUlvE6_clEvEUlP25hiprandStatePhilox4_32_10E_ZNS1_27distribution_nullary_kernelIbm15HIP_vector_typeIyLj2EES7_SF_ZZZNS5_IS7_EEvS9_mlSA_ENKSB_clEvENKSC_clEvEUlmE_EEvS9_T2_RKT3_T4_EUlimE_EEvlNS_15PhiloxCudaStateET1_SK_,comdat
.Lfunc_end28:
	.size	_ZN2at6native12_GLOBAL__N_143distribution_elementwise_grid_stride_kernelImLi2EZZZNS0_9templates4cuda21random_from_to_kernelIPNS_17CUDAGeneratorImplEEEvRNS_18TensorIteratorBaseEmlT_ENKUlvE_clEvENKUlvE6_clEvEUlP25hiprandStatePhilox4_32_10E_ZNS1_27distribution_nullary_kernelIbm15HIP_vector_typeIyLj2EES7_SF_ZZZNS5_IS7_EEvS9_mlSA_ENKSB_clEvENKSC_clEvEUlmE_EEvS9_T2_RKT3_T4_EUlimE_EEvlNS_15PhiloxCudaStateET1_SK_, .Lfunc_end28-_ZN2at6native12_GLOBAL__N_143distribution_elementwise_grid_stride_kernelImLi2EZZZNS0_9templates4cuda21random_from_to_kernelIPNS_17CUDAGeneratorImplEEEvRNS_18TensorIteratorBaseEmlT_ENKUlvE_clEvENKUlvE6_clEvEUlP25hiprandStatePhilox4_32_10E_ZNS1_27distribution_nullary_kernelIbm15HIP_vector_typeIyLj2EES7_SF_ZZZNS5_IS7_EEvS9_mlSA_ENKSB_clEvENKSC_clEvEUlmE_EEvS9_T2_RKT3_T4_EUlimE_EEvlNS_15PhiloxCudaStateET1_SK_
                                        ; -- End function
	.section	.AMDGPU.csdata,"",@progbits
; Kernel info:
; codeLenInByte = 3656
; NumSgprs: 31
; NumVgprs: 48
; NumAgprs: 0
; TotalNumVgprs: 48
; ScratchSize: 0
; MemoryBound: 0
; FloatMode: 240
; IeeeMode: 1
; LDSByteSize: 0 bytes/workgroup (compile time only)
; SGPRBlocks: 3
; VGPRBlocks: 5
; NumSGPRsForWavesPerEU: 31
; NumVGPRsForWavesPerEU: 48
; AccumOffset: 48
; Occupancy: 8
; WaveLimiterHint : 0
; COMPUTE_PGM_RSRC2:SCRATCH_EN: 0
; COMPUTE_PGM_RSRC2:USER_SGPR: 6
; COMPUTE_PGM_RSRC2:TRAP_HANDLER: 0
; COMPUTE_PGM_RSRC2:TGID_X_EN: 1
; COMPUTE_PGM_RSRC2:TGID_Y_EN: 0
; COMPUTE_PGM_RSRC2:TGID_Z_EN: 0
; COMPUTE_PGM_RSRC2:TIDIG_COMP_CNT: 0
; COMPUTE_PGM_RSRC3_GFX90A:ACCUM_OFFSET: 11
; COMPUTE_PGM_RSRC3_GFX90A:TG_SPLIT: 0
	.section	.text._ZN2at6native12_GLOBAL__N_143distribution_elementwise_grid_stride_kernelImLi2EZZZNS0_9templates4cuda21random_from_to_kernelIPNS_17CUDAGeneratorImplEEEvRNS_18TensorIteratorBaseEmlT_ENKUlvE_clEvENKUlvE6_clEvEUlP25hiprandStatePhilox4_32_10E_ZNS1_27distribution_nullary_kernelIbm15HIP_vector_typeIyLj2EES7_SF_ZZZNS5_IS7_EEvS9_mlSA_ENKSB_clEvENKSC_clEvEUlmE_EEvS9_T2_RKT3_T4_EUlimE0_EEvlNS_15PhiloxCudaStateET1_SK_,"axG",@progbits,_ZN2at6native12_GLOBAL__N_143distribution_elementwise_grid_stride_kernelImLi2EZZZNS0_9templates4cuda21random_from_to_kernelIPNS_17CUDAGeneratorImplEEEvRNS_18TensorIteratorBaseEmlT_ENKUlvE_clEvENKUlvE6_clEvEUlP25hiprandStatePhilox4_32_10E_ZNS1_27distribution_nullary_kernelIbm15HIP_vector_typeIyLj2EES7_SF_ZZZNS5_IS7_EEvS9_mlSA_ENKSB_clEvENKSC_clEvEUlmE_EEvS9_T2_RKT3_T4_EUlimE0_EEvlNS_15PhiloxCudaStateET1_SK_,comdat
	.globl	_ZN2at6native12_GLOBAL__N_143distribution_elementwise_grid_stride_kernelImLi2EZZZNS0_9templates4cuda21random_from_to_kernelIPNS_17CUDAGeneratorImplEEEvRNS_18TensorIteratorBaseEmlT_ENKUlvE_clEvENKUlvE6_clEvEUlP25hiprandStatePhilox4_32_10E_ZNS1_27distribution_nullary_kernelIbm15HIP_vector_typeIyLj2EES7_SF_ZZZNS5_IS7_EEvS9_mlSA_ENKSB_clEvENKSC_clEvEUlmE_EEvS9_T2_RKT3_T4_EUlimE0_EEvlNS_15PhiloxCudaStateET1_SK_ ; -- Begin function _ZN2at6native12_GLOBAL__N_143distribution_elementwise_grid_stride_kernelImLi2EZZZNS0_9templates4cuda21random_from_to_kernelIPNS_17CUDAGeneratorImplEEEvRNS_18TensorIteratorBaseEmlT_ENKUlvE_clEvENKUlvE6_clEvEUlP25hiprandStatePhilox4_32_10E_ZNS1_27distribution_nullary_kernelIbm15HIP_vector_typeIyLj2EES7_SF_ZZZNS5_IS7_EEvS9_mlSA_ENKSB_clEvENKSC_clEvEUlmE_EEvS9_T2_RKT3_T4_EUlimE0_EEvlNS_15PhiloxCudaStateET1_SK_
	.p2align	8
	.type	_ZN2at6native12_GLOBAL__N_143distribution_elementwise_grid_stride_kernelImLi2EZZZNS0_9templates4cuda21random_from_to_kernelIPNS_17CUDAGeneratorImplEEEvRNS_18TensorIteratorBaseEmlT_ENKUlvE_clEvENKUlvE6_clEvEUlP25hiprandStatePhilox4_32_10E_ZNS1_27distribution_nullary_kernelIbm15HIP_vector_typeIyLj2EES7_SF_ZZZNS5_IS7_EEvS9_mlSA_ENKSB_clEvENKSC_clEvEUlmE_EEvS9_T2_RKT3_T4_EUlimE0_EEvlNS_15PhiloxCudaStateET1_SK_,@function
_ZN2at6native12_GLOBAL__N_143distribution_elementwise_grid_stride_kernelImLi2EZZZNS0_9templates4cuda21random_from_to_kernelIPNS_17CUDAGeneratorImplEEEvRNS_18TensorIteratorBaseEmlT_ENKUlvE_clEvENKUlvE6_clEvEUlP25hiprandStatePhilox4_32_10E_ZNS1_27distribution_nullary_kernelIbm15HIP_vector_typeIyLj2EES7_SF_ZZZNS5_IS7_EEvS9_mlSA_ENKSB_clEvENKSC_clEvEUlmE_EEvS9_T2_RKT3_T4_EUlimE0_EEvlNS_15PhiloxCudaStateET1_SK_: ; @_ZN2at6native12_GLOBAL__N_143distribution_elementwise_grid_stride_kernelImLi2EZZZNS0_9templates4cuda21random_from_to_kernelIPNS_17CUDAGeneratorImplEEEvRNS_18TensorIteratorBaseEmlT_ENKUlvE_clEvENKUlvE6_clEvEUlP25hiprandStatePhilox4_32_10E_ZNS1_27distribution_nullary_kernelIbm15HIP_vector_typeIyLj2EES7_SF_ZZZNS5_IS7_EEvS9_mlSA_ENKSB_clEvENKSC_clEvEUlmE_EEvS9_T2_RKT3_T4_EUlimE0_EEvlNS_15PhiloxCudaStateET1_SK_
; %bb.0:
	s_load_dword s2, s[4:5], 0x20
	s_load_dwordx2 s[0:1], s[4:5], 0x10
	s_load_dwordx4 s[24:27], s[4:5], 0x0
	s_waitcnt lgkmcnt(0)
	s_bitcmp0_b32 s2, 0
	s_mov_b32 s2, 0
	v_pk_mov_b32 v[2:3], s[0:1], s[0:1] op_sel:[0,1]
	v_pk_mov_b32 v[12:13], s[26:27], s[26:27] op_sel:[0,1]
	s_cbranch_scc1 .LBB29_2
; %bb.1:
	v_pk_mov_b32 v[2:3], s[0:1], s[0:1] op_sel:[0,1]
	flat_load_dwordx2 v[2:3], v[2:3]
	v_pk_mov_b32 v[4:5], s[26:27], s[26:27] op_sel:[0,1]
	flat_load_dwordx2 v[12:13], v[4:5]
	s_load_dwordx2 s[0:1], s[4:5], 0x18
	s_waitcnt lgkmcnt(0)
	v_mov_b32_e32 v1, s1
	s_waitcnt vmcnt(0)
	v_add_co_u32_e32 v2, vcc, s0, v2
	v_addc_co_u32_e32 v3, vcc, v3, v1, vcc
.LBB29_2:
	s_load_dword s0, s[4:5], 0x15c
	s_load_dword s7, s[4:5], 0x150
	s_waitcnt lgkmcnt(0)
	s_and_b32 s8, s0, 0xffff
	s_add_u32 s9, s24, -1
	s_mul_i32 s33, s7, s8
	s_addc_u32 s3, s25, -1
	s_lshl_b32 s62, s33, 1
	s_cmp_lg_u64 s[2:3], 0
	s_mov_b64 s[0:1], -1
	s_cbranch_scc0 .LBB29_59
; %bb.3:
	v_cvt_f32_u32_e32 v1, s62
	v_cvt_f32_ubyte0_e32 v4, 0
	s_sub_u32 s2, 0, s62
	s_subb_u32 s10, 0, 0
	v_madmk_f32 v1, v4, 0x4f800000, v1
	v_rcp_f32_e32 v1, v1
	v_mul_f32_e32 v1, 0x5f7ffffc, v1
	v_mul_f32_e32 v4, 0x2f800000, v1
	v_trunc_f32_e32 v4, v4
	v_madmk_f32 v1, v4, 0xcf800000, v1
	v_cvt_u32_f32_e32 v4, v4
	v_cvt_u32_f32_e32 v1, v1
	v_readfirstlane_b32 s11, v4
	v_readfirstlane_b32 s12, v1
	s_mul_i32 s13, s2, s11
	s_mul_hi_u32 s15, s2, s12
	s_mul_i32 s14, s10, s12
	s_add_i32 s13, s15, s13
	s_add_i32 s13, s13, s14
	s_mul_i32 s16, s2, s12
	s_mul_hi_u32 s14, s12, s13
	s_mul_i32 s15, s12, s13
	s_mul_hi_u32 s12, s12, s16
	s_add_u32 s12, s12, s15
	s_addc_u32 s14, 0, s14
	s_mul_hi_u32 s17, s11, s16
	s_mul_i32 s16, s11, s16
	s_add_u32 s12, s12, s16
	s_mul_hi_u32 s15, s11, s13
	s_addc_u32 s12, s14, s17
	s_addc_u32 s14, s15, 0
	s_mul_i32 s13, s11, s13
	s_add_u32 s12, s12, s13
	s_addc_u32 s13, 0, s14
	v_add_co_u32_e32 v1, vcc, s12, v1
	s_cmp_lg_u64 vcc, 0
	s_addc_u32 s11, s11, s13
	v_readfirstlane_b32 s13, v1
	s_mul_i32 s12, s2, s11
	s_mul_hi_u32 s14, s2, s13
	s_add_i32 s12, s14, s12
	s_mul_i32 s10, s10, s13
	s_add_i32 s12, s12, s10
	s_mul_i32 s2, s2, s13
	s_mul_hi_u32 s14, s11, s2
	s_mul_i32 s15, s11, s2
	s_mul_i32 s17, s13, s12
	s_mul_hi_u32 s2, s13, s2
	s_mul_hi_u32 s16, s13, s12
	s_add_u32 s2, s2, s17
	s_addc_u32 s13, 0, s16
	s_add_u32 s2, s2, s15
	s_mul_hi_u32 s10, s11, s12
	s_addc_u32 s2, s13, s14
	s_addc_u32 s10, s10, 0
	s_mul_i32 s12, s11, s12
	s_add_u32 s2, s2, s12
	s_addc_u32 s10, 0, s10
	v_add_co_u32_e32 v1, vcc, s2, v1
	s_cmp_lg_u64 vcc, 0
	s_addc_u32 s12, s11, s10
	s_ashr_i32 s10, s3, 31
	s_add_u32 s2, s9, s10
	s_mov_b32 s11, s10
	s_addc_u32 s3, s3, s10
	s_xor_b64 s[2:3], s[2:3], s[10:11]
	v_readfirstlane_b32 s15, v1
	s_mul_i32 s14, s2, s12
	s_mul_hi_u32 s16, s2, s15
	s_mul_hi_u32 s13, s2, s12
	s_add_u32 s14, s16, s14
	s_addc_u32 s13, 0, s13
	s_mul_hi_u32 s17, s3, s15
	s_mul_i32 s15, s3, s15
	s_add_u32 s14, s14, s15
	s_mul_hi_u32 s16, s3, s12
	s_addc_u32 s13, s13, s17
	s_addc_u32 s14, s16, 0
	s_mul_i32 s12, s3, s12
	s_add_u32 s12, s13, s12
	s_addc_u32 s13, 0, s14
	s_add_u32 s14, s12, 1
	s_addc_u32 s15, s13, 0
	s_add_u32 s16, s12, 2
	s_mul_i32 s18, s62, s13
	s_mul_hi_u32 s19, s62, s12
	s_addc_u32 s17, s13, 0
	s_add_i32 s19, s19, s18
	s_mul_i32 s18, s62, s12
	v_mov_b32_e32 v1, s18
	v_sub_co_u32_e32 v1, vcc, s2, v1
	s_cmp_lg_u64 vcc, 0
	s_subb_u32 s2, s3, s19
	v_subrev_co_u32_e32 v4, vcc, s62, v1
	s_cmp_lg_u64 vcc, 0
	s_subb_u32 s3, s2, 0
	v_readfirstlane_b32 s18, v4
	s_cmp_ge_u32 s18, s62
	s_cselect_b32 s18, -1, 0
	s_cmp_eq_u32 s3, 0
	s_cselect_b32 s3, s18, -1
	s_cmp_lg_u32 s3, 0
	s_cselect_b32 s3, s17, s15
	v_readfirstlane_b32 s15, v1
	s_cselect_b32 s14, s16, s14
	s_cmp_ge_u32 s15, s62
	s_cselect_b32 s15, -1, 0
	s_cmp_eq_u32 s2, 0
	s_cselect_b32 s2, s15, -1
	s_cmp_lg_u32 s2, 0
	s_cselect_b32 s3, s3, s13
	s_cselect_b32 s2, s14, s12
	s_xor_b64 s[2:3], s[2:3], s[10:11]
	s_sub_u32 s2, s2, s10
	s_subb_u32 s3, s3, s10
	s_cbranch_execnz .LBB29_5
.LBB29_4:
	v_cvt_f32_u32_e32 v1, s62
	s_sub_i32 s0, 0, s62
	s_mov_b32 s3, 0
	v_rcp_iflag_f32_e32 v1, v1
	v_mul_f32_e32 v1, 0x4f7ffffe, v1
	v_cvt_u32_f32_e32 v1, v1
	v_readfirstlane_b32 s1, v1
	s_mul_i32 s0, s0, s1
	s_mul_hi_u32 s0, s1, s0
	s_add_i32 s1, s1, s0
	s_mul_hi_u32 s0, s9, s1
	s_mul_i32 s2, s0, s62
	s_sub_i32 s2, s9, s2
	s_add_i32 s1, s0, 1
	s_sub_i32 s9, s2, s62
	s_cmp_ge_u32 s2, s62
	s_cselect_b32 s0, s1, s0
	s_cselect_b32 s2, s9, s2
	s_add_i32 s1, s0, 1
	s_cmp_ge_u32 s2, s62
	s_cselect_b32 s2, s1, s0
.LBB29_5:
	v_mov_b32_e32 v14, 0
	v_mov_b32_e32 v1, v14
	;; [unrolled: 1-line block ×3, first 2 shown]
	v_mad_u64_u32 v[16:17], s[0:1], s8, v4, v[0:1]
	s_add_u32 s0, s2, 1
	s_addc_u32 s1, s3, 0
	s_mul_hi_u32 s2, s7, s8
	s_mul_i32 s1, s33, s1
	s_mul_hi_u32 s3, s33, s0
	s_add_i32 s1, s3, s1
	s_mul_i32 s2, s2, s0
	s_add_i32 s1, s1, s2
	s_mul_i32 s0, s33, s0
	s_lshl_b64 s[26:27], s[0:1], 1
	v_cmp_gt_i64_e32 vcc, s[26:27], v[16:17]
	s_and_saveexec_b64 s[0:1], vcc
	s_cbranch_execz .LBB29_58
; %bb.6:
	s_mov_b32 s0, 0x5384540f
	v_mov_b32_e32 v0, v13
	v_add_co_u32_e32 v24, vcc, s0, v12
	s_mov_b32 s0, 0x646e171e
	v_add_co_u32_e32 v25, vcc, s0, v0
	s_mov_b32 s0, 0x1715609d
	;; [unrolled: 2-line block ×6, first 2 shown]
	v_alignbit_b32 v31, v3, v2, 2
	s_mov_b32 s64, 0xd2511f53
	v_add_co_u32_e32 v30, vcc, s0, v12
	v_mad_u64_u32 v[4:5], s[0:1], v31, s64, 0
	v_xor_b32_e32 v1, v5, v13
	v_xor_b32_e32 v1, v1, v17
	s_mov_b32 s65, 0xcd9e8d57
	v_mad_u64_u32 v[6:7], s[0:1], v1, s65, 0
	v_xor_b32_e32 v1, v30, v7
	v_mad_u64_u32 v[8:9], s[0:1], v16, s65, 0
	v_and_b32_e32 v20, 3, v2
	v_xor_b32_e32 v1, v1, v8
	v_xor_b32_e32 v2, v12, v9
	v_lshrrev_b32_e32 v32, 2, v3
	v_mad_u64_u32 v[10:11], s[0:1], v1, s64, 0
	v_xor_b32_e32 v2, v2, v32
	v_xor_b32_e32 v1, v29, v11
	v_mad_u64_u32 v[2:3], s[0:1], v2, s64, 0
	v_xor_b32_e32 v1, v1, v2
	v_mad_u64_u32 v[8:9], s[0:1], v1, s65, 0
	s_mov_b32 s0, 0xbb67ae85
	v_add_co_u32_e32 v33, vcc, s0, v0
	v_xor_b32_e32 v2, v33, v3
	v_xor_b32_e32 v2, v2, v4
	v_xor_b32_e32 v1, v28, v9
	v_mad_u64_u32 v[2:3], s[0:1], v2, s65, 0
	v_xor_b32_e32 v1, v1, v2
	v_mad_u64_u32 v[4:5], s[0:1], v1, s64, 0
	s_mov_b32 s0, 0x3c6ef372
	v_add_co_u32_e32 v34, vcc, s0, v12
	v_xor_b32_e32 v2, v34, v3
	;; [unrolled: 8-line block ×6, first 2 shown]
	v_add_co_u32_e32 v23, vcc, 0xdb3d7428, v0
	v_xor_b32_e32 v2, v2, v6
	v_xor_b32_e32 v1, v23, v5
	v_mad_u64_u32 v[2:3], s[0:1], v2, s64, 0
	v_xor_b32_e32 v1, v1, v2
	v_mad_u64_u32 v[6:7], s[0:1], v1, s65, 0
	s_mov_b32 s0, 0x1fd5c5a3
	v_add_co_u32_e32 v39, vcc, s0, v0
	v_xor_b32_e32 v0, v39, v3
	v_xor_b32_e32 v0, v0, v10
	v_mad_u64_u32 v[0:1], s[0:1], v0, s65, 0
	s_load_dwordx8 s[8:15], s[4:5], 0x30
	s_mov_b32 s0, 0xf1bbcdc8
	v_add_co_u32_e32 v40, vcc, s0, v12
	v_xor_b32_e32 v1, v40, v1
	s_add_u32 s34, s4, 48
	v_xor_b32_e32 v1, v1, v8
	s_addc_u32 s35, s5, 0
	v_mad_u64_u32 v[8:9], s[0:1], v1, s64, 0
	s_waitcnt lgkmcnt(0)
	s_add_i32 s2, s8, -1
	s_cmp_gt_u32 s2, 1
	s_load_dwordx2 s[0:1], s[4:5], 0x148
	s_cselect_b64 s[40:41], -1, 0
	s_cmp_lg_u32 s8, 0
	s_cselect_b64 s[42:43], -1, 0
	s_add_u32 s44, s4, 0xf4
	s_addc_u32 s45, s5, 0
	s_min_u32 s3, s2, 15
	s_cmp_gt_u32 s8, 1
	s_cselect_b64 s[46:47], -1, 0
	s_waitcnt lgkmcnt(0)
	s_sub_u32 s52, 0, s0
	s_subb_u32 s53, 0, s1
	s_add_i32 s3, s3, 1
	s_mov_b32 s8, s13
	s_load_dwordx2 s[48:49], s[4:5], 0xf4
	s_load_dwordx4 s[28:31], s[4:5], 0x138
	s_and_b32 s13, s3, 3
	s_cmp_lg_u32 s2, 2
	s_cselect_b64 s[54:55], -1, 0
	s_and_b32 s15, s3, 28
	v_add_u32_e32 v21, 0x8ff34781, v12
	v_add_u32_e32 v22, 0x96a522ad, v13
	v_xor_b32_e32 v0, v7, v0
	v_xor_b32_e32 v1, v9, v4
	s_cmp_lg_u32 s13, 0
	s_mov_b32 s63, 0
	v_xor_b32_e32 v0, v21, v0
	v_xor_b32_e32 v2, v22, v1
	v_mov_b32_e32 v1, v6
	v_mov_b32_e32 v3, v8
	s_mov_b64 s[50:51], 0
	s_cselect_b64 s[56:57], -1, 0
	v_mov_b32_e32 v41, v16
	v_mov_b32_e32 v42, v17
	s_branch .LBB29_9
.LBB29_7:                               ;   in Loop: Header=BB29_9 Depth=1
	s_or_b64 exec, exec, s[0:1]
	v_cmp_ne_u64_e32 vcc, s[52:53], v[10:11]
	v_cndmask_b32_e64 v0, 0, 1, vcc
	global_store_byte v8, v0, s[28:29]
.LBB29_8:                               ;   in Loop: Header=BB29_9 Depth=1
	s_or_b64 exec, exec, s[36:37]
	v_add_co_u32_e32 v16, vcc, s62, v16
	v_addc_co_u32_e32 v17, vcc, 0, v17, vcc
	v_mov_b32_e32 v7, v18
	v_cmp_le_i64_e32 vcc, s[26:27], v[16:17]
	v_pk_mov_b32 v[0:1], v[4:5], v[4:5] op_sel:[0,1]
	s_or_b64 s[50:51], vcc, s[50:51]
	v_pk_mov_b32 v[2:3], v[6:7], v[6:7] op_sel:[0,1]
	s_waitcnt lgkmcnt(0)
	s_barrier
	s_andn2_b64 exec, exec, s[50:51]
	s_cbranch_execz .LBB29_58
.LBB29_9:                               ; =>This Loop Header: Depth=1
                                        ;     Child Loop BB29_24 Depth 2
                                        ;     Child Loop BB29_30 Depth 2
                                        ;     Child Loop BB29_44 Depth 2
                                        ;     Child Loop BB29_50 Depth 2
	v_add_co_u32_e32 v31, vcc, 1, v31
	v_cndmask_b32_e64 v4, 0, 1, vcc
	v_addc_co_u32_e32 v32, vcc, 0, v32, vcc
	v_cmp_eq_u32_e32 vcc, 0, v32
	v_cndmask_b32_e32 v4, 0, v4, vcc
	v_add_u32_e32 v41, v4, v41
	v_cmp_eq_u32_e32 vcc, 0, v41
	v_cndmask_b32_e32 v4, 0, v4, vcc
	v_add_u32_e32 v42, v4, v42
	v_mad_u64_u32 v[4:5], s[0:1], v31, s64, 0
	v_mad_u64_u32 v[6:7], s[0:1], v41, s65, 0
	v_xor_b32_e32 v5, v5, v13
	v_xor_b32_e32 v7, v7, v12
	v_xor_b32_e32 v5, v42, v5
	v_xor_b32_e32 v7, v32, v7
	v_mad_u64_u32 v[10:11], s[0:1], v5, s65, 0
	v_mad_u64_u32 v[8:9], s[0:1], v7, s64, 0
	v_xor_b32_e32 v5, v30, v11
	v_xor_b32_e32 v5, v5, v6
	v_xor_b32_e32 v6, v33, v9
	v_xor_b32_e32 v6, v6, v4
	;; [unrolled: 6-line block ×10, first 2 shown]
	v_mov_b32_e32 v5, v10
	v_mov_b32_e32 v6, v11
	v_cmp_lt_i32_e32 vcc, 1, v20
	s_and_saveexec_b64 s[0:1], vcc
	s_xor_b64 s[0:1], exec, s[0:1]
	s_cbranch_execz .LBB29_15
; %bb.10:                               ;   in Loop: Header=BB29_9 Depth=1
	v_cmp_lt_i32_e32 vcc, 2, v20
	s_and_saveexec_b64 s[2:3], vcc
	s_xor_b64 s[2:3], exec, s[2:3]
; %bb.11:                               ;   in Loop: Header=BB29_9 Depth=1
	v_mov_b32_e32 v8, v3
	v_mov_b32_e32 v9, v4
	v_pk_mov_b32 v[0:1], v[8:9], v[8:9] op_sel:[0,1]
	v_pk_mov_b32 v[2:3], v[10:11], v[10:11] op_sel:[0,1]
                                        ; implicit-def: $vgpr10_vgpr11
; %bb.12:                               ;   in Loop: Header=BB29_9 Depth=1
	s_andn2_saveexec_b64 s[2:3], s[2:3]
; %bb.13:                               ;   in Loop: Header=BB29_9 Depth=1
	v_mov_b32_e32 v0, v2
	v_mov_b32_e32 v1, v3
	;; [unrolled: 1-line block ×4, first 2 shown]
; %bb.14:                               ;   in Loop: Header=BB29_9 Depth=1
	s_or_b64 exec, exec, s[2:3]
.LBB29_15:                              ;   in Loop: Header=BB29_9 Depth=1
	s_andn2_saveexec_b64 s[0:1], s[0:1]
	s_cbranch_execz .LBB29_19
; %bb.16:                               ;   in Loop: Header=BB29_9 Depth=1
	v_cmp_eq_u32_e32 vcc, 1, v20
	s_and_saveexec_b64 s[2:3], vcc
; %bb.17:                               ;   in Loop: Header=BB29_9 Depth=1
	v_mov_b32_e32 v0, v1
	v_mov_b32_e32 v1, v2
	;; [unrolled: 1-line block ×4, first 2 shown]
; %bb.18:                               ;   in Loop: Header=BB29_9 Depth=1
	s_or_b64 exec, exec, s[2:3]
.LBB29_19:                              ;   in Loop: Header=BB29_9 Depth=1
	s_or_b64 exec, exec, s[0:1]
	v_cndmask_b32_e64 v7, 0, 1, s[40:41]
	v_cmp_gt_i64_e32 vcc, s[24:25], v[16:17]
	v_cmp_ne_u32_e64 s[0:1], 1, v7
	s_and_saveexec_b64 s[58:59], vcc
	s_cbranch_execz .LBB29_39
; %bb.20:                               ;   in Loop: Header=BB29_9 Depth=1
	s_and_b64 vcc, exec, s[0:1]
	s_cbranch_vccnz .LBB29_26
; %bb.21:                               ;   in Loop: Header=BB29_9 Depth=1
	s_andn2_b64 vcc, exec, s[42:43]
	s_cbranch_vccnz .LBB29_27
; %bb.22:                               ;   in Loop: Header=BB29_9 Depth=1
	s_mov_b32 s4, 0
	s_andn2_b64 vcc, exec, s[54:55]
	v_mov_b32_e32 v8, 0
	s_cbranch_vccnz .LBB29_28
; %bb.23:                               ;   in Loop: Header=BB29_9 Depth=1
	s_mov_b32 s66, 0
	v_mov_b32_e32 v8, 0
	s_mov_b64 s[2:3], s[34:35]
	s_mov_b64 s[60:61], s[44:45]
	v_mov_b32_e32 v7, v16
.LBB29_24:                              ;   Parent Loop BB29_9 Depth=1
                                        ; =>  This Inner Loop Header: Depth=2
	s_load_dwordx8 s[16:23], s[2:3], 0x4
	s_load_dwordx4 s[4:7], s[2:3], 0x24
	s_load_dwordx4 s[36:39], s[60:61], 0x0
	s_add_u32 s2, s2, 48
	s_addc_u32 s3, s3, 0
	s_waitcnt lgkmcnt(0)
	v_mul_hi_u32 v9, s17, v7
	v_add_u32_e32 v9, v7, v9
	v_lshrrev_b32_e32 v9, s18, v9
	v_mul_lo_u32 v10, v9, s16
	v_mul_hi_u32 v11, s20, v9
	v_sub_u32_e32 v7, v7, v10
	v_add_u32_e32 v10, v9, v11
	v_lshrrev_b32_e32 v10, s21, v10
	v_mul_lo_u32 v11, v10, s19
	v_mul_hi_u32 v15, s23, v10
	v_sub_u32_e32 v9, v9, v11
	v_add_u32_e32 v11, v10, v15
	v_mul_lo_u32 v7, v7, s36
	v_mul_lo_u32 v9, v9, s37
	v_lshrrev_b32_e32 v11, s4, v11
	v_add3_u32 v8, v7, v8, v9
	v_mul_lo_u32 v7, v11, s22
	v_mul_hi_u32 v9, s6, v11
	v_sub_u32_e32 v7, v10, v7
	v_add_u32_e32 v9, v11, v9
	v_mul_lo_u32 v10, v7, s38
	v_lshrrev_b32_e32 v7, s7, v9
	s_add_i32 s66, s66, 4
	v_mul_lo_u32 v9, v7, s5
	s_add_u32 s60, s60, 16
	v_sub_u32_e32 v9, v11, v9
	s_addc_u32 s61, s61, 0
	v_mul_lo_u32 v9, v9, s39
	s_cmp_lg_u32 s15, s66
	v_add3_u32 v8, v10, v8, v9
	s_cbranch_scc1 .LBB29_24
; %bb.25:                               ;   in Loop: Header=BB29_9 Depth=1
	s_mov_b32 s4, s15
	s_andn2_b64 vcc, exec, s[56:57]
	s_cbranch_vccz .LBB29_29
	s_branch .LBB29_31
.LBB29_26:                              ;   in Loop: Header=BB29_9 Depth=1
                                        ; implicit-def: $vgpr8
	s_branch .LBB29_32
.LBB29_27:                              ;   in Loop: Header=BB29_9 Depth=1
	v_mov_b32_e32 v8, 0
	s_branch .LBB29_31
.LBB29_28:                              ;   in Loop: Header=BB29_9 Depth=1
	v_mov_b32_e32 v7, v16
	s_andn2_b64 vcc, exec, s[56:57]
	s_cbranch_vccnz .LBB29_31
.LBB29_29:                              ;   in Loop: Header=BB29_9 Depth=1
	s_lshl_b32 s2, s4, 2
	s_add_u32 s2, s44, s2
	s_addc_u32 s3, s45, 0
	s_mul_i32 s4, s4, 12
	s_add_u32 s4, s34, s4
	s_addc_u32 s5, s35, 0
	s_mov_b32 s6, s13
.LBB29_30:                              ;   Parent Loop BB29_9 Depth=1
                                        ; =>  This Inner Loop Header: Depth=2
	s_load_dwordx2 s[16:17], s[4:5], 0x4
	s_load_dword s7, s[4:5], 0xc
	s_load_dword s18, s[2:3], 0x0
	s_add_u32 s4, s4, 12
	s_addc_u32 s5, s5, 0
	s_waitcnt lgkmcnt(0)
	v_mul_hi_u32 v9, s17, v7
	v_add_u32_e32 v9, v7, v9
	v_lshrrev_b32_e32 v9, s7, v9
	s_add_u32 s2, s2, 4
	v_mul_lo_u32 v10, v9, s16
	s_addc_u32 s3, s3, 0
	s_add_i32 s6, s6, -1
	v_sub_u32_e32 v10, v7, v10
	s_cmp_lg_u32 s6, 0
	v_mov_b32_e32 v7, v9
	v_mad_u64_u32 v[8:9], s[16:17], v10, s18, v[8:9]
	s_cbranch_scc1 .LBB29_30
.LBB29_31:                              ;   in Loop: Header=BB29_9 Depth=1
	s_cbranch_execnz .LBB29_34
.LBB29_32:                              ;   in Loop: Header=BB29_9 Depth=1
	v_mul_hi_u32 v7, v16, s10
	v_add_u32_e32 v7, v7, v16
	v_lshrrev_b32_e32 v7, s11, v7
	v_mul_lo_u32 v8, v7, s9
	v_sub_u32_e32 v8, v16, v8
	s_andn2_b64 vcc, exec, s[46:47]
	s_waitcnt lgkmcnt(0)
	v_mul_lo_u32 v8, v8, s48
	s_cbranch_vccnz .LBB29_34
; %bb.33:                               ;   in Loop: Header=BB29_9 Depth=1
	v_mul_hi_u32 v9, s8, v7
	v_add_u32_e32 v9, v7, v9
	v_lshrrev_b32_e32 v9, s14, v9
	v_mul_lo_u32 v9, v9, s12
	v_sub_u32_e32 v7, v7, v9
	v_mad_u64_u32 v[8:9], s[2:3], v7, s49, v[8:9]
.LBB29_34:                              ;   in Loop: Header=BB29_9 Depth=1
	s_waitcnt lgkmcnt(0)
	v_or_b32_e32 v15, s31, v0
	v_cmp_ne_u64_e32 vcc, 0, v[14:15]
                                        ; implicit-def: $vgpr10_vgpr11
	s_and_saveexec_b64 s[2:3], vcc
	s_xor_b64 s[6:7], exec, s[2:3]
	s_cbranch_execz .LBB29_36
; %bb.35:                               ;   in Loop: Header=BB29_9 Depth=1
	v_cvt_f32_u32_e32 v7, s30
	v_cvt_f32_u32_e32 v9, s31
	s_sub_u32 s2, 0, s30
	s_subb_u32 s3, 0, s31
	v_mac_f32_e32 v7, 0x4f800000, v9
	v_rcp_f32_e32 v7, v7
	v_mul_f32_e32 v7, 0x5f7ffffc, v7
	v_mul_f32_e32 v9, 0x2f800000, v7
	v_trunc_f32_e32 v9, v9
	v_mac_f32_e32 v7, 0xcf800000, v9
	v_cvt_u32_f32_e32 v9, v9
	v_cvt_u32_f32_e32 v7, v7
	v_mul_lo_u32 v10, s2, v9
	v_mul_hi_u32 v15, s2, v7
	v_mul_lo_u32 v11, s3, v7
	v_add_u32_e32 v10, v15, v10
	v_mul_lo_u32 v19, s2, v7
	v_add_u32_e32 v10, v10, v11
	v_mul_hi_u32 v15, v7, v19
	v_mul_lo_u32 v43, v7, v10
	v_mul_hi_u32 v11, v7, v10
	v_add_co_u32_e32 v15, vcc, v15, v43
	v_addc_co_u32_e32 v11, vcc, 0, v11, vcc
	v_mul_hi_u32 v44, v9, v19
	v_mul_lo_u32 v19, v9, v19
	v_add_co_u32_e32 v15, vcc, v15, v19
	v_mul_hi_u32 v43, v9, v10
	v_addc_co_u32_e32 v11, vcc, v11, v44, vcc
	v_addc_co_u32_e32 v15, vcc, 0, v43, vcc
	v_mul_lo_u32 v10, v9, v10
	v_add_co_u32_e32 v10, vcc, v11, v10
	v_addc_co_u32_e32 v11, vcc, 0, v15, vcc
	v_add_co_u32_e32 v7, vcc, v7, v10
	v_addc_co_u32_e32 v9, vcc, v9, v11, vcc
	v_mul_lo_u32 v10, s2, v9
	v_mul_hi_u32 v11, s2, v7
	v_add_u32_e32 v10, v11, v10
	v_mul_lo_u32 v11, s3, v7
	v_add_u32_e32 v10, v10, v11
	v_mul_lo_u32 v15, s2, v7
	v_mul_hi_u32 v19, v9, v15
	v_mul_lo_u32 v43, v9, v15
	v_mul_lo_u32 v45, v7, v10
	v_mul_hi_u32 v15, v7, v15
	v_mul_hi_u32 v44, v7, v10
	v_add_co_u32_e32 v15, vcc, v15, v45
	v_addc_co_u32_e32 v44, vcc, 0, v44, vcc
	v_add_co_u32_e32 v15, vcc, v15, v43
	v_mul_hi_u32 v11, v9, v10
	v_addc_co_u32_e32 v15, vcc, v44, v19, vcc
	v_addc_co_u32_e32 v11, vcc, 0, v11, vcc
	v_mul_lo_u32 v10, v9, v10
	v_add_co_u32_e32 v10, vcc, v15, v10
	v_addc_co_u32_e32 v11, vcc, 0, v11, vcc
	v_add_co_u32_e32 v7, vcc, v7, v10
	v_addc_co_u32_e32 v9, vcc, v9, v11, vcc
	v_mad_u64_u32 v[10:11], s[2:3], v1, v9, 0
	v_mul_hi_u32 v15, v1, v7
	v_add_co_u32_e32 v15, vcc, v15, v10
	v_addc_co_u32_e32 v19, vcc, 0, v11, vcc
	v_mad_u64_u32 v[44:45], s[2:3], v0, v7, 0
	v_add_co_u32_e32 v7, vcc, v15, v44
	v_mad_u64_u32 v[10:11], s[2:3], v0, v9, 0
	v_addc_co_u32_e32 v7, vcc, v19, v45, vcc
	v_addc_co_u32_e32 v9, vcc, 0, v11, vcc
	v_add_co_u32_e32 v7, vcc, v7, v10
	v_addc_co_u32_e32 v9, vcc, 0, v9, vcc
	v_mul_lo_u32 v15, s31, v7
	v_mul_lo_u32 v9, s30, v9
	v_mad_u64_u32 v[10:11], s[2:3], s30, v7, 0
	v_add3_u32 v7, v11, v9, v15
	v_sub_u32_e32 v9, v0, v7
	v_mov_b32_e32 v11, s31
	v_sub_co_u32_e32 v10, vcc, v1, v10
	v_subb_co_u32_e64 v9, s[2:3], v9, v11, vcc
	v_subrev_co_u32_e64 v15, s[2:3], s30, v10
	v_subbrev_co_u32_e64 v19, s[4:5], 0, v9, s[2:3]
	v_cmp_le_u32_e64 s[4:5], s31, v19
	v_cndmask_b32_e64 v43, 0, -1, s[4:5]
	v_cmp_le_u32_e64 s[4:5], s30, v15
	v_subb_co_u32_e32 v0, vcc, v0, v7, vcc
	v_cndmask_b32_e64 v44, 0, -1, s[4:5]
	v_cmp_eq_u32_e64 s[4:5], s31, v19
	v_subb_co_u32_e64 v9, s[2:3], v9, v11, s[2:3]
	v_cmp_le_u32_e32 vcc, s31, v0
	v_cndmask_b32_e64 v43, v43, v44, s[4:5]
	v_subrev_co_u32_e64 v44, s[2:3], s30, v15
	v_cndmask_b32_e64 v7, 0, -1, vcc
	v_cmp_le_u32_e32 vcc, s30, v10
	v_subbrev_co_u32_e64 v9, s[2:3], 0, v9, s[2:3]
	v_cndmask_b32_e64 v11, 0, -1, vcc
	v_cmp_eq_u32_e32 vcc, s31, v0
	v_cmp_ne_u32_e64 s[2:3], 0, v43
	v_cndmask_b32_e32 v7, v7, v11, vcc
	v_cndmask_b32_e64 v9, v19, v9, s[2:3]
	v_cmp_ne_u32_e32 vcc, 0, v7
	v_cndmask_b32_e32 v11, v0, v9, vcc
	v_cndmask_b32_e64 v0, v15, v44, s[2:3]
	v_cndmask_b32_e32 v10, v10, v0, vcc
.LBB29_36:                              ;   in Loop: Header=BB29_9 Depth=1
	s_andn2_saveexec_b64 s[2:3], s[6:7]
	s_cbranch_execz .LBB29_38
; %bb.37:                               ;   in Loop: Header=BB29_9 Depth=1
	v_cvt_f32_u32_e32 v0, s30
	s_sub_i32 s4, 0, s30
	v_mov_b32_e32 v11, v14
	v_rcp_iflag_f32_e32 v0, v0
	v_mul_f32_e32 v0, 0x4f7ffffe, v0
	v_cvt_u32_f32_e32 v0, v0
	v_mul_lo_u32 v7, s4, v0
	v_mul_hi_u32 v7, v0, v7
	v_add_u32_e32 v0, v0, v7
	v_mul_hi_u32 v0, v1, v0
	v_mul_lo_u32 v0, v0, s30
	v_sub_u32_e32 v0, v1, v0
	v_subrev_u32_e32 v1, s30, v0
	v_cmp_le_u32_e32 vcc, s30, v0
	v_cndmask_b32_e32 v0, v0, v1, vcc
	v_subrev_u32_e32 v1, s30, v0
	v_cmp_le_u32_e32 vcc, s30, v0
	v_cndmask_b32_e32 v10, v0, v1, vcc
.LBB29_38:                              ;   in Loop: Header=BB29_9 Depth=1
	s_or_b64 exec, exec, s[2:3]
	v_cmp_ne_u64_e32 vcc, s[52:53], v[10:11]
	v_cndmask_b32_e64 v0, 0, 1, vcc
	global_store_byte v8, v0, s[28:29]
.LBB29_39:                              ;   in Loop: Header=BB29_9 Depth=1
	s_or_b64 exec, exec, s[58:59]
	v_mov_b32_e32 v1, s63
	v_add_co_u32_e32 v0, vcc, s33, v16
	v_addc_co_u32_e32 v1, vcc, v17, v1, vcc
	v_cmp_gt_i64_e32 vcc, s[24:25], v[0:1]
	s_and_saveexec_b64 s[36:37], vcc
	s_cbranch_execz .LBB29_8
; %bb.40:                               ;   in Loop: Header=BB29_9 Depth=1
	s_and_b64 vcc, exec, s[0:1]
	s_cbranch_vccnz .LBB29_46
; %bb.41:                               ;   in Loop: Header=BB29_9 Depth=1
	s_andn2_b64 vcc, exec, s[42:43]
	s_cbranch_vccnz .LBB29_47
; %bb.42:                               ;   in Loop: Header=BB29_9 Depth=1
	s_mov_b32 s2, 0
	s_andn2_b64 vcc, exec, s[54:55]
	v_mov_b32_e32 v8, 0
	s_cbranch_vccnz .LBB29_48
; %bb.43:                               ;   in Loop: Header=BB29_9 Depth=1
	s_mov_b32 s60, 0
	v_mov_b32_e32 v8, 0
	s_mov_b64 s[38:39], s[34:35]
	s_mov_b64 s[58:59], s[44:45]
	v_mov_b32_e32 v1, v0
.LBB29_44:                              ;   Parent Loop BB29_9 Depth=1
                                        ; =>  This Inner Loop Header: Depth=2
	s_load_dwordx8 s[0:7], s[38:39], 0x4
	s_load_dwordx4 s[16:19], s[38:39], 0x24
	s_load_dwordx4 s[20:23], s[58:59], 0x0
	s_add_u32 s38, s38, 48
	s_addc_u32 s39, s39, 0
	s_waitcnt lgkmcnt(0)
	v_mul_hi_u32 v7, s1, v1
	v_add_u32_e32 v7, v1, v7
	v_lshrrev_b32_e32 v7, s2, v7
	v_mul_lo_u32 v9, v7, s0
	v_mul_hi_u32 v10, s4, v7
	v_sub_u32_e32 v1, v1, v9
	v_add_u32_e32 v9, v7, v10
	v_lshrrev_b32_e32 v9, s5, v9
	v_mul_lo_u32 v10, v9, s3
	v_mul_hi_u32 v11, s7, v9
	v_sub_u32_e32 v7, v7, v10
	v_add_u32_e32 v10, v9, v11
	v_mul_lo_u32 v1, v1, s20
	v_mul_lo_u32 v7, v7, s21
	v_lshrrev_b32_e32 v10, s16, v10
	v_add3_u32 v7, v1, v8, v7
	v_mul_lo_u32 v1, v10, s6
	v_mul_hi_u32 v8, s18, v10
	v_sub_u32_e32 v1, v9, v1
	v_add_u32_e32 v8, v10, v8
	v_mul_lo_u32 v9, v1, s22
	v_lshrrev_b32_e32 v1, s19, v8
	s_add_i32 s60, s60, 4
	v_mul_lo_u32 v8, v1, s17
	s_add_u32 s58, s58, 16
	v_sub_u32_e32 v8, v10, v8
	s_addc_u32 s59, s59, 0
	v_mul_lo_u32 v8, v8, s23
	s_cmp_eq_u32 s15, s60
	v_add3_u32 v8, v9, v7, v8
	s_cbranch_scc0 .LBB29_44
; %bb.45:                               ;   in Loop: Header=BB29_9 Depth=1
	s_mov_b32 s2, s15
	s_andn2_b64 vcc, exec, s[56:57]
	s_cbranch_vccz .LBB29_49
	s_branch .LBB29_51
.LBB29_46:                              ;   in Loop: Header=BB29_9 Depth=1
                                        ; implicit-def: $vgpr8
	s_branch .LBB29_52
.LBB29_47:                              ;   in Loop: Header=BB29_9 Depth=1
	v_mov_b32_e32 v8, 0
	s_branch .LBB29_51
.LBB29_48:                              ;   in Loop: Header=BB29_9 Depth=1
	v_mov_b32_e32 v1, v0
	s_andn2_b64 vcc, exec, s[56:57]
	s_cbranch_vccnz .LBB29_51
.LBB29_49:                              ;   in Loop: Header=BB29_9 Depth=1
	s_lshl_b32 s0, s2, 2
	s_add_u32 s0, s44, s0
	s_addc_u32 s1, s45, 0
	s_mul_i32 s2, s2, 12
	s_add_u32 s2, s34, s2
	s_addc_u32 s3, s35, 0
	s_mov_b32 s4, s13
.LBB29_50:                              ;   Parent Loop BB29_9 Depth=1
                                        ; =>  This Inner Loop Header: Depth=2
	s_load_dwordx2 s[6:7], s[2:3], 0x4
	s_load_dword s5, s[2:3], 0xc
	s_load_dword s16, s[0:1], 0x0
	s_add_u32 s2, s2, 12
	s_addc_u32 s3, s3, 0
	s_waitcnt lgkmcnt(0)
	v_mul_hi_u32 v7, s7, v1
	v_add_u32_e32 v7, v1, v7
	v_lshrrev_b32_e32 v7, s5, v7
	s_add_u32 s0, s0, 4
	v_mul_lo_u32 v9, v7, s6
	s_addc_u32 s1, s1, 0
	s_add_i32 s4, s4, -1
	v_sub_u32_e32 v9, v1, v9
	s_cmp_lg_u32 s4, 0
	v_mov_b32_e32 v1, v7
	v_mad_u64_u32 v[8:9], s[6:7], v9, s16, v[8:9]
	s_cbranch_scc1 .LBB29_50
.LBB29_51:                              ;   in Loop: Header=BB29_9 Depth=1
	s_cbranch_execnz .LBB29_54
.LBB29_52:                              ;   in Loop: Header=BB29_9 Depth=1
	v_mul_hi_u32 v1, v0, s10
	v_add_u32_e32 v1, v1, v0
	v_lshrrev_b32_e32 v1, s11, v1
	v_mul_lo_u32 v7, v1, s9
	v_sub_u32_e32 v0, v0, v7
	s_andn2_b64 vcc, exec, s[46:47]
	s_waitcnt lgkmcnt(0)
	v_mul_lo_u32 v8, v0, s48
	s_cbranch_vccnz .LBB29_54
; %bb.53:                               ;   in Loop: Header=BB29_9 Depth=1
	v_mul_hi_u32 v0, s8, v1
	v_add_u32_e32 v0, v1, v0
	v_lshrrev_b32_e32 v0, s14, v0
	v_mul_lo_u32 v0, v0, s12
	v_sub_u32_e32 v0, v1, v0
	v_mad_u64_u32 v[8:9], s[0:1], v0, s49, v[8:9]
.LBB29_54:                              ;   in Loop: Header=BB29_9 Depth=1
	s_waitcnt lgkmcnt(0)
	v_or_b32_e32 v15, s31, v2
	v_cmp_ne_u64_e32 vcc, 0, v[14:15]
                                        ; implicit-def: $vgpr10_vgpr11
	s_and_saveexec_b64 s[0:1], vcc
	s_xor_b64 s[4:5], exec, s[0:1]
	s_cbranch_execz .LBB29_56
; %bb.55:                               ;   in Loop: Header=BB29_9 Depth=1
	v_cvt_f32_u32_e32 v0, s30
	v_cvt_f32_u32_e32 v1, s31
	s_sub_u32 s0, 0, s30
	s_subb_u32 s1, 0, s31
	v_mac_f32_e32 v0, 0x4f800000, v1
	v_rcp_f32_e32 v0, v0
	v_mul_f32_e32 v0, 0x5f7ffffc, v0
	v_mul_f32_e32 v1, 0x2f800000, v0
	v_trunc_f32_e32 v1, v1
	v_mac_f32_e32 v0, 0xcf800000, v1
	v_cvt_u32_f32_e32 v1, v1
	v_cvt_u32_f32_e32 v0, v0
	v_mul_lo_u32 v7, s0, v1
	v_mul_hi_u32 v10, s0, v0
	v_mul_lo_u32 v9, s1, v0
	v_add_u32_e32 v7, v10, v7
	v_mul_lo_u32 v11, s0, v0
	v_add_u32_e32 v7, v7, v9
	v_mul_hi_u32 v10, v0, v11
	v_mul_lo_u32 v15, v0, v7
	v_mul_hi_u32 v9, v0, v7
	v_add_co_u32_e32 v10, vcc, v10, v15
	v_addc_co_u32_e32 v9, vcc, 0, v9, vcc
	v_mul_hi_u32 v19, v1, v11
	v_mul_lo_u32 v11, v1, v11
	v_add_co_u32_e32 v10, vcc, v10, v11
	v_mul_hi_u32 v15, v1, v7
	v_addc_co_u32_e32 v9, vcc, v9, v19, vcc
	v_addc_co_u32_e32 v10, vcc, 0, v15, vcc
	v_mul_lo_u32 v7, v1, v7
	v_add_co_u32_e32 v7, vcc, v9, v7
	v_addc_co_u32_e32 v9, vcc, 0, v10, vcc
	v_add_co_u32_e32 v0, vcc, v0, v7
	v_addc_co_u32_e32 v1, vcc, v1, v9, vcc
	v_mul_lo_u32 v7, s0, v1
	v_mul_hi_u32 v9, s0, v0
	v_add_u32_e32 v7, v9, v7
	v_mul_lo_u32 v9, s1, v0
	v_add_u32_e32 v7, v7, v9
	v_mul_lo_u32 v10, s0, v0
	v_mul_hi_u32 v11, v1, v10
	v_mul_lo_u32 v15, v1, v10
	v_mul_lo_u32 v43, v0, v7
	v_mul_hi_u32 v10, v0, v10
	v_mul_hi_u32 v19, v0, v7
	v_add_co_u32_e32 v10, vcc, v10, v43
	v_addc_co_u32_e32 v19, vcc, 0, v19, vcc
	v_add_co_u32_e32 v10, vcc, v10, v15
	v_mul_hi_u32 v9, v1, v7
	v_addc_co_u32_e32 v10, vcc, v19, v11, vcc
	v_addc_co_u32_e32 v9, vcc, 0, v9, vcc
	v_mul_lo_u32 v7, v1, v7
	v_add_co_u32_e32 v7, vcc, v10, v7
	v_addc_co_u32_e32 v9, vcc, 0, v9, vcc
	v_add_co_u32_e32 v7, vcc, v0, v7
	v_addc_co_u32_e32 v9, vcc, v1, v9, vcc
	v_mad_u64_u32 v[0:1], s[0:1], v3, v9, 0
	v_mul_hi_u32 v10, v3, v7
	v_add_co_u32_e32 v15, vcc, v10, v0
	v_addc_co_u32_e32 v19, vcc, 0, v1, vcc
	v_mad_u64_u32 v[10:11], s[0:1], v2, v7, 0
	v_add_co_u32_e32 v7, vcc, v15, v10
	v_mad_u64_u32 v[0:1], s[0:1], v2, v9, 0
	v_addc_co_u32_e32 v7, vcc, v19, v11, vcc
	v_addc_co_u32_e32 v1, vcc, 0, v1, vcc
	v_add_co_u32_e32 v0, vcc, v7, v0
	v_addc_co_u32_e32 v1, vcc, 0, v1, vcc
	v_mul_lo_u32 v7, s31, v0
	v_mul_lo_u32 v9, s30, v1
	v_mad_u64_u32 v[0:1], s[0:1], s30, v0, 0
	v_add3_u32 v1, v1, v9, v7
	v_sub_u32_e32 v7, v2, v1
	v_mov_b32_e32 v9, s31
	v_sub_co_u32_e32 v0, vcc, v3, v0
	v_subb_co_u32_e64 v3, s[0:1], v7, v9, vcc
	v_subrev_co_u32_e64 v7, s[0:1], s30, v0
	v_subbrev_co_u32_e64 v10, s[2:3], 0, v3, s[0:1]
	v_cmp_le_u32_e64 s[2:3], s31, v10
	v_cndmask_b32_e64 v11, 0, -1, s[2:3]
	v_cmp_le_u32_e64 s[2:3], s30, v7
	v_subb_co_u32_e64 v3, s[0:1], v3, v9, s[0:1]
	v_cndmask_b32_e64 v15, 0, -1, s[2:3]
	v_cmp_eq_u32_e64 s[2:3], s31, v10
	v_subrev_co_u32_e64 v9, s[0:1], s30, v7
	v_subb_co_u32_e32 v1, vcc, v2, v1, vcc
	v_cndmask_b32_e64 v11, v11, v15, s[2:3]
	v_subbrev_co_u32_e64 v3, s[0:1], 0, v3, s[0:1]
	v_cmp_le_u32_e32 vcc, s31, v1
	v_cmp_ne_u32_e64 s[0:1], 0, v11
	v_cndmask_b32_e64 v2, 0, -1, vcc
	v_cmp_le_u32_e32 vcc, s30, v0
	v_cndmask_b32_e64 v3, v10, v3, s[0:1]
	v_cndmask_b32_e64 v10, 0, -1, vcc
	v_cmp_eq_u32_e32 vcc, s31, v1
	v_cndmask_b32_e32 v2, v2, v10, vcc
	v_cmp_ne_u32_e32 vcc, 0, v2
	v_cndmask_b32_e32 v11, v1, v3, vcc
	v_cndmask_b32_e64 v1, v7, v9, s[0:1]
	v_cndmask_b32_e32 v10, v0, v1, vcc
                                        ; implicit-def: $vgpr0_vgpr1_vgpr2_vgpr3
.LBB29_56:                              ;   in Loop: Header=BB29_9 Depth=1
	s_andn2_saveexec_b64 s[0:1], s[4:5]
	s_cbranch_execz .LBB29_7
; %bb.57:                               ;   in Loop: Header=BB29_9 Depth=1
	v_cvt_f32_u32_e32 v0, s30
	s_sub_i32 s2, 0, s30
	v_mov_b32_e32 v11, v14
	v_rcp_iflag_f32_e32 v0, v0
	v_mul_f32_e32 v0, 0x4f7ffffe, v0
	v_cvt_u32_f32_e32 v0, v0
	v_mul_lo_u32 v1, s2, v0
	v_mul_hi_u32 v1, v0, v1
	v_add_u32_e32 v0, v0, v1
	v_mul_hi_u32 v0, v3, v0
	v_mul_lo_u32 v0, v0, s30
	v_sub_u32_e32 v0, v3, v0
	v_subrev_u32_e32 v1, s30, v0
	v_cmp_le_u32_e32 vcc, s30, v0
	v_cndmask_b32_e32 v0, v0, v1, vcc
	v_subrev_u32_e32 v1, s30, v0
	v_cmp_le_u32_e32 vcc, s30, v0
	v_cndmask_b32_e32 v10, v0, v1, vcc
	s_branch .LBB29_7
.LBB29_58:
	s_endpgm
.LBB29_59:
                                        ; implicit-def: $sgpr2_sgpr3
	s_andn2_b64 vcc, exec, s[0:1]
	s_cbranch_vccz .LBB29_4
	s_branch .LBB29_5
	.section	.rodata,"a",@progbits
	.p2align	6, 0x0
	.amdhsa_kernel _ZN2at6native12_GLOBAL__N_143distribution_elementwise_grid_stride_kernelImLi2EZZZNS0_9templates4cuda21random_from_to_kernelIPNS_17CUDAGeneratorImplEEEvRNS_18TensorIteratorBaseEmlT_ENKUlvE_clEvENKUlvE6_clEvEUlP25hiprandStatePhilox4_32_10E_ZNS1_27distribution_nullary_kernelIbm15HIP_vector_typeIyLj2EES7_SF_ZZZNS5_IS7_EEvS9_mlSA_ENKSB_clEvENKSC_clEvEUlmE_EEvS9_T2_RKT3_T4_EUlimE0_EEvlNS_15PhiloxCudaStateET1_SK_
		.amdhsa_group_segment_fixed_size 0
		.amdhsa_private_segment_fixed_size 0
		.amdhsa_kernarg_size 592
		.amdhsa_user_sgpr_count 6
		.amdhsa_user_sgpr_private_segment_buffer 1
		.amdhsa_user_sgpr_dispatch_ptr 0
		.amdhsa_user_sgpr_queue_ptr 0
		.amdhsa_user_sgpr_kernarg_segment_ptr 1
		.amdhsa_user_sgpr_dispatch_id 0
		.amdhsa_user_sgpr_flat_scratch_init 0
		.amdhsa_user_sgpr_kernarg_preload_length 0
		.amdhsa_user_sgpr_kernarg_preload_offset 0
		.amdhsa_user_sgpr_private_segment_size 0
		.amdhsa_uses_dynamic_stack 0
		.amdhsa_system_sgpr_private_segment_wavefront_offset 0
		.amdhsa_system_sgpr_workgroup_id_x 1
		.amdhsa_system_sgpr_workgroup_id_y 0
		.amdhsa_system_sgpr_workgroup_id_z 0
		.amdhsa_system_sgpr_workgroup_info 0
		.amdhsa_system_vgpr_workitem_id 0
		.amdhsa_next_free_vgpr 46
		.amdhsa_next_free_sgpr 67
		.amdhsa_accum_offset 48
		.amdhsa_reserve_vcc 1
		.amdhsa_reserve_flat_scratch 0
		.amdhsa_float_round_mode_32 0
		.amdhsa_float_round_mode_16_64 0
		.amdhsa_float_denorm_mode_32 3
		.amdhsa_float_denorm_mode_16_64 3
		.amdhsa_dx10_clamp 1
		.amdhsa_ieee_mode 1
		.amdhsa_fp16_overflow 0
		.amdhsa_tg_split 0
		.amdhsa_exception_fp_ieee_invalid_op 0
		.amdhsa_exception_fp_denorm_src 0
		.amdhsa_exception_fp_ieee_div_zero 0
		.amdhsa_exception_fp_ieee_overflow 0
		.amdhsa_exception_fp_ieee_underflow 0
		.amdhsa_exception_fp_ieee_inexact 0
		.amdhsa_exception_int_div_zero 0
	.end_amdhsa_kernel
	.section	.text._ZN2at6native12_GLOBAL__N_143distribution_elementwise_grid_stride_kernelImLi2EZZZNS0_9templates4cuda21random_from_to_kernelIPNS_17CUDAGeneratorImplEEEvRNS_18TensorIteratorBaseEmlT_ENKUlvE_clEvENKUlvE6_clEvEUlP25hiprandStatePhilox4_32_10E_ZNS1_27distribution_nullary_kernelIbm15HIP_vector_typeIyLj2EES7_SF_ZZZNS5_IS7_EEvS9_mlSA_ENKSB_clEvENKSC_clEvEUlmE_EEvS9_T2_RKT3_T4_EUlimE0_EEvlNS_15PhiloxCudaStateET1_SK_,"axG",@progbits,_ZN2at6native12_GLOBAL__N_143distribution_elementwise_grid_stride_kernelImLi2EZZZNS0_9templates4cuda21random_from_to_kernelIPNS_17CUDAGeneratorImplEEEvRNS_18TensorIteratorBaseEmlT_ENKUlvE_clEvENKUlvE6_clEvEUlP25hiprandStatePhilox4_32_10E_ZNS1_27distribution_nullary_kernelIbm15HIP_vector_typeIyLj2EES7_SF_ZZZNS5_IS7_EEvS9_mlSA_ENKSB_clEvENKSC_clEvEUlmE_EEvS9_T2_RKT3_T4_EUlimE0_EEvlNS_15PhiloxCudaStateET1_SK_,comdat
.Lfunc_end29:
	.size	_ZN2at6native12_GLOBAL__N_143distribution_elementwise_grid_stride_kernelImLi2EZZZNS0_9templates4cuda21random_from_to_kernelIPNS_17CUDAGeneratorImplEEEvRNS_18TensorIteratorBaseEmlT_ENKUlvE_clEvENKUlvE6_clEvEUlP25hiprandStatePhilox4_32_10E_ZNS1_27distribution_nullary_kernelIbm15HIP_vector_typeIyLj2EES7_SF_ZZZNS5_IS7_EEvS9_mlSA_ENKSB_clEvENKSC_clEvEUlmE_EEvS9_T2_RKT3_T4_EUlimE0_EEvlNS_15PhiloxCudaStateET1_SK_, .Lfunc_end29-_ZN2at6native12_GLOBAL__N_143distribution_elementwise_grid_stride_kernelImLi2EZZZNS0_9templates4cuda21random_from_to_kernelIPNS_17CUDAGeneratorImplEEEvRNS_18TensorIteratorBaseEmlT_ENKUlvE_clEvENKUlvE6_clEvEUlP25hiprandStatePhilox4_32_10E_ZNS1_27distribution_nullary_kernelIbm15HIP_vector_typeIyLj2EES7_SF_ZZZNS5_IS7_EEvS9_mlSA_ENKSB_clEvENKSC_clEvEUlmE_EEvS9_T2_RKT3_T4_EUlimE0_EEvlNS_15PhiloxCudaStateET1_SK_
                                        ; -- End function
	.section	.AMDGPU.csdata,"",@progbits
; Kernel info:
; codeLenInByte = 4692
; NumSgprs: 71
; NumVgprs: 46
; NumAgprs: 0
; TotalNumVgprs: 46
; ScratchSize: 0
; MemoryBound: 0
; FloatMode: 240
; IeeeMode: 1
; LDSByteSize: 0 bytes/workgroup (compile time only)
; SGPRBlocks: 8
; VGPRBlocks: 5
; NumSGPRsForWavesPerEU: 71
; NumVGPRsForWavesPerEU: 46
; AccumOffset: 48
; Occupancy: 8
; WaveLimiterHint : 1
; COMPUTE_PGM_RSRC2:SCRATCH_EN: 0
; COMPUTE_PGM_RSRC2:USER_SGPR: 6
; COMPUTE_PGM_RSRC2:TRAP_HANDLER: 0
; COMPUTE_PGM_RSRC2:TGID_X_EN: 1
; COMPUTE_PGM_RSRC2:TGID_Y_EN: 0
; COMPUTE_PGM_RSRC2:TGID_Z_EN: 0
; COMPUTE_PGM_RSRC2:TIDIG_COMP_CNT: 0
; COMPUTE_PGM_RSRC3_GFX90A:ACCUM_OFFSET: 11
; COMPUTE_PGM_RSRC3_GFX90A:TG_SPLIT: 0
	.section	.text._ZN2at6native12_GLOBAL__N_143distribution_elementwise_grid_stride_kernelIjLi4EZZZNS0_9templates4cuda21random_from_to_kernelIPNS_17CUDAGeneratorImplEEEvRNS_18TensorIteratorBaseEmlT_ENKUlvE_clEvENKUlvE6_clEvEUlP25hiprandStatePhilox4_32_10E0_ZNS1_27distribution_nullary_kernelIbj15HIP_vector_typeIjLj4EES7_SF_ZZZNS5_IS7_EEvS9_mlSA_ENKSB_clEvENKSC_clEvEUljE_EEvS9_T2_RKT3_T4_EUlijE_EEvlNS_15PhiloxCudaStateET1_SK_,"axG",@progbits,_ZN2at6native12_GLOBAL__N_143distribution_elementwise_grid_stride_kernelIjLi4EZZZNS0_9templates4cuda21random_from_to_kernelIPNS_17CUDAGeneratorImplEEEvRNS_18TensorIteratorBaseEmlT_ENKUlvE_clEvENKUlvE6_clEvEUlP25hiprandStatePhilox4_32_10E0_ZNS1_27distribution_nullary_kernelIbj15HIP_vector_typeIjLj4EES7_SF_ZZZNS5_IS7_EEvS9_mlSA_ENKSB_clEvENKSC_clEvEUljE_EEvS9_T2_RKT3_T4_EUlijE_EEvlNS_15PhiloxCudaStateET1_SK_,comdat
	.globl	_ZN2at6native12_GLOBAL__N_143distribution_elementwise_grid_stride_kernelIjLi4EZZZNS0_9templates4cuda21random_from_to_kernelIPNS_17CUDAGeneratorImplEEEvRNS_18TensorIteratorBaseEmlT_ENKUlvE_clEvENKUlvE6_clEvEUlP25hiprandStatePhilox4_32_10E0_ZNS1_27distribution_nullary_kernelIbj15HIP_vector_typeIjLj4EES7_SF_ZZZNS5_IS7_EEvS9_mlSA_ENKSB_clEvENKSC_clEvEUljE_EEvS9_T2_RKT3_T4_EUlijE_EEvlNS_15PhiloxCudaStateET1_SK_ ; -- Begin function _ZN2at6native12_GLOBAL__N_143distribution_elementwise_grid_stride_kernelIjLi4EZZZNS0_9templates4cuda21random_from_to_kernelIPNS_17CUDAGeneratorImplEEEvRNS_18TensorIteratorBaseEmlT_ENKUlvE_clEvENKUlvE6_clEvEUlP25hiprandStatePhilox4_32_10E0_ZNS1_27distribution_nullary_kernelIbj15HIP_vector_typeIjLj4EES7_SF_ZZZNS5_IS7_EEvS9_mlSA_ENKSB_clEvENKSC_clEvEUljE_EEvS9_T2_RKT3_T4_EUlijE_EEvlNS_15PhiloxCudaStateET1_SK_
	.p2align	8
	.type	_ZN2at6native12_GLOBAL__N_143distribution_elementwise_grid_stride_kernelIjLi4EZZZNS0_9templates4cuda21random_from_to_kernelIPNS_17CUDAGeneratorImplEEEvRNS_18TensorIteratorBaseEmlT_ENKUlvE_clEvENKUlvE6_clEvEUlP25hiprandStatePhilox4_32_10E0_ZNS1_27distribution_nullary_kernelIbj15HIP_vector_typeIjLj4EES7_SF_ZZZNS5_IS7_EEvS9_mlSA_ENKSB_clEvENKSC_clEvEUljE_EEvS9_T2_RKT3_T4_EUlijE_EEvlNS_15PhiloxCudaStateET1_SK_,@function
_ZN2at6native12_GLOBAL__N_143distribution_elementwise_grid_stride_kernelIjLi4EZZZNS0_9templates4cuda21random_from_to_kernelIPNS_17CUDAGeneratorImplEEEvRNS_18TensorIteratorBaseEmlT_ENKUlvE_clEvENKUlvE6_clEvEUlP25hiprandStatePhilox4_32_10E0_ZNS1_27distribution_nullary_kernelIbj15HIP_vector_typeIjLj4EES7_SF_ZZZNS5_IS7_EEvS9_mlSA_ENKSB_clEvENKSC_clEvEUljE_EEvS9_T2_RKT3_T4_EUlijE_EEvlNS_15PhiloxCudaStateET1_SK_: ; @_ZN2at6native12_GLOBAL__N_143distribution_elementwise_grid_stride_kernelIjLi4EZZZNS0_9templates4cuda21random_from_to_kernelIPNS_17CUDAGeneratorImplEEEvRNS_18TensorIteratorBaseEmlT_ENKUlvE_clEvENKUlvE6_clEvEUlP25hiprandStatePhilox4_32_10E0_ZNS1_27distribution_nullary_kernelIbj15HIP_vector_typeIjLj4EES7_SF_ZZZNS5_IS7_EEvS9_mlSA_ENKSB_clEvENKSC_clEvEUljE_EEvS9_T2_RKT3_T4_EUlijE_EEvlNS_15PhiloxCudaStateET1_SK_
; %bb.0:
	s_load_dword s7, s[4:5], 0x20
	s_load_dwordx2 s[10:11], s[4:5], 0x10
	s_load_dwordx4 s[0:3], s[4:5], 0x0
	s_mov_b32 s8, 0
	s_waitcnt lgkmcnt(0)
	s_bitcmp0_b32 s7, 0
	v_pk_mov_b32 v[2:3], s[10:11], s[10:11] op_sel:[0,1]
	v_pk_mov_b32 v[14:15], s[2:3], s[2:3] op_sel:[0,1]
	s_cbranch_scc1 .LBB30_2
; %bb.1:
	v_pk_mov_b32 v[2:3], s[10:11], s[10:11] op_sel:[0,1]
	flat_load_dwordx2 v[2:3], v[2:3]
	v_pk_mov_b32 v[4:5], s[2:3], s[2:3] op_sel:[0,1]
	flat_load_dwordx2 v[14:15], v[4:5]
	s_load_dwordx2 s[2:3], s[4:5], 0x18
	s_waitcnt lgkmcnt(0)
	v_mov_b32_e32 v1, s3
	s_waitcnt vmcnt(0)
	v_add_co_u32_e32 v2, vcc, s2, v2
	v_addc_co_u32_e32 v3, vcc, v3, v1, vcc
.LBB30_2:
	s_load_dword s2, s[4:5], 0x5c
	s_load_dword s14, s[4:5], 0x50
	s_waitcnt lgkmcnt(0)
	s_and_b32 s7, s2, 0xffff
	s_add_u32 s10, s0, -1
	s_mul_i32 s16, s14, s7
	s_addc_u32 s9, s1, -1
	s_lshl_b32 s17, s16, 2
	s_cmp_lg_u64 s[8:9], 0
	s_mov_b64 s[2:3], -1
	s_cbranch_scc0 .LBB30_35
; %bb.3:
	v_cvt_f32_u32_e32 v1, s17
	v_cvt_f32_ubyte0_e32 v4, 0
	s_sub_u32 s8, 0, s17
	s_subb_u32 s11, 0, 0
	v_madmk_f32 v1, v4, 0x4f800000, v1
	v_rcp_f32_e32 v1, v1
	v_mul_f32_e32 v1, 0x5f7ffffc, v1
	v_mul_f32_e32 v4, 0x2f800000, v1
	v_trunc_f32_e32 v4, v4
	v_madmk_f32 v1, v4, 0xcf800000, v1
	v_cvt_u32_f32_e32 v4, v4
	v_cvt_u32_f32_e32 v1, v1
	v_readfirstlane_b32 s12, v4
	v_readfirstlane_b32 s13, v1
	s_mul_i32 s15, s8, s12
	s_mul_hi_u32 s19, s8, s13
	s_mul_i32 s18, s11, s13
	s_add_i32 s15, s19, s15
	s_add_i32 s15, s15, s18
	s_mul_i32 s20, s8, s13
	s_mul_hi_u32 s18, s13, s15
	s_mul_i32 s19, s13, s15
	s_mul_hi_u32 s13, s13, s20
	s_add_u32 s13, s13, s19
	s_addc_u32 s18, 0, s18
	s_mul_hi_u32 s21, s12, s20
	s_mul_i32 s20, s12, s20
	s_add_u32 s13, s13, s20
	s_mul_hi_u32 s19, s12, s15
	s_addc_u32 s13, s18, s21
	s_addc_u32 s18, s19, 0
	s_mul_i32 s15, s12, s15
	s_add_u32 s13, s13, s15
	s_addc_u32 s15, 0, s18
	v_add_co_u32_e32 v1, vcc, s13, v1
	s_cmp_lg_u64 vcc, 0
	s_addc_u32 s12, s12, s15
	v_readfirstlane_b32 s15, v1
	s_mul_i32 s13, s8, s12
	s_mul_hi_u32 s18, s8, s15
	s_add_i32 s13, s18, s13
	s_mul_i32 s11, s11, s15
	s_add_i32 s13, s13, s11
	s_mul_i32 s8, s8, s15
	s_mul_hi_u32 s18, s12, s8
	s_mul_i32 s19, s12, s8
	s_mul_i32 s21, s15, s13
	s_mul_hi_u32 s8, s15, s8
	s_mul_hi_u32 s20, s15, s13
	s_add_u32 s8, s8, s21
	s_addc_u32 s15, 0, s20
	s_add_u32 s8, s8, s19
	s_mul_hi_u32 s11, s12, s13
	s_addc_u32 s8, s15, s18
	s_addc_u32 s11, s11, 0
	s_mul_i32 s13, s12, s13
	s_add_u32 s8, s8, s13
	s_addc_u32 s11, 0, s11
	v_add_co_u32_e32 v1, vcc, s8, v1
	s_cmp_lg_u64 vcc, 0
	s_addc_u32 s11, s12, s11
	s_ashr_i32 s12, s9, 31
	s_add_u32 s8, s10, s12
	s_mov_b32 s13, s12
	s_addc_u32 s9, s9, s12
	s_xor_b64 s[8:9], s[8:9], s[12:13]
	v_readfirstlane_b32 s19, v1
	s_mul_i32 s18, s8, s11
	s_mul_hi_u32 s20, s8, s19
	s_mul_hi_u32 s15, s8, s11
	s_add_u32 s18, s20, s18
	s_addc_u32 s15, 0, s15
	s_mul_hi_u32 s21, s9, s19
	s_mul_i32 s19, s9, s19
	s_add_u32 s18, s18, s19
	s_mul_hi_u32 s20, s9, s11
	s_addc_u32 s15, s15, s21
	s_addc_u32 s18, s20, 0
	s_mul_i32 s11, s9, s11
	s_add_u32 s11, s15, s11
	s_addc_u32 s15, 0, s18
	s_add_u32 s18, s11, 1
	s_addc_u32 s19, s15, 0
	s_add_u32 s20, s11, 2
	s_mul_i32 s22, s17, s15
	s_mul_hi_u32 s23, s17, s11
	s_addc_u32 s21, s15, 0
	s_add_i32 s23, s23, s22
	s_mul_i32 s22, s17, s11
	v_mov_b32_e32 v1, s22
	v_sub_co_u32_e32 v1, vcc, s8, v1
	s_cmp_lg_u64 vcc, 0
	s_subb_u32 s8, s9, s23
	v_subrev_co_u32_e32 v4, vcc, s17, v1
	s_cmp_lg_u64 vcc, 0
	s_subb_u32 s9, s8, 0
	v_readfirstlane_b32 s22, v4
	s_cmp_ge_u32 s22, s17
	s_cselect_b32 s22, -1, 0
	s_cmp_eq_u32 s9, 0
	s_cselect_b32 s9, s22, -1
	s_cmp_lg_u32 s9, 0
	s_cselect_b32 s9, s21, s19
	v_readfirstlane_b32 s19, v1
	s_cselect_b32 s18, s20, s18
	s_cmp_ge_u32 s19, s17
	s_cselect_b32 s19, -1, 0
	s_cmp_eq_u32 s8, 0
	s_cselect_b32 s8, s19, -1
	s_cmp_lg_u32 s8, 0
	s_cselect_b32 s9, s9, s15
	s_cselect_b32 s8, s18, s11
	s_xor_b64 s[8:9], s[8:9], s[12:13]
	s_sub_u32 s8, s8, s12
	s_subb_u32 s9, s9, s12
	s_cbranch_execnz .LBB30_5
.LBB30_4:
	v_cvt_f32_u32_e32 v1, s17
	s_sub_i32 s2, 0, s17
	s_mov_b32 s9, 0
	v_rcp_iflag_f32_e32 v1, v1
	v_mul_f32_e32 v1, 0x4f7ffffe, v1
	v_cvt_u32_f32_e32 v1, v1
	v_readfirstlane_b32 s3, v1
	s_mul_i32 s2, s2, s3
	s_mul_hi_u32 s2, s3, s2
	s_add_i32 s3, s3, s2
	s_mul_hi_u32 s2, s10, s3
	s_mul_i32 s8, s2, s17
	s_sub_i32 s8, s10, s8
	s_add_i32 s3, s2, 1
	s_sub_i32 s10, s8, s17
	s_cmp_ge_u32 s8, s17
	s_cselect_b32 s2, s3, s2
	s_cselect_b32 s8, s10, s8
	s_add_i32 s3, s2, 1
	s_cmp_ge_u32 s8, s17
	s_cselect_b32 s8, s3, s2
.LBB30_5:
	v_mov_b32_e32 v1, 0
	v_mov_b32_e32 v4, s6
	v_mad_u64_u32 v[16:17], s[2:3], s7, v4, v[0:1]
	s_add_u32 s2, s8, 1
	s_addc_u32 s3, s9, 0
	s_mul_hi_u32 s8, s14, s7
	s_mul_i32 s3, s16, s3
	s_mul_hi_u32 s9, s16, s2
	s_add_i32 s3, s9, s3
	s_mul_i32 s8, s8, s2
	s_add_i32 s3, s3, s8
	s_mul_i32 s2, s16, s2
	s_lshl_b64 s[2:3], s[2:3], 2
	v_cmp_gt_i64_e32 vcc, s[2:3], v[16:17]
	s_and_saveexec_b64 s[8:9], vcc
	s_cbranch_execz .LBB30_34
; %bb.6:
	s_load_dwordx2 s[12:13], s[4:5], 0x30
	s_load_dword s15, s[4:5], 0x38
	s_load_dwordx4 s[8:11], s[4:5], 0x40
	v_mov_b32_e32 v4, v15
	s_mov_b32 s4, 0xdb3d7428
	v_add_co_u32_e32 v23, vcc, s4, v4
	s_mov_b32 s4, 0x5384540f
	v_add_co_u32_e32 v24, vcc, s4, v14
	;; [unrolled: 2-line block ×7, first 2 shown]
	s_mov_b32 s4, 0x9e3779b9
	v_alignbit_b32 v31, v3, v2, 2
	s_mov_b32 s19, 0xd2511f53
	v_add_co_u32_e32 v30, vcc, s4, v14
	v_mad_u64_u32 v[6:7], s[4:5], v31, s19, 0
	v_and_b32_e32 v20, 3, v2
	v_xor_b32_e32 v2, v7, v15
	v_xor_b32_e32 v2, v2, v17
	s_mov_b32 s20, 0xcd9e8d57
	v_mad_u64_u32 v[8:9], s[4:5], v2, s20, 0
	v_xor_b32_e32 v2, v30, v9
	v_mad_u64_u32 v[10:11], s[4:5], v16, s20, 0
	v_xor_b32_e32 v2, v2, v10
	;; [unrolled: 2-line block ×3, first 2 shown]
	v_lshrrev_b32_e32 v32, 2, v3
	v_xor_b32_e32 v2, v2, v32
	v_xor_b32_e32 v5, v29, v13
	v_mad_u64_u32 v[2:3], s[4:5], v2, s19, 0
	v_xor_b32_e32 v2, v5, v2
	v_mad_u64_u32 v[10:11], s[4:5], v2, s20, 0
	s_mov_b32 s4, 0xbb67ae85
	v_add_co_u32_e32 v33, vcc, s4, v4
	v_xor_b32_e32 v2, v33, v3
	v_xor_b32_e32 v2, v2, v6
	v_xor_b32_e32 v5, v28, v11
	v_mad_u64_u32 v[2:3], s[4:5], v2, s20, 0
	v_xor_b32_e32 v2, v5, v2
	v_mad_u64_u32 v[6:7], s[4:5], v2, s19, 0
	s_mov_b32 s4, 0x3c6ef372
	v_add_co_u32_e32 v34, vcc, s4, v14
	v_xor_b32_e32 v2, v34, v3
	;; [unrolled: 8-line block ×7, first 2 shown]
	v_xor_b32_e32 v2, v2, v12
	v_mad_u64_u32 v[2:3], s[4:5], v2, s20, 0
	s_mov_b32 s4, 0xf1bbcdc8
	v_add_co_u32_e32 v40, vcc, s4, v14
	v_xor_b32_e32 v3, v40, v3
	v_xor_b32_e32 v3, v3, v10
	s_waitcnt lgkmcnt(0)
	s_sub_u32 s10, 0, s10
	s_mul_i32 s26, s14, 3
	v_mad_u64_u32 v[10:11], s[4:5], v3, s19, 0
	s_subb_u32 s11, 0, s11
	s_mul_i32 s25, s6, s7
	s_add_i32 s26, s6, s26
	v_xor_b32_e32 v3, v11, v6
	v_add_u32_e32 v6, s25, v0
	s_mul_i32 s26, s26, s7
	v_mul_lo_u32 v41, s15, v6
	v_add_u32_e32 v6, s26, v0
	s_lshl_b32 s26, s14, 1
	s_add_i32 s26, s6, s26
	s_add_i32 s6, s6, s14
	s_mul_i32 s25, s14, s15
	s_mul_i32 s26, s26, s7
	;; [unrolled: 1-line block ×3, first 2 shown]
	s_mov_b32 s18, 0
	v_add_u32_e32 v21, 0x8ff34781, v14
	v_add_u32_e32 v22, 0x96a522ad, v15
	v_xor_b32_e32 v2, v9, v2
	s_mul_i32 s25, s25, s7
	v_mul_lo_u32 v42, s15, v6
	v_add_u32_e32 v6, s26, v0
	v_add_u32_e32 v0, s6, v0
	v_xor_b32_e32 v2, v21, v2
	v_xor_b32_e32 v4, v22, v3
	v_mov_b32_e32 v3, v8
	v_mov_b32_e32 v5, v10
	s_mov_b64 s[4:5], 0
	s_lshl_b32 s21, s16, 1
	s_mov_b32 s22, s18
	s_mul_i32 s23, s16, 3
	s_mov_b32 s24, s18
	s_lshl_b32 s25, s25, 2
	v_mul_lo_u32 v43, s15, v6
	v_mul_lo_u32 v44, s15, v0
	s_mov_b32 s26, s18
	v_mov_b32_e32 v45, v16
	v_mov_b32_e32 v46, v17
	s_branch .LBB30_9
.LBB30_7:                               ;   in Loop: Header=BB30_9 Depth=1
	s_or_b64 exec, exec, s[14:15]
	v_add_u32_e32 v2, s26, v42
	v_ashrrev_i32_e32 v3, 31, v2
	v_mov_b32_e32 v4, s13
	v_add_co_u32_e32 v2, vcc, s12, v2
	v_addc_co_u32_e32 v3, vcc, v4, v3, vcc
	v_cmp_ne_u64_e32 vcc, s[10:11], v[0:1]
	v_cndmask_b32_e64 v0, 0, 1, vcc
	global_store_byte v[2:3], v0, off
.LBB30_8:                               ;   in Loop: Header=BB30_9 Depth=1
	s_or_b64 exec, exec, s[6:7]
	v_add_co_u32_e32 v16, vcc, s17, v16
	v_addc_co_u32_e32 v17, vcc, 0, v17, vcc
	v_mov_b32_e32 v9, v18
	s_add_i32 s26, s26, s25
	v_cmp_le_i64_e32 vcc, s[2:3], v[16:17]
	v_pk_mov_b32 v[2:3], v[6:7], v[6:7] op_sel:[0,1]
	s_or_b64 s[4:5], vcc, s[4:5]
	v_pk_mov_b32 v[4:5], v[8:9], v[8:9] op_sel:[0,1]
	s_barrier
	s_andn2_b64 exec, exec, s[4:5]
	s_cbranch_execz .LBB30_34
.LBB30_9:                               ; =>This Inner Loop Header: Depth=1
	v_add_co_u32_e32 v31, vcc, 1, v31
	v_cndmask_b32_e64 v0, 0, 1, vcc
	v_addc_co_u32_e32 v32, vcc, 0, v32, vcc
	v_cmp_eq_u32_e32 vcc, 0, v32
	v_cndmask_b32_e32 v0, 0, v0, vcc
	v_add_u32_e32 v45, v0, v45
	v_cmp_eq_u32_e32 vcc, 0, v45
	v_cndmask_b32_e32 v0, 0, v0, vcc
	v_mad_u64_u32 v[6:7], s[6:7], v31, s19, 0
	v_mad_u64_u32 v[8:9], s[6:7], v45, s20, 0
	v_add_u32_e32 v46, v0, v46
	v_xor_b32_e32 v0, v9, v14
	v_xor_b32_e32 v7, v7, v15
	v_xor_b32_e32 v0, v32, v0
	v_xor_b32_e32 v7, v46, v7
	v_mad_u64_u32 v[10:11], s[6:7], v0, s19, 0
	v_mad_u64_u32 v[12:13], s[6:7], v7, s20, 0
	v_xor_b32_e32 v0, v30, v13
	v_xor_b32_e32 v7, v33, v11
	v_xor_b32_e32 v0, v0, v8
	v_xor_b32_e32 v8, v7, v6
	v_mad_u64_u32 v[6:7], s[6:7], v0, s19, 0
	v_mad_u64_u32 v[8:9], s[6:7], v8, s20, 0
	;; [unrolled: 6-line block ×9, first 2 shown]
	v_xor_b32_e32 v0, v13, v6
	v_xor_b32_e32 v6, v21, v0
	;; [unrolled: 1-line block ×4, first 2 shown]
	v_mov_b32_e32 v7, v12
	v_mov_b32_e32 v8, v13
	v_cmp_lt_i32_e32 vcc, 1, v20
	s_and_saveexec_b64 s[6:7], vcc
	s_xor_b64 s[6:7], exec, s[6:7]
	s_cbranch_execnz .LBB30_12
; %bb.10:                               ;   in Loop: Header=BB30_9 Depth=1
	s_andn2_saveexec_b64 s[6:7], s[6:7]
	s_cbranch_execnz .LBB30_17
.LBB30_11:                              ;   in Loop: Header=BB30_9 Depth=1
	s_or_b64 exec, exec, s[6:7]
	v_cmp_gt_i64_e32 vcc, s[0:1], v[16:17]
	s_and_saveexec_b64 s[6:7], vcc
	s_cbranch_execnz .LBB30_20
	s_branch .LBB30_23
.LBB30_12:                              ;   in Loop: Header=BB30_9 Depth=1
	v_cmp_lt_i32_e32 vcc, 2, v20
	s_and_saveexec_b64 s[14:15], vcc
	s_xor_b64 s[14:15], exec, s[14:15]
; %bb.13:                               ;   in Loop: Header=BB30_9 Depth=1
	v_mov_b32_e32 v10, v5
	v_mov_b32_e32 v11, v6
	v_pk_mov_b32 v[2:3], v[10:11], v[10:11] op_sel:[0,1]
	v_pk_mov_b32 v[4:5], v[12:13], v[12:13] op_sel:[0,1]
                                        ; implicit-def: $vgpr12_vgpr13
; %bb.14:                               ;   in Loop: Header=BB30_9 Depth=1
	s_andn2_saveexec_b64 s[14:15], s[14:15]
; %bb.15:                               ;   in Loop: Header=BB30_9 Depth=1
	v_mov_b32_e32 v2, v4
	v_mov_b32_e32 v3, v5
	;; [unrolled: 1-line block ×4, first 2 shown]
; %bb.16:                               ;   in Loop: Header=BB30_9 Depth=1
	s_or_b64 exec, exec, s[14:15]
	s_andn2_saveexec_b64 s[6:7], s[6:7]
	s_cbranch_execz .LBB30_11
.LBB30_17:                              ;   in Loop: Header=BB30_9 Depth=1
	v_cmp_eq_u32_e32 vcc, 1, v20
	s_and_saveexec_b64 s[14:15], vcc
; %bb.18:                               ;   in Loop: Header=BB30_9 Depth=1
	v_mov_b32_e32 v2, v3
	v_mov_b32_e32 v3, v4
	;; [unrolled: 1-line block ×4, first 2 shown]
; %bb.19:                               ;   in Loop: Header=BB30_9 Depth=1
	s_or_b64 exec, exec, s[14:15]
	s_or_b64 exec, exec, s[6:7]
	v_cmp_gt_i64_e32 vcc, s[0:1], v[16:17]
	s_and_saveexec_b64 s[6:7], vcc
	s_cbranch_execz .LBB30_23
.LBB30_20:                              ;   in Loop: Header=BB30_9 Depth=1
	v_mov_b32_e32 v0, v2
	v_cmp_le_u64_e32 vcc, s[8:9], v[0:1]
	s_and_saveexec_b64 s[14:15], vcc
	s_cbranch_execz .LBB30_22
; %bb.21:                               ;   in Loop: Header=BB30_9 Depth=1
	v_cvt_f32_u32_e32 v2, s8
	s_sub_i32 s27, 0, s8
	v_rcp_iflag_f32_e32 v2, v2
	v_mul_f32_e32 v2, 0x4f7ffffe, v2
	v_cvt_u32_f32_e32 v2, v2
	v_mul_lo_u32 v9, s27, v2
	v_mul_hi_u32 v9, v2, v9
	v_add_u32_e32 v2, v2, v9
	v_mul_hi_u32 v2, v0, v2
	v_mul_lo_u32 v2, v2, s8
	v_sub_u32_e32 v0, v0, v2
	v_subrev_u32_e32 v2, s8, v0
	v_cmp_le_u32_e32 vcc, s8, v0
	v_cndmask_b32_e32 v0, v0, v2, vcc
	v_subrev_u32_e32 v2, s8, v0
	v_cmp_le_u32_e32 vcc, s8, v0
	v_cndmask_b32_e32 v0, v0, v2, vcc
.LBB30_22:                              ;   in Loop: Header=BB30_9 Depth=1
	s_or_b64 exec, exec, s[14:15]
	v_add_u32_e32 v2, s26, v41
	v_ashrrev_i32_e32 v9, 31, v2
	v_mov_b32_e32 v11, s13
	v_add_co_u32_e32 v10, vcc, s12, v2
	v_addc_co_u32_e32 v11, vcc, v11, v9, vcc
	v_cmp_ne_u64_e32 vcc, s[10:11], v[0:1]
	v_cndmask_b32_e64 v0, 0, 1, vcc
	global_store_byte v[10:11], v0, off
.LBB30_23:                              ;   in Loop: Header=BB30_9 Depth=1
	s_or_b64 exec, exec, s[6:7]
	v_mov_b32_e32 v0, s18
	v_add_co_u32_e32 v10, vcc, s16, v16
	v_addc_co_u32_e32 v11, vcc, v0, v17, vcc
	v_cmp_gt_i64_e32 vcc, s[0:1], v[10:11]
	s_and_saveexec_b64 s[6:7], vcc
	s_cbranch_execz .LBB30_27
; %bb.24:                               ;   in Loop: Header=BB30_9 Depth=1
	v_mov_b32_e32 v0, v3
	v_cmp_le_u64_e32 vcc, s[8:9], v[0:1]
	s_and_saveexec_b64 s[14:15], vcc
	s_cbranch_execz .LBB30_26
; %bb.25:                               ;   in Loop: Header=BB30_9 Depth=1
	v_cvt_f32_u32_e32 v2, s8
	s_sub_i32 s27, 0, s8
	v_rcp_iflag_f32_e32 v2, v2
	v_mul_f32_e32 v2, 0x4f7ffffe, v2
	v_cvt_u32_f32_e32 v2, v2
	v_mul_lo_u32 v3, s27, v2
	v_mul_hi_u32 v3, v2, v3
	v_add_u32_e32 v2, v2, v3
	v_mul_hi_u32 v2, v0, v2
	v_mul_lo_u32 v2, v2, s8
	v_sub_u32_e32 v0, v0, v2
	v_subrev_u32_e32 v2, s8, v0
	v_cmp_le_u32_e32 vcc, s8, v0
	v_cndmask_b32_e32 v0, v0, v2, vcc
	v_subrev_u32_e32 v2, s8, v0
	v_cmp_le_u32_e32 vcc, s8, v0
	v_cndmask_b32_e32 v0, v0, v2, vcc
.LBB30_26:                              ;   in Loop: Header=BB30_9 Depth=1
	s_or_b64 exec, exec, s[14:15]
	v_add_u32_e32 v2, s26, v44
	v_ashrrev_i32_e32 v3, 31, v2
	v_mov_b32_e32 v9, s13
	v_add_co_u32_e32 v2, vcc, s12, v2
	v_addc_co_u32_e32 v3, vcc, v9, v3, vcc
	v_cmp_ne_u64_e32 vcc, s[10:11], v[0:1]
	v_cndmask_b32_e64 v0, 0, 1, vcc
	global_store_byte v[2:3], v0, off
.LBB30_27:                              ;   in Loop: Header=BB30_9 Depth=1
	s_or_b64 exec, exec, s[6:7]
	v_mov_b32_e32 v0, s22
	v_add_co_u32_e32 v2, vcc, s21, v16
	v_addc_co_u32_e32 v3, vcc, v0, v17, vcc
	v_cmp_gt_i64_e32 vcc, s[0:1], v[2:3]
	s_and_saveexec_b64 s[6:7], vcc
	s_cbranch_execz .LBB30_31
; %bb.28:                               ;   in Loop: Header=BB30_9 Depth=1
	v_mov_b32_e32 v0, v4
	v_cmp_le_u64_e32 vcc, s[8:9], v[0:1]
	s_and_saveexec_b64 s[14:15], vcc
	s_cbranch_execz .LBB30_30
; %bb.29:                               ;   in Loop: Header=BB30_9 Depth=1
	v_cvt_f32_u32_e32 v2, s8
	s_sub_i32 s27, 0, s8
	v_rcp_iflag_f32_e32 v2, v2
	v_mul_f32_e32 v2, 0x4f7ffffe, v2
	v_cvt_u32_f32_e32 v2, v2
	v_mul_lo_u32 v3, s27, v2
	v_mul_hi_u32 v3, v2, v3
	v_add_u32_e32 v2, v2, v3
	v_mul_hi_u32 v2, v0, v2
	v_mul_lo_u32 v2, v2, s8
	v_sub_u32_e32 v0, v0, v2
	v_subrev_u32_e32 v2, s8, v0
	v_cmp_le_u32_e32 vcc, s8, v0
	v_cndmask_b32_e32 v0, v0, v2, vcc
	v_subrev_u32_e32 v2, s8, v0
	v_cmp_le_u32_e32 vcc, s8, v0
	v_cndmask_b32_e32 v0, v0, v2, vcc
.LBB30_30:                              ;   in Loop: Header=BB30_9 Depth=1
	s_or_b64 exec, exec, s[14:15]
	v_add_u32_e32 v2, s26, v43
	v_ashrrev_i32_e32 v3, 31, v2
	v_mov_b32_e32 v4, s13
	v_add_co_u32_e32 v2, vcc, s12, v2
	v_addc_co_u32_e32 v3, vcc, v4, v3, vcc
	v_cmp_ne_u64_e32 vcc, s[10:11], v[0:1]
	v_cndmask_b32_e64 v0, 0, 1, vcc
	global_store_byte v[2:3], v0, off
.LBB30_31:                              ;   in Loop: Header=BB30_9 Depth=1
	s_or_b64 exec, exec, s[6:7]
	v_mov_b32_e32 v0, s24
	v_add_co_u32_e32 v2, vcc, s23, v16
	v_addc_co_u32_e32 v3, vcc, v0, v17, vcc
	v_cmp_gt_i64_e32 vcc, s[0:1], v[2:3]
	s_and_saveexec_b64 s[6:7], vcc
	s_cbranch_execz .LBB30_8
; %bb.32:                               ;   in Loop: Header=BB30_9 Depth=1
	v_mov_b32_e32 v0, v5
	v_cmp_le_u64_e32 vcc, s[8:9], v[0:1]
	s_and_saveexec_b64 s[14:15], vcc
	s_cbranch_execz .LBB30_7
; %bb.33:                               ;   in Loop: Header=BB30_9 Depth=1
	v_cvt_f32_u32_e32 v2, s8
	s_sub_i32 s27, 0, s8
	v_rcp_iflag_f32_e32 v2, v2
	v_mul_f32_e32 v2, 0x4f7ffffe, v2
	v_cvt_u32_f32_e32 v2, v2
	v_mul_lo_u32 v3, s27, v2
	v_mul_hi_u32 v3, v2, v3
	v_add_u32_e32 v2, v2, v3
	v_mul_hi_u32 v2, v0, v2
	v_mul_lo_u32 v2, v2, s8
	v_sub_u32_e32 v0, v0, v2
	v_subrev_u32_e32 v2, s8, v0
	v_cmp_le_u32_e32 vcc, s8, v0
	v_cndmask_b32_e32 v0, v0, v2, vcc
	v_subrev_u32_e32 v2, s8, v0
	v_cmp_le_u32_e32 vcc, s8, v0
	v_cndmask_b32_e32 v0, v0, v2, vcc
	s_branch .LBB30_7
.LBB30_34:
	s_endpgm
.LBB30_35:
                                        ; implicit-def: $sgpr8_sgpr9
	s_andn2_b64 vcc, exec, s[2:3]
	s_cbranch_vccz .LBB30_4
	s_branch .LBB30_5
	.section	.rodata,"a",@progbits
	.p2align	6, 0x0
	.amdhsa_kernel _ZN2at6native12_GLOBAL__N_143distribution_elementwise_grid_stride_kernelIjLi4EZZZNS0_9templates4cuda21random_from_to_kernelIPNS_17CUDAGeneratorImplEEEvRNS_18TensorIteratorBaseEmlT_ENKUlvE_clEvENKUlvE6_clEvEUlP25hiprandStatePhilox4_32_10E0_ZNS1_27distribution_nullary_kernelIbj15HIP_vector_typeIjLj4EES7_SF_ZZZNS5_IS7_EEvS9_mlSA_ENKSB_clEvENKSC_clEvEUljE_EEvS9_T2_RKT3_T4_EUlijE_EEvlNS_15PhiloxCudaStateET1_SK_
		.amdhsa_group_segment_fixed_size 0
		.amdhsa_private_segment_fixed_size 0
		.amdhsa_kernarg_size 336
		.amdhsa_user_sgpr_count 6
		.amdhsa_user_sgpr_private_segment_buffer 1
		.amdhsa_user_sgpr_dispatch_ptr 0
		.amdhsa_user_sgpr_queue_ptr 0
		.amdhsa_user_sgpr_kernarg_segment_ptr 1
		.amdhsa_user_sgpr_dispatch_id 0
		.amdhsa_user_sgpr_flat_scratch_init 0
		.amdhsa_user_sgpr_kernarg_preload_length 0
		.amdhsa_user_sgpr_kernarg_preload_offset 0
		.amdhsa_user_sgpr_private_segment_size 0
		.amdhsa_uses_dynamic_stack 0
		.amdhsa_system_sgpr_private_segment_wavefront_offset 0
		.amdhsa_system_sgpr_workgroup_id_x 1
		.amdhsa_system_sgpr_workgroup_id_y 0
		.amdhsa_system_sgpr_workgroup_id_z 0
		.amdhsa_system_sgpr_workgroup_info 0
		.amdhsa_system_vgpr_workitem_id 0
		.amdhsa_next_free_vgpr 47
		.amdhsa_next_free_sgpr 28
		.amdhsa_accum_offset 48
		.amdhsa_reserve_vcc 1
		.amdhsa_reserve_flat_scratch 0
		.amdhsa_float_round_mode_32 0
		.amdhsa_float_round_mode_16_64 0
		.amdhsa_float_denorm_mode_32 3
		.amdhsa_float_denorm_mode_16_64 3
		.amdhsa_dx10_clamp 1
		.amdhsa_ieee_mode 1
		.amdhsa_fp16_overflow 0
		.amdhsa_tg_split 0
		.amdhsa_exception_fp_ieee_invalid_op 0
		.amdhsa_exception_fp_denorm_src 0
		.amdhsa_exception_fp_ieee_div_zero 0
		.amdhsa_exception_fp_ieee_overflow 0
		.amdhsa_exception_fp_ieee_underflow 0
		.amdhsa_exception_fp_ieee_inexact 0
		.amdhsa_exception_int_div_zero 0
	.end_amdhsa_kernel
	.section	.text._ZN2at6native12_GLOBAL__N_143distribution_elementwise_grid_stride_kernelIjLi4EZZZNS0_9templates4cuda21random_from_to_kernelIPNS_17CUDAGeneratorImplEEEvRNS_18TensorIteratorBaseEmlT_ENKUlvE_clEvENKUlvE6_clEvEUlP25hiprandStatePhilox4_32_10E0_ZNS1_27distribution_nullary_kernelIbj15HIP_vector_typeIjLj4EES7_SF_ZZZNS5_IS7_EEvS9_mlSA_ENKSB_clEvENKSC_clEvEUljE_EEvS9_T2_RKT3_T4_EUlijE_EEvlNS_15PhiloxCudaStateET1_SK_,"axG",@progbits,_ZN2at6native12_GLOBAL__N_143distribution_elementwise_grid_stride_kernelIjLi4EZZZNS0_9templates4cuda21random_from_to_kernelIPNS_17CUDAGeneratorImplEEEvRNS_18TensorIteratorBaseEmlT_ENKUlvE_clEvENKUlvE6_clEvEUlP25hiprandStatePhilox4_32_10E0_ZNS1_27distribution_nullary_kernelIbj15HIP_vector_typeIjLj4EES7_SF_ZZZNS5_IS7_EEvS9_mlSA_ENKSB_clEvENKSC_clEvEUljE_EEvS9_T2_RKT3_T4_EUlijE_EEvlNS_15PhiloxCudaStateET1_SK_,comdat
.Lfunc_end30:
	.size	_ZN2at6native12_GLOBAL__N_143distribution_elementwise_grid_stride_kernelIjLi4EZZZNS0_9templates4cuda21random_from_to_kernelIPNS_17CUDAGeneratorImplEEEvRNS_18TensorIteratorBaseEmlT_ENKUlvE_clEvENKUlvE6_clEvEUlP25hiprandStatePhilox4_32_10E0_ZNS1_27distribution_nullary_kernelIbj15HIP_vector_typeIjLj4EES7_SF_ZZZNS5_IS7_EEvS9_mlSA_ENKSB_clEvENKSC_clEvEUljE_EEvS9_T2_RKT3_T4_EUlijE_EEvlNS_15PhiloxCudaStateET1_SK_, .Lfunc_end30-_ZN2at6native12_GLOBAL__N_143distribution_elementwise_grid_stride_kernelIjLi4EZZZNS0_9templates4cuda21random_from_to_kernelIPNS_17CUDAGeneratorImplEEEvRNS_18TensorIteratorBaseEmlT_ENKUlvE_clEvENKUlvE6_clEvEUlP25hiprandStatePhilox4_32_10E0_ZNS1_27distribution_nullary_kernelIbj15HIP_vector_typeIjLj4EES7_SF_ZZZNS5_IS7_EEvS9_mlSA_ENKSB_clEvENKSC_clEvEUljE_EEvS9_T2_RKT3_T4_EUlijE_EEvlNS_15PhiloxCudaStateET1_SK_
                                        ; -- End function
	.section	.AMDGPU.csdata,"",@progbits
; Kernel info:
; codeLenInByte = 2836
; NumSgprs: 32
; NumVgprs: 47
; NumAgprs: 0
; TotalNumVgprs: 47
; ScratchSize: 0
; MemoryBound: 0
; FloatMode: 240
; IeeeMode: 1
; LDSByteSize: 0 bytes/workgroup (compile time only)
; SGPRBlocks: 3
; VGPRBlocks: 5
; NumSGPRsForWavesPerEU: 32
; NumVGPRsForWavesPerEU: 47
; AccumOffset: 48
; Occupancy: 8
; WaveLimiterHint : 0
; COMPUTE_PGM_RSRC2:SCRATCH_EN: 0
; COMPUTE_PGM_RSRC2:USER_SGPR: 6
; COMPUTE_PGM_RSRC2:TRAP_HANDLER: 0
; COMPUTE_PGM_RSRC2:TGID_X_EN: 1
; COMPUTE_PGM_RSRC2:TGID_Y_EN: 0
; COMPUTE_PGM_RSRC2:TGID_Z_EN: 0
; COMPUTE_PGM_RSRC2:TIDIG_COMP_CNT: 0
; COMPUTE_PGM_RSRC3_GFX90A:ACCUM_OFFSET: 11
; COMPUTE_PGM_RSRC3_GFX90A:TG_SPLIT: 0
	.section	.text._ZN2at6native12_GLOBAL__N_143distribution_elementwise_grid_stride_kernelIjLi4EZZZNS0_9templates4cuda21random_from_to_kernelIPNS_17CUDAGeneratorImplEEEvRNS_18TensorIteratorBaseEmlT_ENKUlvE_clEvENKUlvE6_clEvEUlP25hiprandStatePhilox4_32_10E0_ZNS1_27distribution_nullary_kernelIbj15HIP_vector_typeIjLj4EES7_SF_ZZZNS5_IS7_EEvS9_mlSA_ENKSB_clEvENKSC_clEvEUljE_EEvS9_T2_RKT3_T4_EUlijE0_EEvlNS_15PhiloxCudaStateET1_SK_,"axG",@progbits,_ZN2at6native12_GLOBAL__N_143distribution_elementwise_grid_stride_kernelIjLi4EZZZNS0_9templates4cuda21random_from_to_kernelIPNS_17CUDAGeneratorImplEEEvRNS_18TensorIteratorBaseEmlT_ENKUlvE_clEvENKUlvE6_clEvEUlP25hiprandStatePhilox4_32_10E0_ZNS1_27distribution_nullary_kernelIbj15HIP_vector_typeIjLj4EES7_SF_ZZZNS5_IS7_EEvS9_mlSA_ENKSB_clEvENKSC_clEvEUljE_EEvS9_T2_RKT3_T4_EUlijE0_EEvlNS_15PhiloxCudaStateET1_SK_,comdat
	.globl	_ZN2at6native12_GLOBAL__N_143distribution_elementwise_grid_stride_kernelIjLi4EZZZNS0_9templates4cuda21random_from_to_kernelIPNS_17CUDAGeneratorImplEEEvRNS_18TensorIteratorBaseEmlT_ENKUlvE_clEvENKUlvE6_clEvEUlP25hiprandStatePhilox4_32_10E0_ZNS1_27distribution_nullary_kernelIbj15HIP_vector_typeIjLj4EES7_SF_ZZZNS5_IS7_EEvS9_mlSA_ENKSB_clEvENKSC_clEvEUljE_EEvS9_T2_RKT3_T4_EUlijE0_EEvlNS_15PhiloxCudaStateET1_SK_ ; -- Begin function _ZN2at6native12_GLOBAL__N_143distribution_elementwise_grid_stride_kernelIjLi4EZZZNS0_9templates4cuda21random_from_to_kernelIPNS_17CUDAGeneratorImplEEEvRNS_18TensorIteratorBaseEmlT_ENKUlvE_clEvENKUlvE6_clEvEUlP25hiprandStatePhilox4_32_10E0_ZNS1_27distribution_nullary_kernelIbj15HIP_vector_typeIjLj4EES7_SF_ZZZNS5_IS7_EEvS9_mlSA_ENKSB_clEvENKSC_clEvEUljE_EEvS9_T2_RKT3_T4_EUlijE0_EEvlNS_15PhiloxCudaStateET1_SK_
	.p2align	8
	.type	_ZN2at6native12_GLOBAL__N_143distribution_elementwise_grid_stride_kernelIjLi4EZZZNS0_9templates4cuda21random_from_to_kernelIPNS_17CUDAGeneratorImplEEEvRNS_18TensorIteratorBaseEmlT_ENKUlvE_clEvENKUlvE6_clEvEUlP25hiprandStatePhilox4_32_10E0_ZNS1_27distribution_nullary_kernelIbj15HIP_vector_typeIjLj4EES7_SF_ZZZNS5_IS7_EEvS9_mlSA_ENKSB_clEvENKSC_clEvEUljE_EEvS9_T2_RKT3_T4_EUlijE0_EEvlNS_15PhiloxCudaStateET1_SK_,@function
_ZN2at6native12_GLOBAL__N_143distribution_elementwise_grid_stride_kernelIjLi4EZZZNS0_9templates4cuda21random_from_to_kernelIPNS_17CUDAGeneratorImplEEEvRNS_18TensorIteratorBaseEmlT_ENKUlvE_clEvENKUlvE6_clEvEUlP25hiprandStatePhilox4_32_10E0_ZNS1_27distribution_nullary_kernelIbj15HIP_vector_typeIjLj4EES7_SF_ZZZNS5_IS7_EEvS9_mlSA_ENKSB_clEvENKSC_clEvEUljE_EEvS9_T2_RKT3_T4_EUlijE0_EEvlNS_15PhiloxCudaStateET1_SK_: ; @_ZN2at6native12_GLOBAL__N_143distribution_elementwise_grid_stride_kernelIjLi4EZZZNS0_9templates4cuda21random_from_to_kernelIPNS_17CUDAGeneratorImplEEEvRNS_18TensorIteratorBaseEmlT_ENKUlvE_clEvENKUlvE6_clEvEUlP25hiprandStatePhilox4_32_10E0_ZNS1_27distribution_nullary_kernelIbj15HIP_vector_typeIjLj4EES7_SF_ZZZNS5_IS7_EEvS9_mlSA_ENKSB_clEvENKSC_clEvEUljE_EEvS9_T2_RKT3_T4_EUlijE0_EEvlNS_15PhiloxCudaStateET1_SK_
; %bb.0:
	s_load_dword s2, s[4:5], 0x20
	s_load_dwordx2 s[0:1], s[4:5], 0x10
	s_load_dwordx4 s[24:27], s[4:5], 0x0
	s_waitcnt lgkmcnt(0)
	s_bitcmp0_b32 s2, 0
	s_mov_b32 s2, 0
	v_pk_mov_b32 v[2:3], s[0:1], s[0:1] op_sel:[0,1]
	v_pk_mov_b32 v[14:15], s[26:27], s[26:27] op_sel:[0,1]
	s_cbranch_scc1 .LBB31_2
; %bb.1:
	v_pk_mov_b32 v[2:3], s[0:1], s[0:1] op_sel:[0,1]
	flat_load_dwordx2 v[2:3], v[2:3]
	v_pk_mov_b32 v[4:5], s[26:27], s[26:27] op_sel:[0,1]
	flat_load_dwordx2 v[14:15], v[4:5]
	s_load_dwordx2 s[0:1], s[4:5], 0x18
	s_waitcnt lgkmcnt(0)
	v_mov_b32_e32 v1, s1
	s_waitcnt vmcnt(0)
	v_add_co_u32_e32 v2, vcc, s0, v2
	v_addc_co_u32_e32 v3, vcc, v3, v1, vcc
.LBB31_2:
	s_load_dword s0, s[4:5], 0x15c
	s_load_dword s7, s[4:5], 0x150
	s_waitcnt lgkmcnt(0)
	s_and_b32 s8, s0, 0xffff
	s_add_u32 s9, s24, -1
	s_mul_i32 s33, s7, s8
	s_addc_u32 s3, s25, -1
	s_lshl_b32 s62, s33, 2
	s_cmp_lg_u64 s[2:3], 0
	s_mov_b64 s[0:1], -1
	s_cbranch_scc0 .LBB31_91
; %bb.3:
	v_cvt_f32_u32_e32 v1, s62
	v_cvt_f32_ubyte0_e32 v4, 0
	s_sub_u32 s2, 0, s62
	s_subb_u32 s10, 0, 0
	v_madmk_f32 v1, v4, 0x4f800000, v1
	v_rcp_f32_e32 v1, v1
	v_mul_f32_e32 v1, 0x5f7ffffc, v1
	v_mul_f32_e32 v4, 0x2f800000, v1
	v_trunc_f32_e32 v4, v4
	v_madmk_f32 v1, v4, 0xcf800000, v1
	v_cvt_u32_f32_e32 v4, v4
	v_cvt_u32_f32_e32 v1, v1
	v_readfirstlane_b32 s11, v4
	v_readfirstlane_b32 s12, v1
	s_mul_i32 s13, s2, s11
	s_mul_hi_u32 s15, s2, s12
	s_mul_i32 s14, s10, s12
	s_add_i32 s13, s15, s13
	s_add_i32 s13, s13, s14
	s_mul_i32 s16, s2, s12
	s_mul_hi_u32 s14, s12, s13
	s_mul_i32 s15, s12, s13
	s_mul_hi_u32 s12, s12, s16
	s_add_u32 s12, s12, s15
	s_addc_u32 s14, 0, s14
	s_mul_hi_u32 s17, s11, s16
	s_mul_i32 s16, s11, s16
	s_add_u32 s12, s12, s16
	s_mul_hi_u32 s15, s11, s13
	s_addc_u32 s12, s14, s17
	s_addc_u32 s14, s15, 0
	s_mul_i32 s13, s11, s13
	s_add_u32 s12, s12, s13
	s_addc_u32 s13, 0, s14
	v_add_co_u32_e32 v1, vcc, s12, v1
	s_cmp_lg_u64 vcc, 0
	s_addc_u32 s11, s11, s13
	v_readfirstlane_b32 s13, v1
	s_mul_i32 s12, s2, s11
	s_mul_hi_u32 s14, s2, s13
	s_add_i32 s12, s14, s12
	s_mul_i32 s10, s10, s13
	s_add_i32 s12, s12, s10
	s_mul_i32 s2, s2, s13
	s_mul_hi_u32 s14, s11, s2
	s_mul_i32 s15, s11, s2
	s_mul_i32 s17, s13, s12
	s_mul_hi_u32 s2, s13, s2
	s_mul_hi_u32 s16, s13, s12
	s_add_u32 s2, s2, s17
	s_addc_u32 s13, 0, s16
	s_add_u32 s2, s2, s15
	s_mul_hi_u32 s10, s11, s12
	s_addc_u32 s2, s13, s14
	s_addc_u32 s10, s10, 0
	s_mul_i32 s12, s11, s12
	s_add_u32 s2, s2, s12
	s_addc_u32 s10, 0, s10
	v_add_co_u32_e32 v1, vcc, s2, v1
	s_cmp_lg_u64 vcc, 0
	s_addc_u32 s12, s11, s10
	s_ashr_i32 s10, s3, 31
	s_add_u32 s2, s9, s10
	s_mov_b32 s11, s10
	s_addc_u32 s3, s3, s10
	s_xor_b64 s[2:3], s[2:3], s[10:11]
	v_readfirstlane_b32 s15, v1
	s_mul_i32 s14, s2, s12
	s_mul_hi_u32 s16, s2, s15
	s_mul_hi_u32 s13, s2, s12
	s_add_u32 s14, s16, s14
	s_addc_u32 s13, 0, s13
	s_mul_hi_u32 s17, s3, s15
	s_mul_i32 s15, s3, s15
	s_add_u32 s14, s14, s15
	s_mul_hi_u32 s16, s3, s12
	s_addc_u32 s13, s13, s17
	s_addc_u32 s14, s16, 0
	s_mul_i32 s12, s3, s12
	s_add_u32 s12, s13, s12
	s_addc_u32 s13, 0, s14
	s_add_u32 s14, s12, 1
	s_addc_u32 s15, s13, 0
	s_add_u32 s16, s12, 2
	s_mul_i32 s18, s62, s13
	s_mul_hi_u32 s19, s62, s12
	s_addc_u32 s17, s13, 0
	s_add_i32 s19, s19, s18
	s_mul_i32 s18, s62, s12
	v_mov_b32_e32 v1, s18
	v_sub_co_u32_e32 v1, vcc, s2, v1
	s_cmp_lg_u64 vcc, 0
	s_subb_u32 s2, s3, s19
	v_subrev_co_u32_e32 v4, vcc, s62, v1
	s_cmp_lg_u64 vcc, 0
	s_subb_u32 s3, s2, 0
	v_readfirstlane_b32 s18, v4
	s_cmp_ge_u32 s18, s62
	s_cselect_b32 s18, -1, 0
	s_cmp_eq_u32 s3, 0
	s_cselect_b32 s3, s18, -1
	s_cmp_lg_u32 s3, 0
	s_cselect_b32 s3, s17, s15
	v_readfirstlane_b32 s15, v1
	s_cselect_b32 s14, s16, s14
	s_cmp_ge_u32 s15, s62
	s_cselect_b32 s15, -1, 0
	s_cmp_eq_u32 s2, 0
	s_cselect_b32 s2, s15, -1
	s_cmp_lg_u32 s2, 0
	s_cselect_b32 s3, s3, s13
	s_cselect_b32 s2, s14, s12
	s_xor_b64 s[2:3], s[2:3], s[10:11]
	s_sub_u32 s2, s2, s10
	s_subb_u32 s3, s3, s10
	s_cbranch_execnz .LBB31_5
.LBB31_4:
	v_cvt_f32_u32_e32 v1, s62
	s_sub_i32 s0, 0, s62
	s_mov_b32 s3, 0
	v_rcp_iflag_f32_e32 v1, v1
	v_mul_f32_e32 v1, 0x4f7ffffe, v1
	v_cvt_u32_f32_e32 v1, v1
	v_readfirstlane_b32 s1, v1
	s_mul_i32 s0, s0, s1
	s_mul_hi_u32 s0, s1, s0
	s_add_i32 s1, s1, s0
	s_mul_hi_u32 s0, s9, s1
	s_mul_i32 s2, s0, s62
	s_sub_i32 s2, s9, s2
	s_add_i32 s1, s0, 1
	s_sub_i32 s9, s2, s62
	s_cmp_ge_u32 s2, s62
	s_cselect_b32 s0, s1, s0
	s_cselect_b32 s2, s9, s2
	s_add_i32 s1, s0, 1
	s_cmp_ge_u32 s2, s62
	s_cselect_b32 s2, s1, s0
.LBB31_5:
	v_mov_b32_e32 v1, 0
	v_mov_b32_e32 v4, s6
	v_mad_u64_u32 v[16:17], s[0:1], s8, v4, v[0:1]
	s_add_u32 s0, s2, 1
	s_addc_u32 s1, s3, 0
	s_mul_hi_u32 s2, s7, s8
	s_mul_i32 s1, s33, s1
	s_mul_hi_u32 s3, s33, s0
	s_add_i32 s1, s3, s1
	s_mul_i32 s2, s2, s0
	s_add_i32 s1, s1, s2
	s_mul_i32 s0, s33, s0
	s_lshl_b64 s[26:27], s[0:1], 2
	v_cmp_gt_i64_e32 vcc, s[26:27], v[16:17]
	s_and_saveexec_b64 s[0:1], vcc
	s_cbranch_execz .LBB31_90
; %bb.6:
	s_mov_b32 s0, 0x5384540f
	v_mov_b32_e32 v0, v15
	v_add_co_u32_e32 v24, vcc, s0, v14
	s_mov_b32 s0, 0x646e171e
	v_add_co_u32_e32 v25, vcc, s0, v0
	s_mov_b32 s0, 0x1715609d
	;; [unrolled: 2-line block ×6, first 2 shown]
	v_alignbit_b32 v31, v3, v2, 2
	s_mov_b32 s64, 0xd2511f53
	v_add_co_u32_e32 v30, vcc, s0, v14
	v_mad_u64_u32 v[4:5], s[0:1], v31, s64, 0
	v_and_b32_e32 v20, 3, v2
	v_xor_b32_e32 v2, v5, v15
	v_xor_b32_e32 v2, v2, v17
	s_mov_b32 s65, 0xcd9e8d57
	v_mad_u64_u32 v[6:7], s[0:1], v2, s65, 0
	v_xor_b32_e32 v2, v30, v7
	v_mad_u64_u32 v[8:9], s[0:1], v16, s65, 0
	v_xor_b32_e32 v2, v2, v8
	;; [unrolled: 2-line block ×3, first 2 shown]
	v_lshrrev_b32_e32 v32, 2, v3
	v_xor_b32_e32 v2, v2, v32
	v_xor_b32_e32 v5, v29, v11
	v_mad_u64_u32 v[2:3], s[0:1], v2, s64, 0
	v_xor_b32_e32 v2, v5, v2
	v_mad_u64_u32 v[8:9], s[0:1], v2, s65, 0
	s_mov_b32 s0, 0xbb67ae85
	v_add_co_u32_e32 v33, vcc, s0, v0
	v_xor_b32_e32 v2, v33, v3
	v_xor_b32_e32 v2, v2, v4
	v_xor_b32_e32 v5, v28, v9
	v_mad_u64_u32 v[2:3], s[0:1], v2, s65, 0
	v_xor_b32_e32 v2, v5, v2
	v_mad_u64_u32 v[4:5], s[0:1], v2, s64, 0
	s_mov_b32 s0, 0x3c6ef372
	v_add_co_u32_e32 v34, vcc, s0, v14
	v_xor_b32_e32 v2, v34, v3
	;; [unrolled: 8-line block ×6, first 2 shown]
	v_add_co_u32_e32 v23, vcc, 0xdb3d7428, v0
	v_xor_b32_e32 v2, v2, v6
	v_xor_b32_e32 v5, v23, v5
	v_mad_u64_u32 v[2:3], s[0:1], v2, s64, 0
	v_xor_b32_e32 v2, v5, v2
	v_mad_u64_u32 v[6:7], s[0:1], v2, s65, 0
	s_mov_b32 s0, 0x1fd5c5a3
	v_add_co_u32_e32 v39, vcc, s0, v0
	v_xor_b32_e32 v0, v39, v3
	v_xor_b32_e32 v0, v0, v10
	v_mad_u64_u32 v[2:3], s[0:1], v0, s65, 0
	s_load_dwordx8 s[8:15], s[4:5], 0x30
	s_mov_b32 s0, 0xf1bbcdc8
	v_add_u32_e32 v21, 0x8ff34781, v14
	v_xor_b32_e32 v0, v7, v2
	v_add_co_u32_e32 v40, vcc, s0, v14
	v_xor_b32_e32 v2, v21, v0
	v_xor_b32_e32 v0, v40, v3
	s_add_u32 s34, s4, 48
	v_xor_b32_e32 v0, v0, v8
	s_addc_u32 s35, s5, 0
	v_mad_u64_u32 v[8:9], s[0:1], v0, s64, 0
	s_waitcnt lgkmcnt(0)
	s_add_i32 s2, s8, -1
	s_cmp_gt_u32 s2, 1
	s_load_dwordx2 s[0:1], s[4:5], 0x148
	s_cselect_b64 s[40:41], -1, 0
	s_cmp_lg_u32 s8, 0
	s_cselect_b64 s[42:43], -1, 0
	s_add_u32 s44, s4, 0xf4
	s_addc_u32 s45, s5, 0
	s_min_u32 s3, s2, 15
	s_cmp_gt_u32 s8, 1
	s_cselect_b64 s[46:47], -1, 0
	s_waitcnt lgkmcnt(0)
	s_sub_u32 s52, 0, s0
	s_subb_u32 s53, 0, s1
	s_add_i32 s3, s3, 1
	s_mov_b32 s8, s13
	s_load_dwordx2 s[48:49], s[4:5], 0xf4
	s_load_dwordx4 s[28:31], s[4:5], 0x138
	s_lshl_b32 s13, s33, 1
	s_and_b32 s68, s3, 3
	s_cmp_lg_u32 s2, 2
	s_cselect_b64 s[54:55], -1, 0
	s_and_b32 s69, s3, 28
	s_mov_b32 s63, 0
	v_add_u32_e32 v22, 0x96a522ad, v15
	v_xor_b32_e32 v0, v9, v4
	s_cmp_lg_u32 s68, 0
	v_xor_b32_e32 v4, v22, v0
	v_mov_b32_e32 v3, v6
	v_mov_b32_e32 v5, v8
	s_mov_b64 s[50:51], 0
	s_mov_b32 s15, s63
	s_mul_i32 s66, s33, 3
	s_mov_b32 s67, s63
	s_cselect_b64 s[56:57], -1, 0
	v_mov_b32_e32 v41, v16
	v_mov_b32_e32 v42, v17
	s_branch .LBB31_9
.LBB31_7:                               ;   in Loop: Header=BB31_9 Depth=1
	s_or_b64 exec, exec, s[0:1]
	v_cmp_ne_u64_e32 vcc, s[52:53], v[0:1]
	v_cndmask_b32_e64 v0, 0, 1, vcc
	global_store_byte v2, v0, s[28:29]
.LBB31_8:                               ;   in Loop: Header=BB31_9 Depth=1
	s_or_b64 exec, exec, s[36:37]
	v_add_co_u32_e32 v16, vcc, s62, v16
	v_addc_co_u32_e32 v17, vcc, 0, v17, vcc
	v_mov_b32_e32 v9, v18
	v_cmp_le_i64_e32 vcc, s[26:27], v[16:17]
	v_pk_mov_b32 v[2:3], v[6:7], v[6:7] op_sel:[0,1]
	s_or_b64 s[50:51], vcc, s[50:51]
	v_pk_mov_b32 v[4:5], v[8:9], v[8:9] op_sel:[0,1]
	s_waitcnt lgkmcnt(0)
	s_barrier
	s_andn2_b64 exec, exec, s[50:51]
	s_cbranch_execz .LBB31_90
.LBB31_9:                               ; =>This Loop Header: Depth=1
                                        ;     Child Loop BB31_24 Depth 2
                                        ;     Child Loop BB31_30 Depth 2
	;; [unrolled: 1-line block ×8, first 2 shown]
	v_add_co_u32_e32 v31, vcc, 1, v31
	v_cndmask_b32_e64 v0, 0, 1, vcc
	v_addc_co_u32_e32 v32, vcc, 0, v32, vcc
	v_cmp_eq_u32_e32 vcc, 0, v32
	v_cndmask_b32_e32 v0, 0, v0, vcc
	v_add_u32_e32 v41, v0, v41
	v_cmp_eq_u32_e32 vcc, 0, v41
	v_cndmask_b32_e32 v0, 0, v0, vcc
	v_mad_u64_u32 v[6:7], s[0:1], v31, s64, 0
	v_mad_u64_u32 v[8:9], s[0:1], v41, s65, 0
	v_add_u32_e32 v42, v0, v42
	v_xor_b32_e32 v0, v9, v14
	v_xor_b32_e32 v7, v7, v15
	v_xor_b32_e32 v0, v32, v0
	v_xor_b32_e32 v7, v42, v7
	v_mad_u64_u32 v[10:11], s[0:1], v0, s64, 0
	v_mad_u64_u32 v[12:13], s[0:1], v7, s65, 0
	v_xor_b32_e32 v0, v30, v13
	v_xor_b32_e32 v7, v33, v11
	v_xor_b32_e32 v0, v0, v8
	v_xor_b32_e32 v8, v7, v6
	v_mad_u64_u32 v[6:7], s[0:1], v0, s64, 0
	v_mad_u64_u32 v[8:9], s[0:1], v8, s65, 0
	;; [unrolled: 6-line block ×9, first 2 shown]
	v_xor_b32_e32 v0, v13, v6
	v_xor_b32_e32 v6, v21, v0
	;; [unrolled: 1-line block ×4, first 2 shown]
	v_mov_b32_e32 v7, v12
	v_mov_b32_e32 v8, v13
	v_cmp_lt_i32_e32 vcc, 1, v20
	s_and_saveexec_b64 s[0:1], vcc
	s_xor_b64 s[0:1], exec, s[0:1]
	s_cbranch_execz .LBB31_15
; %bb.10:                               ;   in Loop: Header=BB31_9 Depth=1
	v_cmp_lt_i32_e32 vcc, 2, v20
	s_and_saveexec_b64 s[2:3], vcc
	s_xor_b64 s[2:3], exec, s[2:3]
; %bb.11:                               ;   in Loop: Header=BB31_9 Depth=1
	v_mov_b32_e32 v10, v5
	v_mov_b32_e32 v11, v6
	v_pk_mov_b32 v[2:3], v[10:11], v[10:11] op_sel:[0,1]
	v_pk_mov_b32 v[4:5], v[12:13], v[12:13] op_sel:[0,1]
                                        ; implicit-def: $vgpr12_vgpr13
; %bb.12:                               ;   in Loop: Header=BB31_9 Depth=1
	s_andn2_saveexec_b64 s[2:3], s[2:3]
; %bb.13:                               ;   in Loop: Header=BB31_9 Depth=1
	v_mov_b32_e32 v2, v4
	v_mov_b32_e32 v3, v5
	;; [unrolled: 1-line block ×4, first 2 shown]
; %bb.14:                               ;   in Loop: Header=BB31_9 Depth=1
	s_or_b64 exec, exec, s[2:3]
.LBB31_15:                              ;   in Loop: Header=BB31_9 Depth=1
	s_andn2_saveexec_b64 s[0:1], s[0:1]
	s_cbranch_execz .LBB31_19
; %bb.16:                               ;   in Loop: Header=BB31_9 Depth=1
	v_cmp_eq_u32_e32 vcc, 1, v20
	s_and_saveexec_b64 s[2:3], vcc
; %bb.17:                               ;   in Loop: Header=BB31_9 Depth=1
	v_mov_b32_e32 v2, v3
	v_mov_b32_e32 v3, v4
	;; [unrolled: 1-line block ×4, first 2 shown]
; %bb.18:                               ;   in Loop: Header=BB31_9 Depth=1
	s_or_b64 exec, exec, s[2:3]
.LBB31_19:                              ;   in Loop: Header=BB31_9 Depth=1
	s_or_b64 exec, exec, s[0:1]
	v_cndmask_b32_e64 v0, 0, 1, s[40:41]
	v_cmp_gt_i64_e32 vcc, s[24:25], v[16:17]
	v_cmp_ne_u32_e64 s[0:1], 1, v0
	s_and_saveexec_b64 s[2:3], vcc
	s_cbranch_execz .LBB31_37
; %bb.20:                               ;   in Loop: Header=BB31_9 Depth=1
	s_and_b64 vcc, exec, s[0:1]
	s_cbranch_vccnz .LBB31_26
; %bb.21:                               ;   in Loop: Header=BB31_9 Depth=1
	s_andn2_b64 vcc, exec, s[42:43]
	s_cbranch_vccnz .LBB31_27
; %bb.22:                               ;   in Loop: Header=BB31_9 Depth=1
	s_mov_b32 s6, 0
	s_andn2_b64 vcc, exec, s[54:55]
	v_mov_b32_e32 v10, 0
	s_cbranch_vccnz .LBB31_28
; %bb.23:                               ;   in Loop: Header=BB31_9 Depth=1
	s_mov_b32 s70, 0
	v_mov_b32_e32 v10, 0
	s_mov_b64 s[58:59], s[34:35]
	s_mov_b64 s[60:61], s[44:45]
	v_mov_b32_e32 v0, v16
.LBB31_24:                              ;   Parent Loop BB31_9 Depth=1
                                        ; =>  This Inner Loop Header: Depth=2
	s_load_dwordx8 s[16:23], s[58:59], 0x4
	s_load_dwordx4 s[4:7], s[58:59], 0x24
	s_load_dwordx4 s[36:39], s[60:61], 0x0
	s_add_u32 s58, s58, 48
	s_addc_u32 s59, s59, 0
	s_waitcnt lgkmcnt(0)
	v_mul_hi_u32 v9, s17, v0
	v_add_u32_e32 v9, v0, v9
	v_lshrrev_b32_e32 v9, s18, v9
	v_mul_lo_u32 v11, v9, s16
	v_mul_hi_u32 v12, s20, v9
	v_sub_u32_e32 v0, v0, v11
	v_add_u32_e32 v11, v9, v12
	v_lshrrev_b32_e32 v11, s21, v11
	v_mul_lo_u32 v12, v11, s19
	v_mul_hi_u32 v13, s23, v11
	v_sub_u32_e32 v9, v9, v12
	v_add_u32_e32 v12, v11, v13
	v_mul_lo_u32 v0, v0, s36
	v_mul_lo_u32 v9, v9, s37
	v_lshrrev_b32_e32 v12, s4, v12
	v_add3_u32 v9, v0, v10, v9
	v_mul_lo_u32 v0, v12, s22
	v_mul_hi_u32 v10, s6, v12
	v_sub_u32_e32 v0, v11, v0
	v_add_u32_e32 v10, v12, v10
	v_mul_lo_u32 v11, v0, s38
	v_lshrrev_b32_e32 v0, s7, v10
	s_add_i32 s70, s70, 4
	v_mul_lo_u32 v10, v0, s5
	s_add_u32 s60, s60, 16
	v_sub_u32_e32 v10, v12, v10
	s_addc_u32 s61, s61, 0
	v_mul_lo_u32 v10, v10, s39
	s_cmp_lg_u32 s69, s70
	v_add3_u32 v10, v11, v9, v10
	s_cbranch_scc1 .LBB31_24
; %bb.25:                               ;   in Loop: Header=BB31_9 Depth=1
	s_mov_b32 s6, s69
	s_andn2_b64 vcc, exec, s[56:57]
	s_cbranch_vccz .LBB31_29
	s_branch .LBB31_31
.LBB31_26:                              ;   in Loop: Header=BB31_9 Depth=1
                                        ; implicit-def: $vgpr10
	s_branch .LBB31_32
.LBB31_27:                              ;   in Loop: Header=BB31_9 Depth=1
	v_mov_b32_e32 v10, 0
	s_branch .LBB31_31
.LBB31_28:                              ;   in Loop: Header=BB31_9 Depth=1
	v_mov_b32_e32 v0, v16
	s_andn2_b64 vcc, exec, s[56:57]
	s_cbranch_vccnz .LBB31_31
.LBB31_29:                              ;   in Loop: Header=BB31_9 Depth=1
	s_lshl_b32 s4, s6, 2
	s_add_u32 s4, s44, s4
	s_addc_u32 s5, s45, 0
	s_mul_i32 s6, s6, 12
	s_add_u32 s6, s34, s6
	s_addc_u32 s7, s35, 0
	s_mov_b32 s16, s68
.LBB31_30:                              ;   Parent Loop BB31_9 Depth=1
                                        ; =>  This Inner Loop Header: Depth=2
	s_load_dwordx2 s[18:19], s[6:7], 0x4
	s_load_dword s17, s[6:7], 0xc
	s_load_dword s20, s[4:5], 0x0
	s_add_u32 s6, s6, 12
	s_addc_u32 s7, s7, 0
	s_waitcnt lgkmcnt(0)
	v_mul_hi_u32 v9, s19, v0
	v_add_u32_e32 v9, v0, v9
	v_lshrrev_b32_e32 v9, s17, v9
	s_add_u32 s4, s4, 4
	v_mul_lo_u32 v11, v9, s18
	s_addc_u32 s5, s5, 0
	s_add_i32 s16, s16, -1
	v_sub_u32_e32 v11, v0, v11
	s_cmp_lg_u32 s16, 0
	v_mov_b32_e32 v0, v9
	v_mad_u64_u32 v[10:11], s[18:19], v11, s20, v[10:11]
	s_cbranch_scc1 .LBB31_30
.LBB31_31:                              ;   in Loop: Header=BB31_9 Depth=1
	s_cbranch_execnz .LBB31_34
.LBB31_32:                              ;   in Loop: Header=BB31_9 Depth=1
	v_mul_hi_u32 v0, v16, s10
	v_add_u32_e32 v0, v0, v16
	v_lshrrev_b32_e32 v0, s11, v0
	v_mul_lo_u32 v9, v0, s9
	v_sub_u32_e32 v9, v16, v9
	s_andn2_b64 vcc, exec, s[46:47]
	s_waitcnt lgkmcnt(0)
	v_mul_lo_u32 v10, v9, s48
	s_cbranch_vccnz .LBB31_34
; %bb.33:                               ;   in Loop: Header=BB31_9 Depth=1
	v_mul_hi_u32 v9, s8, v0
	v_add_u32_e32 v9, v0, v9
	v_lshrrev_b32_e32 v9, s14, v9
	v_mul_lo_u32 v9, v9, s12
	v_sub_u32_e32 v0, v0, v9
	v_mad_u64_u32 v[10:11], s[4:5], v0, s49, v[10:11]
.LBB31_34:                              ;   in Loop: Header=BB31_9 Depth=1
	v_mov_b32_e32 v0, v2
	s_waitcnt lgkmcnt(0)
	v_cmp_le_u64_e32 vcc, s[30:31], v[0:1]
	s_and_saveexec_b64 s[4:5], vcc
	s_cbranch_execz .LBB31_36
; %bb.35:                               ;   in Loop: Header=BB31_9 Depth=1
	v_cvt_f32_u32_e32 v2, s30
	s_sub_i32 s6, 0, s30
	v_rcp_iflag_f32_e32 v2, v2
	v_mul_f32_e32 v2, 0x4f7ffffe, v2
	v_cvt_u32_f32_e32 v2, v2
	v_mul_lo_u32 v9, s6, v2
	v_mul_hi_u32 v9, v2, v9
	v_add_u32_e32 v2, v2, v9
	v_mul_hi_u32 v2, v0, v2
	v_mul_lo_u32 v2, v2, s30
	v_sub_u32_e32 v0, v0, v2
	v_subrev_u32_e32 v2, s30, v0
	v_cmp_le_u32_e32 vcc, s30, v0
	v_cndmask_b32_e32 v0, v0, v2, vcc
	v_subrev_u32_e32 v2, s30, v0
	v_cmp_le_u32_e32 vcc, s30, v0
	v_cndmask_b32_e32 v0, v0, v2, vcc
.LBB31_36:                              ;   in Loop: Header=BB31_9 Depth=1
	s_or_b64 exec, exec, s[4:5]
	v_cmp_ne_u64_e32 vcc, s[52:53], v[0:1]
	v_cndmask_b32_e64 v0, 0, 1, vcc
	global_store_byte v10, v0, s[28:29]
.LBB31_37:                              ;   in Loop: Header=BB31_9 Depth=1
	s_or_b64 exec, exec, s[2:3]
	v_mov_b32_e32 v0, s63
	v_add_co_u32_e32 v12, vcc, s33, v16
	v_addc_co_u32_e32 v13, vcc, v17, v0, vcc
	v_cmp_gt_i64_e32 vcc, s[24:25], v[12:13]
	s_and_saveexec_b64 s[2:3], vcc
	s_cbranch_execz .LBB31_55
; %bb.38:                               ;   in Loop: Header=BB31_9 Depth=1
	s_and_b64 vcc, exec, s[0:1]
	s_cbranch_vccnz .LBB31_44
; %bb.39:                               ;   in Loop: Header=BB31_9 Depth=1
	s_andn2_b64 vcc, exec, s[42:43]
	s_cbranch_vccnz .LBB31_45
; %bb.40:                               ;   in Loop: Header=BB31_9 Depth=1
	s_mov_b32 s6, 0
	s_andn2_b64 vcc, exec, s[54:55]
	v_mov_b32_e32 v10, 0
	s_cbranch_vccnz .LBB31_46
; %bb.41:                               ;   in Loop: Header=BB31_9 Depth=1
	s_mov_b32 s70, 0
	v_mov_b32_e32 v10, 0
	s_mov_b64 s[58:59], s[34:35]
	s_mov_b64 s[60:61], s[44:45]
	v_mov_b32_e32 v0, v12
.LBB31_42:                              ;   Parent Loop BB31_9 Depth=1
                                        ; =>  This Inner Loop Header: Depth=2
	s_load_dwordx8 s[16:23], s[58:59], 0x4
	s_load_dwordx4 s[4:7], s[58:59], 0x24
	s_load_dwordx4 s[36:39], s[60:61], 0x0
	s_add_u32 s58, s58, 48
	s_addc_u32 s59, s59, 0
	s_waitcnt lgkmcnt(0)
	v_mul_hi_u32 v2, s17, v0
	v_add_u32_e32 v2, v0, v2
	v_lshrrev_b32_e32 v2, s18, v2
	v_mul_lo_u32 v9, v2, s16
	v_mul_hi_u32 v11, s20, v2
	v_sub_u32_e32 v0, v0, v9
	v_add_u32_e32 v9, v2, v11
	v_lshrrev_b32_e32 v9, s21, v9
	v_mul_lo_u32 v11, v9, s19
	v_mul_hi_u32 v13, s23, v9
	v_sub_u32_e32 v2, v2, v11
	v_add_u32_e32 v11, v9, v13
	v_mul_lo_u32 v0, v0, s36
	v_mul_lo_u32 v2, v2, s37
	v_lshrrev_b32_e32 v11, s4, v11
	v_add3_u32 v2, v0, v10, v2
	v_mul_lo_u32 v0, v11, s22
	v_mul_hi_u32 v10, s6, v11
	v_sub_u32_e32 v0, v9, v0
	v_add_u32_e32 v9, v11, v10
	v_mul_lo_u32 v10, v0, s38
	v_lshrrev_b32_e32 v0, s7, v9
	s_add_i32 s70, s70, 4
	v_mul_lo_u32 v9, v0, s5
	s_add_u32 s60, s60, 16
	v_sub_u32_e32 v9, v11, v9
	s_addc_u32 s61, s61, 0
	v_mul_lo_u32 v9, v9, s39
	s_cmp_eq_u32 s69, s70
	v_add3_u32 v10, v10, v2, v9
	s_cbranch_scc0 .LBB31_42
; %bb.43:                               ;   in Loop: Header=BB31_9 Depth=1
	s_mov_b32 s6, s69
	s_andn2_b64 vcc, exec, s[56:57]
	s_cbranch_vccz .LBB31_47
	s_branch .LBB31_49
.LBB31_44:                              ;   in Loop: Header=BB31_9 Depth=1
                                        ; implicit-def: $vgpr10
	s_branch .LBB31_50
.LBB31_45:                              ;   in Loop: Header=BB31_9 Depth=1
	v_mov_b32_e32 v10, 0
	s_branch .LBB31_49
.LBB31_46:                              ;   in Loop: Header=BB31_9 Depth=1
	v_mov_b32_e32 v0, v12
	s_andn2_b64 vcc, exec, s[56:57]
	s_cbranch_vccnz .LBB31_49
.LBB31_47:                              ;   in Loop: Header=BB31_9 Depth=1
	s_lshl_b32 s4, s6, 2
	s_add_u32 s4, s44, s4
	s_addc_u32 s5, s45, 0
	s_mul_i32 s6, s6, 12
	s_add_u32 s6, s34, s6
	s_addc_u32 s7, s35, 0
	s_mov_b32 s16, s68
.LBB31_48:                              ;   Parent Loop BB31_9 Depth=1
                                        ; =>  This Inner Loop Header: Depth=2
	s_load_dwordx2 s[18:19], s[6:7], 0x4
	s_load_dword s17, s[6:7], 0xc
	s_load_dword s20, s[4:5], 0x0
	s_add_u32 s6, s6, 12
	s_addc_u32 s7, s7, 0
	s_waitcnt lgkmcnt(0)
	v_mul_hi_u32 v2, s19, v0
	v_add_u32_e32 v2, v0, v2
	v_lshrrev_b32_e32 v2, s17, v2
	s_add_u32 s4, s4, 4
	v_mul_lo_u32 v9, v2, s18
	s_addc_u32 s5, s5, 0
	s_add_i32 s16, s16, -1
	v_sub_u32_e32 v9, v0, v9
	s_cmp_lg_u32 s16, 0
	v_mov_b32_e32 v0, v2
	v_mad_u64_u32 v[10:11], s[18:19], v9, s20, v[10:11]
	s_cbranch_scc1 .LBB31_48
.LBB31_49:                              ;   in Loop: Header=BB31_9 Depth=1
	s_cbranch_execnz .LBB31_52
.LBB31_50:                              ;   in Loop: Header=BB31_9 Depth=1
	v_mul_hi_u32 v0, v12, s10
	v_add_u32_e32 v0, v0, v12
	v_lshrrev_b32_e32 v0, s11, v0
	v_mul_lo_u32 v2, v0, s9
	v_sub_u32_e32 v2, v12, v2
	s_andn2_b64 vcc, exec, s[46:47]
	s_waitcnt lgkmcnt(0)
	v_mul_lo_u32 v10, v2, s48
	s_cbranch_vccnz .LBB31_52
; %bb.51:                               ;   in Loop: Header=BB31_9 Depth=1
	v_mul_hi_u32 v2, s8, v0
	v_add_u32_e32 v2, v0, v2
	v_lshrrev_b32_e32 v2, s14, v2
	v_mul_lo_u32 v2, v2, s12
	v_sub_u32_e32 v0, v0, v2
	v_mad_u64_u32 v[10:11], s[4:5], v0, s49, v[10:11]
.LBB31_52:                              ;   in Loop: Header=BB31_9 Depth=1
	v_mov_b32_e32 v0, v3
	s_waitcnt lgkmcnt(0)
	v_cmp_le_u64_e32 vcc, s[30:31], v[0:1]
	s_and_saveexec_b64 s[4:5], vcc
	s_cbranch_execz .LBB31_54
; %bb.53:                               ;   in Loop: Header=BB31_9 Depth=1
	v_cvt_f32_u32_e32 v2, s30
	s_sub_i32 s6, 0, s30
	v_rcp_iflag_f32_e32 v2, v2
	v_mul_f32_e32 v2, 0x4f7ffffe, v2
	v_cvt_u32_f32_e32 v2, v2
	v_mul_lo_u32 v3, s6, v2
	v_mul_hi_u32 v3, v2, v3
	v_add_u32_e32 v2, v2, v3
	v_mul_hi_u32 v2, v0, v2
	v_mul_lo_u32 v2, v2, s30
	v_sub_u32_e32 v0, v0, v2
	v_subrev_u32_e32 v2, s30, v0
	v_cmp_le_u32_e32 vcc, s30, v0
	v_cndmask_b32_e32 v0, v0, v2, vcc
	v_subrev_u32_e32 v2, s30, v0
	v_cmp_le_u32_e32 vcc, s30, v0
	v_cndmask_b32_e32 v0, v0, v2, vcc
.LBB31_54:                              ;   in Loop: Header=BB31_9 Depth=1
	s_or_b64 exec, exec, s[4:5]
	v_cmp_ne_u64_e32 vcc, s[52:53], v[0:1]
	v_cndmask_b32_e64 v0, 0, 1, vcc
	global_store_byte v10, v0, s[28:29]
.LBB31_55:                              ;   in Loop: Header=BB31_9 Depth=1
	s_or_b64 exec, exec, s[2:3]
	v_mov_b32_e32 v0, s15
	v_add_co_u32_e32 v10, vcc, s13, v16
	v_addc_co_u32_e32 v11, vcc, v17, v0, vcc
	v_cmp_gt_i64_e32 vcc, s[24:25], v[10:11]
	s_and_saveexec_b64 s[2:3], vcc
	s_cbranch_execz .LBB31_73
; %bb.56:                               ;   in Loop: Header=BB31_9 Depth=1
	s_and_b64 vcc, exec, s[0:1]
	s_cbranch_vccnz .LBB31_62
; %bb.57:                               ;   in Loop: Header=BB31_9 Depth=1
	s_andn2_b64 vcc, exec, s[42:43]
	s_cbranch_vccnz .LBB31_63
; %bb.58:                               ;   in Loop: Header=BB31_9 Depth=1
	s_mov_b32 s6, 0
	s_andn2_b64 vcc, exec, s[54:55]
	v_mov_b32_e32 v2, 0
	s_cbranch_vccnz .LBB31_64
; %bb.59:                               ;   in Loop: Header=BB31_9 Depth=1
	s_mov_b32 s70, 0
	v_mov_b32_e32 v2, 0
	s_mov_b64 s[58:59], s[34:35]
	s_mov_b64 s[60:61], s[44:45]
	v_mov_b32_e32 v0, v10
.LBB31_60:                              ;   Parent Loop BB31_9 Depth=1
                                        ; =>  This Inner Loop Header: Depth=2
	s_load_dwordx8 s[16:23], s[58:59], 0x4
	s_load_dwordx4 s[4:7], s[58:59], 0x24
	s_load_dwordx4 s[36:39], s[60:61], 0x0
	s_add_u32 s58, s58, 48
	s_addc_u32 s59, s59, 0
	s_waitcnt lgkmcnt(0)
	v_mul_hi_u32 v3, s17, v0
	v_add_u32_e32 v3, v0, v3
	v_lshrrev_b32_e32 v3, s18, v3
	v_mul_lo_u32 v9, v3, s16
	v_mul_hi_u32 v11, s20, v3
	v_sub_u32_e32 v0, v0, v9
	v_add_u32_e32 v9, v3, v11
	v_lshrrev_b32_e32 v9, s21, v9
	v_mul_lo_u32 v11, v9, s19
	v_mul_hi_u32 v12, s23, v9
	v_sub_u32_e32 v3, v3, v11
	v_add_u32_e32 v11, v9, v12
	v_mul_lo_u32 v0, v0, s36
	v_mul_lo_u32 v3, v3, s37
	v_lshrrev_b32_e32 v11, s4, v11
	v_add3_u32 v2, v0, v2, v3
	v_mul_lo_u32 v0, v11, s22
	v_mul_hi_u32 v3, s6, v11
	v_sub_u32_e32 v0, v9, v0
	v_add_u32_e32 v3, v11, v3
	v_mul_lo_u32 v9, v0, s38
	v_lshrrev_b32_e32 v0, s7, v3
	s_add_i32 s70, s70, 4
	v_mul_lo_u32 v3, v0, s5
	s_add_u32 s60, s60, 16
	v_sub_u32_e32 v3, v11, v3
	s_addc_u32 s61, s61, 0
	v_mul_lo_u32 v3, v3, s39
	s_cmp_eq_u32 s69, s70
	v_add3_u32 v2, v9, v2, v3
	s_cbranch_scc0 .LBB31_60
; %bb.61:                               ;   in Loop: Header=BB31_9 Depth=1
	s_mov_b32 s6, s69
	s_andn2_b64 vcc, exec, s[56:57]
	s_cbranch_vccz .LBB31_65
	s_branch .LBB31_67
.LBB31_62:                              ;   in Loop: Header=BB31_9 Depth=1
                                        ; implicit-def: $vgpr2
	s_branch .LBB31_68
.LBB31_63:                              ;   in Loop: Header=BB31_9 Depth=1
	v_mov_b32_e32 v2, 0
	s_branch .LBB31_67
.LBB31_64:                              ;   in Loop: Header=BB31_9 Depth=1
	v_mov_b32_e32 v0, v10
	s_andn2_b64 vcc, exec, s[56:57]
	s_cbranch_vccnz .LBB31_67
.LBB31_65:                              ;   in Loop: Header=BB31_9 Depth=1
	s_lshl_b32 s4, s6, 2
	s_add_u32 s4, s44, s4
	s_addc_u32 s5, s45, 0
	s_mul_i32 s6, s6, 12
	s_add_u32 s6, s34, s6
	s_addc_u32 s7, s35, 0
	s_mov_b32 s16, s68
.LBB31_66:                              ;   Parent Loop BB31_9 Depth=1
                                        ; =>  This Inner Loop Header: Depth=2
	s_load_dwordx2 s[18:19], s[6:7], 0x4
	s_load_dword s17, s[6:7], 0xc
	s_load_dword s20, s[4:5], 0x0
	s_add_u32 s6, s6, 12
	s_addc_u32 s7, s7, 0
	s_waitcnt lgkmcnt(0)
	v_mul_hi_u32 v3, s19, v0
	v_add_u32_e32 v3, v0, v3
	v_lshrrev_b32_e32 v3, s17, v3
	s_add_u32 s4, s4, 4
	v_mul_lo_u32 v9, v3, s18
	s_addc_u32 s5, s5, 0
	s_add_i32 s16, s16, -1
	v_sub_u32_e32 v9, v0, v9
	s_cmp_lg_u32 s16, 0
	v_mov_b32_e32 v0, v3
	v_mad_u64_u32 v[2:3], s[18:19], v9, s20, v[2:3]
	s_cbranch_scc1 .LBB31_66
.LBB31_67:                              ;   in Loop: Header=BB31_9 Depth=1
	s_cbranch_execnz .LBB31_70
.LBB31_68:                              ;   in Loop: Header=BB31_9 Depth=1
	v_mul_hi_u32 v0, v10, s10
	v_add_u32_e32 v0, v0, v10
	v_lshrrev_b32_e32 v0, s11, v0
	v_mul_lo_u32 v2, v0, s9
	v_sub_u32_e32 v2, v10, v2
	s_andn2_b64 vcc, exec, s[46:47]
	s_waitcnt lgkmcnt(0)
	v_mul_lo_u32 v2, v2, s48
	s_cbranch_vccnz .LBB31_70
; %bb.69:                               ;   in Loop: Header=BB31_9 Depth=1
	v_mul_hi_u32 v3, s8, v0
	v_add_u32_e32 v3, v0, v3
	v_lshrrev_b32_e32 v3, s14, v3
	v_mul_lo_u32 v3, v3, s12
	v_sub_u32_e32 v0, v0, v3
	v_mad_u64_u32 v[2:3], s[4:5], v0, s49, v[2:3]
.LBB31_70:                              ;   in Loop: Header=BB31_9 Depth=1
	v_mov_b32_e32 v0, v4
	s_waitcnt lgkmcnt(0)
	v_cmp_le_u64_e32 vcc, s[30:31], v[0:1]
	s_and_saveexec_b64 s[4:5], vcc
	s_cbranch_execz .LBB31_72
; %bb.71:                               ;   in Loop: Header=BB31_9 Depth=1
	v_cvt_f32_u32_e32 v3, s30
	s_sub_i32 s6, 0, s30
	v_rcp_iflag_f32_e32 v3, v3
	v_mul_f32_e32 v3, 0x4f7ffffe, v3
	v_cvt_u32_f32_e32 v3, v3
	v_mul_lo_u32 v4, s6, v3
	v_mul_hi_u32 v4, v3, v4
	v_add_u32_e32 v3, v3, v4
	v_mul_hi_u32 v3, v0, v3
	v_mul_lo_u32 v3, v3, s30
	v_sub_u32_e32 v0, v0, v3
	v_subrev_u32_e32 v3, s30, v0
	v_cmp_le_u32_e32 vcc, s30, v0
	v_cndmask_b32_e32 v0, v0, v3, vcc
	v_subrev_u32_e32 v3, s30, v0
	v_cmp_le_u32_e32 vcc, s30, v0
	v_cndmask_b32_e32 v0, v0, v3, vcc
.LBB31_72:                              ;   in Loop: Header=BB31_9 Depth=1
	s_or_b64 exec, exec, s[4:5]
	v_cmp_ne_u64_e32 vcc, s[52:53], v[0:1]
	v_cndmask_b32_e64 v0, 0, 1, vcc
	global_store_byte v2, v0, s[28:29]
.LBB31_73:                              ;   in Loop: Header=BB31_9 Depth=1
	s_or_b64 exec, exec, s[2:3]
	v_mov_b32_e32 v0, s67
	v_add_co_u32_e32 v10, vcc, s66, v16
	v_addc_co_u32_e32 v11, vcc, v17, v0, vcc
	v_cmp_gt_i64_e32 vcc, s[24:25], v[10:11]
	s_and_saveexec_b64 s[36:37], vcc
	s_cbranch_execz .LBB31_8
; %bb.74:                               ;   in Loop: Header=BB31_9 Depth=1
	s_and_b64 vcc, exec, s[0:1]
	s_cbranch_vccnz .LBB31_80
; %bb.75:                               ;   in Loop: Header=BB31_9 Depth=1
	s_andn2_b64 vcc, exec, s[42:43]
	s_cbranch_vccnz .LBB31_81
; %bb.76:                               ;   in Loop: Header=BB31_9 Depth=1
	s_mov_b32 s2, 0
	s_andn2_b64 vcc, exec, s[54:55]
	v_mov_b32_e32 v2, 0
	s_cbranch_vccnz .LBB31_82
; %bb.77:                               ;   in Loop: Header=BB31_9 Depth=1
	s_mov_b32 s60, 0
	v_mov_b32_e32 v2, 0
	s_mov_b64 s[38:39], s[34:35]
	s_mov_b64 s[58:59], s[44:45]
	v_mov_b32_e32 v0, v10
.LBB31_78:                              ;   Parent Loop BB31_9 Depth=1
                                        ; =>  This Inner Loop Header: Depth=2
	s_load_dwordx8 s[0:7], s[38:39], 0x4
	s_load_dwordx4 s[16:19], s[38:39], 0x24
	s_load_dwordx4 s[20:23], s[58:59], 0x0
	s_add_u32 s38, s38, 48
	s_addc_u32 s39, s39, 0
	s_waitcnt lgkmcnt(0)
	v_mul_hi_u32 v3, s1, v0
	v_add_u32_e32 v3, v0, v3
	v_lshrrev_b32_e32 v3, s2, v3
	v_mul_lo_u32 v4, v3, s0
	v_mul_hi_u32 v9, s4, v3
	v_sub_u32_e32 v0, v0, v4
	v_add_u32_e32 v4, v3, v9
	v_lshrrev_b32_e32 v4, s5, v4
	v_mul_lo_u32 v9, v4, s3
	v_mul_hi_u32 v11, s7, v4
	v_sub_u32_e32 v3, v3, v9
	v_add_u32_e32 v9, v4, v11
	v_mul_lo_u32 v0, v0, s20
	v_mul_lo_u32 v3, v3, s21
	v_lshrrev_b32_e32 v9, s16, v9
	v_add3_u32 v2, v0, v2, v3
	v_mul_lo_u32 v0, v9, s6
	v_mul_hi_u32 v3, s18, v9
	v_sub_u32_e32 v0, v4, v0
	v_add_u32_e32 v3, v9, v3
	v_mul_lo_u32 v4, v0, s22
	v_lshrrev_b32_e32 v0, s19, v3
	s_add_i32 s60, s60, 4
	v_mul_lo_u32 v3, v0, s17
	s_add_u32 s58, s58, 16
	v_sub_u32_e32 v3, v9, v3
	s_addc_u32 s59, s59, 0
	v_mul_lo_u32 v3, v3, s23
	s_cmp_eq_u32 s69, s60
	v_add3_u32 v2, v4, v2, v3
	s_cbranch_scc0 .LBB31_78
; %bb.79:                               ;   in Loop: Header=BB31_9 Depth=1
	s_mov_b32 s2, s69
	s_andn2_b64 vcc, exec, s[56:57]
	s_cbranch_vccz .LBB31_83
	s_branch .LBB31_85
.LBB31_80:                              ;   in Loop: Header=BB31_9 Depth=1
                                        ; implicit-def: $vgpr2
	s_branch .LBB31_86
.LBB31_81:                              ;   in Loop: Header=BB31_9 Depth=1
	v_mov_b32_e32 v2, 0
	s_branch .LBB31_85
.LBB31_82:                              ;   in Loop: Header=BB31_9 Depth=1
	v_mov_b32_e32 v0, v10
	s_andn2_b64 vcc, exec, s[56:57]
	s_cbranch_vccnz .LBB31_85
.LBB31_83:                              ;   in Loop: Header=BB31_9 Depth=1
	s_lshl_b32 s0, s2, 2
	s_add_u32 s0, s44, s0
	s_addc_u32 s1, s45, 0
	s_mul_i32 s2, s2, 12
	s_add_u32 s2, s34, s2
	s_addc_u32 s3, s35, 0
	s_mov_b32 s4, s68
.LBB31_84:                              ;   Parent Loop BB31_9 Depth=1
                                        ; =>  This Inner Loop Header: Depth=2
	s_load_dwordx2 s[6:7], s[2:3], 0x4
	s_load_dword s5, s[2:3], 0xc
	s_load_dword s16, s[0:1], 0x0
	s_add_u32 s2, s2, 12
	s_addc_u32 s3, s3, 0
	s_waitcnt lgkmcnt(0)
	v_mul_hi_u32 v3, s7, v0
	v_add_u32_e32 v3, v0, v3
	v_lshrrev_b32_e32 v3, s5, v3
	s_add_u32 s0, s0, 4
	v_mul_lo_u32 v4, v3, s6
	s_addc_u32 s1, s1, 0
	s_add_i32 s4, s4, -1
	v_sub_u32_e32 v4, v0, v4
	s_cmp_lg_u32 s4, 0
	v_mov_b32_e32 v0, v3
	v_mad_u64_u32 v[2:3], s[6:7], v4, s16, v[2:3]
	s_cbranch_scc1 .LBB31_84
.LBB31_85:                              ;   in Loop: Header=BB31_9 Depth=1
	s_cbranch_execnz .LBB31_88
.LBB31_86:                              ;   in Loop: Header=BB31_9 Depth=1
	v_mul_hi_u32 v0, v10, s10
	v_add_u32_e32 v0, v0, v10
	v_lshrrev_b32_e32 v0, s11, v0
	v_mul_lo_u32 v2, v0, s9
	v_sub_u32_e32 v2, v10, v2
	s_andn2_b64 vcc, exec, s[46:47]
	s_waitcnt lgkmcnt(0)
	v_mul_lo_u32 v2, v2, s48
	s_cbranch_vccnz .LBB31_88
; %bb.87:                               ;   in Loop: Header=BB31_9 Depth=1
	v_mul_hi_u32 v3, s8, v0
	v_add_u32_e32 v3, v0, v3
	v_lshrrev_b32_e32 v3, s14, v3
	v_mul_lo_u32 v3, v3, s12
	v_sub_u32_e32 v0, v0, v3
	v_mad_u64_u32 v[2:3], s[0:1], v0, s49, v[2:3]
.LBB31_88:                              ;   in Loop: Header=BB31_9 Depth=1
	v_mov_b32_e32 v0, v5
	s_waitcnt lgkmcnt(0)
	v_cmp_le_u64_e32 vcc, s[30:31], v[0:1]
	s_and_saveexec_b64 s[0:1], vcc
	s_cbranch_execz .LBB31_7
; %bb.89:                               ;   in Loop: Header=BB31_9 Depth=1
	v_cvt_f32_u32_e32 v3, s30
	s_sub_i32 s2, 0, s30
	v_rcp_iflag_f32_e32 v3, v3
	v_mul_f32_e32 v3, 0x4f7ffffe, v3
	v_cvt_u32_f32_e32 v3, v3
	v_mul_lo_u32 v4, s2, v3
	v_mul_hi_u32 v4, v3, v4
	v_add_u32_e32 v3, v3, v4
	v_mul_hi_u32 v3, v0, v3
	v_mul_lo_u32 v3, v3, s30
	v_sub_u32_e32 v0, v0, v3
	v_subrev_u32_e32 v3, s30, v0
	v_cmp_le_u32_e32 vcc, s30, v0
	v_cndmask_b32_e32 v0, v0, v3, vcc
	v_subrev_u32_e32 v3, s30, v0
	v_cmp_le_u32_e32 vcc, s30, v0
	v_cndmask_b32_e32 v0, v0, v3, vcc
	s_branch .LBB31_7
.LBB31_90:
	s_endpgm
.LBB31_91:
                                        ; implicit-def: $sgpr2_sgpr3
	s_andn2_b64 vcc, exec, s[0:1]
	s_cbranch_vccz .LBB31_4
	s_branch .LBB31_5
	.section	.rodata,"a",@progbits
	.p2align	6, 0x0
	.amdhsa_kernel _ZN2at6native12_GLOBAL__N_143distribution_elementwise_grid_stride_kernelIjLi4EZZZNS0_9templates4cuda21random_from_to_kernelIPNS_17CUDAGeneratorImplEEEvRNS_18TensorIteratorBaseEmlT_ENKUlvE_clEvENKUlvE6_clEvEUlP25hiprandStatePhilox4_32_10E0_ZNS1_27distribution_nullary_kernelIbj15HIP_vector_typeIjLj4EES7_SF_ZZZNS5_IS7_EEvS9_mlSA_ENKSB_clEvENKSC_clEvEUljE_EEvS9_T2_RKT3_T4_EUlijE0_EEvlNS_15PhiloxCudaStateET1_SK_
		.amdhsa_group_segment_fixed_size 0
		.amdhsa_private_segment_fixed_size 0
		.amdhsa_kernarg_size 592
		.amdhsa_user_sgpr_count 6
		.amdhsa_user_sgpr_private_segment_buffer 1
		.amdhsa_user_sgpr_dispatch_ptr 0
		.amdhsa_user_sgpr_queue_ptr 0
		.amdhsa_user_sgpr_kernarg_segment_ptr 1
		.amdhsa_user_sgpr_dispatch_id 0
		.amdhsa_user_sgpr_flat_scratch_init 0
		.amdhsa_user_sgpr_kernarg_preload_length 0
		.amdhsa_user_sgpr_kernarg_preload_offset 0
		.amdhsa_user_sgpr_private_segment_size 0
		.amdhsa_uses_dynamic_stack 0
		.amdhsa_system_sgpr_private_segment_wavefront_offset 0
		.amdhsa_system_sgpr_workgroup_id_x 1
		.amdhsa_system_sgpr_workgroup_id_y 0
		.amdhsa_system_sgpr_workgroup_id_z 0
		.amdhsa_system_sgpr_workgroup_info 0
		.amdhsa_system_vgpr_workitem_id 0
		.amdhsa_next_free_vgpr 43
		.amdhsa_next_free_sgpr 71
		.amdhsa_accum_offset 44
		.amdhsa_reserve_vcc 1
		.amdhsa_reserve_flat_scratch 0
		.amdhsa_float_round_mode_32 0
		.amdhsa_float_round_mode_16_64 0
		.amdhsa_float_denorm_mode_32 3
		.amdhsa_float_denorm_mode_16_64 3
		.amdhsa_dx10_clamp 1
		.amdhsa_ieee_mode 1
		.amdhsa_fp16_overflow 0
		.amdhsa_tg_split 0
		.amdhsa_exception_fp_ieee_invalid_op 0
		.amdhsa_exception_fp_denorm_src 0
		.amdhsa_exception_fp_ieee_div_zero 0
		.amdhsa_exception_fp_ieee_overflow 0
		.amdhsa_exception_fp_ieee_underflow 0
		.amdhsa_exception_fp_ieee_inexact 0
		.amdhsa_exception_int_div_zero 0
	.end_amdhsa_kernel
	.section	.text._ZN2at6native12_GLOBAL__N_143distribution_elementwise_grid_stride_kernelIjLi4EZZZNS0_9templates4cuda21random_from_to_kernelIPNS_17CUDAGeneratorImplEEEvRNS_18TensorIteratorBaseEmlT_ENKUlvE_clEvENKUlvE6_clEvEUlP25hiprandStatePhilox4_32_10E0_ZNS1_27distribution_nullary_kernelIbj15HIP_vector_typeIjLj4EES7_SF_ZZZNS5_IS7_EEvS9_mlSA_ENKSB_clEvENKSC_clEvEUljE_EEvS9_T2_RKT3_T4_EUlijE0_EEvlNS_15PhiloxCudaStateET1_SK_,"axG",@progbits,_ZN2at6native12_GLOBAL__N_143distribution_elementwise_grid_stride_kernelIjLi4EZZZNS0_9templates4cuda21random_from_to_kernelIPNS_17CUDAGeneratorImplEEEvRNS_18TensorIteratorBaseEmlT_ENKUlvE_clEvENKUlvE6_clEvEUlP25hiprandStatePhilox4_32_10E0_ZNS1_27distribution_nullary_kernelIbj15HIP_vector_typeIjLj4EES7_SF_ZZZNS5_IS7_EEvS9_mlSA_ENKSB_clEvENKSC_clEvEUljE_EEvS9_T2_RKT3_T4_EUlijE0_EEvlNS_15PhiloxCudaStateET1_SK_,comdat
.Lfunc_end31:
	.size	_ZN2at6native12_GLOBAL__N_143distribution_elementwise_grid_stride_kernelIjLi4EZZZNS0_9templates4cuda21random_from_to_kernelIPNS_17CUDAGeneratorImplEEEvRNS_18TensorIteratorBaseEmlT_ENKUlvE_clEvENKUlvE6_clEvEUlP25hiprandStatePhilox4_32_10E0_ZNS1_27distribution_nullary_kernelIbj15HIP_vector_typeIjLj4EES7_SF_ZZZNS5_IS7_EEvS9_mlSA_ENKSB_clEvENKSC_clEvEUljE_EEvS9_T2_RKT3_T4_EUlijE0_EEvlNS_15PhiloxCudaStateET1_SK_, .Lfunc_end31-_ZN2at6native12_GLOBAL__N_143distribution_elementwise_grid_stride_kernelIjLi4EZZZNS0_9templates4cuda21random_from_to_kernelIPNS_17CUDAGeneratorImplEEEvRNS_18TensorIteratorBaseEmlT_ENKUlvE_clEvENKUlvE6_clEvEUlP25hiprandStatePhilox4_32_10E0_ZNS1_27distribution_nullary_kernelIbj15HIP_vector_typeIjLj4EES7_SF_ZZZNS5_IS7_EEvS9_mlSA_ENKSB_clEvENKSC_clEvEUljE_EEvS9_T2_RKT3_T4_EUlijE0_EEvlNS_15PhiloxCudaStateET1_SK_
                                        ; -- End function
	.section	.AMDGPU.csdata,"",@progbits
; Kernel info:
; codeLenInByte = 4832
; NumSgprs: 75
; NumVgprs: 43
; NumAgprs: 0
; TotalNumVgprs: 43
; ScratchSize: 0
; MemoryBound: 0
; FloatMode: 240
; IeeeMode: 1
; LDSByteSize: 0 bytes/workgroup (compile time only)
; SGPRBlocks: 9
; VGPRBlocks: 5
; NumSGPRsForWavesPerEU: 75
; NumVGPRsForWavesPerEU: 43
; AccumOffset: 44
; Occupancy: 8
; WaveLimiterHint : 1
; COMPUTE_PGM_RSRC2:SCRATCH_EN: 0
; COMPUTE_PGM_RSRC2:USER_SGPR: 6
; COMPUTE_PGM_RSRC2:TRAP_HANDLER: 0
; COMPUTE_PGM_RSRC2:TGID_X_EN: 1
; COMPUTE_PGM_RSRC2:TGID_Y_EN: 0
; COMPUTE_PGM_RSRC2:TGID_Z_EN: 0
; COMPUTE_PGM_RSRC2:TIDIG_COMP_CNT: 0
; COMPUTE_PGM_RSRC3_GFX90A:ACCUM_OFFSET: 10
; COMPUTE_PGM_RSRC3_GFX90A:TG_SPLIT: 0
	.section	.text._ZN2at6native12_GLOBAL__N_143distribution_elementwise_grid_stride_kernelImLi2EZZZNS0_9templates4cuda21random_from_to_kernelIPNS_17CUDAGeneratorImplEEEvRNS_18TensorIteratorBaseEmlT_ENKUlvE_clEvENKUlvE7_clEvEUlP25hiprandStatePhilox4_32_10E_ZNS1_27distribution_nullary_kernelIN3c104HalfEm15HIP_vector_typeIyLj2EES7_SF_ZZZNS5_IS7_EEvS9_mlSA_ENKSB_clEvENKSC_clEvEUlmE_EEvS9_T2_RKT3_T4_EUlimE_EEvlNS_15PhiloxCudaStateET1_SM_,"axG",@progbits,_ZN2at6native12_GLOBAL__N_143distribution_elementwise_grid_stride_kernelImLi2EZZZNS0_9templates4cuda21random_from_to_kernelIPNS_17CUDAGeneratorImplEEEvRNS_18TensorIteratorBaseEmlT_ENKUlvE_clEvENKUlvE7_clEvEUlP25hiprandStatePhilox4_32_10E_ZNS1_27distribution_nullary_kernelIN3c104HalfEm15HIP_vector_typeIyLj2EES7_SF_ZZZNS5_IS7_EEvS9_mlSA_ENKSB_clEvENKSC_clEvEUlmE_EEvS9_T2_RKT3_T4_EUlimE_EEvlNS_15PhiloxCudaStateET1_SM_,comdat
	.globl	_ZN2at6native12_GLOBAL__N_143distribution_elementwise_grid_stride_kernelImLi2EZZZNS0_9templates4cuda21random_from_to_kernelIPNS_17CUDAGeneratorImplEEEvRNS_18TensorIteratorBaseEmlT_ENKUlvE_clEvENKUlvE7_clEvEUlP25hiprandStatePhilox4_32_10E_ZNS1_27distribution_nullary_kernelIN3c104HalfEm15HIP_vector_typeIyLj2EES7_SF_ZZZNS5_IS7_EEvS9_mlSA_ENKSB_clEvENKSC_clEvEUlmE_EEvS9_T2_RKT3_T4_EUlimE_EEvlNS_15PhiloxCudaStateET1_SM_ ; -- Begin function _ZN2at6native12_GLOBAL__N_143distribution_elementwise_grid_stride_kernelImLi2EZZZNS0_9templates4cuda21random_from_to_kernelIPNS_17CUDAGeneratorImplEEEvRNS_18TensorIteratorBaseEmlT_ENKUlvE_clEvENKUlvE7_clEvEUlP25hiprandStatePhilox4_32_10E_ZNS1_27distribution_nullary_kernelIN3c104HalfEm15HIP_vector_typeIyLj2EES7_SF_ZZZNS5_IS7_EEvS9_mlSA_ENKSB_clEvENKSC_clEvEUlmE_EEvS9_T2_RKT3_T4_EUlimE_EEvlNS_15PhiloxCudaStateET1_SM_
	.p2align	8
	.type	_ZN2at6native12_GLOBAL__N_143distribution_elementwise_grid_stride_kernelImLi2EZZZNS0_9templates4cuda21random_from_to_kernelIPNS_17CUDAGeneratorImplEEEvRNS_18TensorIteratorBaseEmlT_ENKUlvE_clEvENKUlvE7_clEvEUlP25hiprandStatePhilox4_32_10E_ZNS1_27distribution_nullary_kernelIN3c104HalfEm15HIP_vector_typeIyLj2EES7_SF_ZZZNS5_IS7_EEvS9_mlSA_ENKSB_clEvENKSC_clEvEUlmE_EEvS9_T2_RKT3_T4_EUlimE_EEvlNS_15PhiloxCudaStateET1_SM_,@function
_ZN2at6native12_GLOBAL__N_143distribution_elementwise_grid_stride_kernelImLi2EZZZNS0_9templates4cuda21random_from_to_kernelIPNS_17CUDAGeneratorImplEEEvRNS_18TensorIteratorBaseEmlT_ENKUlvE_clEvENKUlvE7_clEvEUlP25hiprandStatePhilox4_32_10E_ZNS1_27distribution_nullary_kernelIN3c104HalfEm15HIP_vector_typeIyLj2EES7_SF_ZZZNS5_IS7_EEvS9_mlSA_ENKSB_clEvENKSC_clEvEUlmE_EEvS9_T2_RKT3_T4_EUlimE_EEvlNS_15PhiloxCudaStateET1_SM_: ; @_ZN2at6native12_GLOBAL__N_143distribution_elementwise_grid_stride_kernelImLi2EZZZNS0_9templates4cuda21random_from_to_kernelIPNS_17CUDAGeneratorImplEEEvRNS_18TensorIteratorBaseEmlT_ENKUlvE_clEvENKUlvE7_clEvEUlP25hiprandStatePhilox4_32_10E_ZNS1_27distribution_nullary_kernelIN3c104HalfEm15HIP_vector_typeIyLj2EES7_SF_ZZZNS5_IS7_EEvS9_mlSA_ENKSB_clEvENKSC_clEvEUlmE_EEvS9_T2_RKT3_T4_EUlimE_EEvlNS_15PhiloxCudaStateET1_SM_
; %bb.0:
	s_load_dword s2, s[4:5], 0x20
	s_load_dwordx2 s[0:1], s[4:5], 0x10
	s_load_dwordx4 s[8:11], s[4:5], 0x0
	s_waitcnt lgkmcnt(0)
	s_bitcmp0_b32 s2, 0
	s_mov_b32 s2, 0
	v_pk_mov_b32 v[2:3], s[0:1], s[0:1] op_sel:[0,1]
	v_pk_mov_b32 v[14:15], s[10:11], s[10:11] op_sel:[0,1]
	s_cbranch_scc1 .LBB32_2
; %bb.1:
	v_pk_mov_b32 v[2:3], s[0:1], s[0:1] op_sel:[0,1]
	flat_load_dwordx2 v[2:3], v[2:3]
	v_pk_mov_b32 v[4:5], s[10:11], s[10:11] op_sel:[0,1]
	flat_load_dwordx2 v[14:15], v[4:5]
	s_load_dwordx2 s[0:1], s[4:5], 0x18
	s_waitcnt lgkmcnt(0)
	v_mov_b32_e32 v1, s1
	s_waitcnt vmcnt(0)
	v_add_co_u32_e32 v2, vcc, s0, v2
	v_addc_co_u32_e32 v3, vcc, v3, v1, vcc
.LBB32_2:
	s_load_dword s0, s[4:5], 0x5c
	s_load_dword s18, s[4:5], 0x50
	s_waitcnt lgkmcnt(0)
	s_and_b32 s7, s0, 0xffff
	s_add_u32 s10, s8, -1
	s_mul_i32 s20, s18, s7
	s_addc_u32 s3, s9, -1
	s_lshl_b32 s21, s20, 1
	s_cmp_lg_u64 s[2:3], 0
	s_mov_b64 s[0:1], -1
	s_cbranch_scc0 .LBB32_31
; %bb.3:
	v_cvt_f32_u32_e32 v1, s21
	v_cvt_f32_ubyte0_e32 v4, 0
	s_sub_u32 s2, 0, s21
	s_subb_u32 s11, 0, 0
	v_madmk_f32 v1, v4, 0x4f800000, v1
	v_rcp_f32_e32 v1, v1
	v_mul_f32_e32 v1, 0x5f7ffffc, v1
	v_mul_f32_e32 v4, 0x2f800000, v1
	v_trunc_f32_e32 v4, v4
	v_madmk_f32 v1, v4, 0xcf800000, v1
	v_cvt_u32_f32_e32 v4, v4
	v_cvt_u32_f32_e32 v1, v1
	v_readfirstlane_b32 s12, v4
	v_readfirstlane_b32 s13, v1
	s_mul_i32 s14, s2, s12
	s_mul_hi_u32 s16, s2, s13
	s_mul_i32 s15, s11, s13
	s_add_i32 s14, s16, s14
	s_add_i32 s14, s14, s15
	s_mul_i32 s17, s2, s13
	s_mul_hi_u32 s15, s13, s14
	s_mul_i32 s16, s13, s14
	s_mul_hi_u32 s13, s13, s17
	s_add_u32 s13, s13, s16
	s_addc_u32 s15, 0, s15
	s_mul_hi_u32 s19, s12, s17
	s_mul_i32 s17, s12, s17
	s_add_u32 s13, s13, s17
	s_mul_hi_u32 s16, s12, s14
	s_addc_u32 s13, s15, s19
	s_addc_u32 s15, s16, 0
	s_mul_i32 s14, s12, s14
	s_add_u32 s13, s13, s14
	s_addc_u32 s14, 0, s15
	v_add_co_u32_e32 v1, vcc, s13, v1
	s_cmp_lg_u64 vcc, 0
	s_addc_u32 s12, s12, s14
	v_readfirstlane_b32 s14, v1
	s_mul_i32 s13, s2, s12
	s_mul_hi_u32 s15, s2, s14
	s_add_i32 s13, s15, s13
	s_mul_i32 s11, s11, s14
	s_add_i32 s13, s13, s11
	s_mul_i32 s2, s2, s14
	s_mul_hi_u32 s15, s12, s2
	s_mul_i32 s16, s12, s2
	s_mul_i32 s19, s14, s13
	s_mul_hi_u32 s2, s14, s2
	s_mul_hi_u32 s17, s14, s13
	s_add_u32 s2, s2, s19
	s_addc_u32 s14, 0, s17
	s_add_u32 s2, s2, s16
	s_mul_hi_u32 s11, s12, s13
	s_addc_u32 s2, s14, s15
	s_addc_u32 s11, s11, 0
	s_mul_i32 s13, s12, s13
	s_add_u32 s2, s2, s13
	s_addc_u32 s11, 0, s11
	v_add_co_u32_e32 v1, vcc, s2, v1
	s_cmp_lg_u64 vcc, 0
	s_addc_u32 s11, s12, s11
	s_ashr_i32 s12, s3, 31
	s_add_u32 s2, s10, s12
	s_mov_b32 s13, s12
	s_addc_u32 s3, s3, s12
	s_xor_b64 s[2:3], s[2:3], s[12:13]
	v_readfirstlane_b32 s16, v1
	s_mul_i32 s15, s2, s11
	s_mul_hi_u32 s17, s2, s16
	s_mul_hi_u32 s14, s2, s11
	s_add_u32 s15, s17, s15
	s_addc_u32 s14, 0, s14
	s_mul_hi_u32 s19, s3, s16
	s_mul_i32 s16, s3, s16
	s_add_u32 s15, s15, s16
	s_mul_hi_u32 s17, s3, s11
	s_addc_u32 s14, s14, s19
	s_addc_u32 s15, s17, 0
	s_mul_i32 s11, s3, s11
	s_add_u32 s11, s14, s11
	s_addc_u32 s14, 0, s15
	s_add_u32 s15, s11, 1
	s_addc_u32 s16, s14, 0
	s_add_u32 s17, s11, 2
	s_mul_i32 s22, s21, s14
	s_mul_hi_u32 s23, s21, s11
	s_addc_u32 s19, s14, 0
	s_add_i32 s23, s23, s22
	s_mul_i32 s22, s21, s11
	v_mov_b32_e32 v1, s22
	v_sub_co_u32_e32 v1, vcc, s2, v1
	s_cmp_lg_u64 vcc, 0
	s_subb_u32 s2, s3, s23
	v_subrev_co_u32_e32 v4, vcc, s21, v1
	s_cmp_lg_u64 vcc, 0
	s_subb_u32 s3, s2, 0
	v_readfirstlane_b32 s22, v4
	s_cmp_ge_u32 s22, s21
	s_cselect_b32 s22, -1, 0
	s_cmp_eq_u32 s3, 0
	s_cselect_b32 s3, s22, -1
	s_cmp_lg_u32 s3, 0
	s_cselect_b32 s3, s19, s16
	v_readfirstlane_b32 s16, v1
	s_cselect_b32 s15, s17, s15
	s_cmp_ge_u32 s16, s21
	s_cselect_b32 s16, -1, 0
	s_cmp_eq_u32 s2, 0
	s_cselect_b32 s2, s16, -1
	s_cmp_lg_u32 s2, 0
	s_cselect_b32 s3, s3, s14
	s_cselect_b32 s2, s15, s11
	s_xor_b64 s[2:3], s[2:3], s[12:13]
	s_sub_u32 s2, s2, s12
	s_subb_u32 s3, s3, s12
	s_cbranch_execnz .LBB32_5
.LBB32_4:
	v_cvt_f32_u32_e32 v1, s21
	s_sub_i32 s0, 0, s21
	s_mov_b32 s3, 0
	v_rcp_iflag_f32_e32 v1, v1
	v_mul_f32_e32 v1, 0x4f7ffffe, v1
	v_cvt_u32_f32_e32 v1, v1
	v_readfirstlane_b32 s1, v1
	s_mul_i32 s0, s0, s1
	s_mul_hi_u32 s0, s1, s0
	s_add_i32 s1, s1, s0
	s_mul_hi_u32 s0, s10, s1
	s_mul_i32 s2, s0, s21
	s_sub_i32 s2, s10, s2
	s_add_i32 s1, s0, 1
	s_sub_i32 s10, s2, s21
	s_cmp_ge_u32 s2, s21
	s_cselect_b32 s0, s1, s0
	s_cselect_b32 s2, s10, s2
	s_add_i32 s1, s0, 1
	s_cmp_ge_u32 s2, s21
	s_cselect_b32 s2, s1, s0
.LBB32_5:
	v_mov_b32_e32 v16, 0
	v_mov_b32_e32 v1, v16
	;; [unrolled: 1-line block ×3, first 2 shown]
	v_mad_u64_u32 v[18:19], s[0:1], s7, v4, v[0:1]
	s_add_u32 s0, s2, 1
	s_addc_u32 s1, s3, 0
	s_mul_hi_u32 s2, s18, s7
	s_mul_i32 s1, s20, s1
	s_mul_hi_u32 s3, s20, s0
	s_add_i32 s1, s3, s1
	s_mul_i32 s2, s2, s0
	s_add_i32 s1, s1, s2
	s_mul_i32 s0, s20, s0
	s_lshl_b64 s[10:11], s[0:1], 1
	v_cmp_gt_i64_e32 vcc, s[10:11], v[18:19]
	s_and_saveexec_b64 s[0:1], vcc
	s_cbranch_execz .LBB32_30
; %bb.6:
	v_mov_b32_e32 v4, v15
	s_mov_b32 s0, 0xdb3d7428
	v_add_co_u32_e32 v23, vcc, s0, v4
	s_mov_b32 s0, 0x5384540f
	v_add_co_u32_e32 v24, vcc, s0, v14
	s_mov_b32 s0, 0x646e171e
	v_add_co_u32_e32 v25, vcc, s0, v4
	s_mov_b32 s0, 0x1715609d
	v_add_co_u32_e32 v26, vcc, s0, v14
	s_mov_b32 s0, 0xed9eba14
	v_add_co_u32_e32 v27, vcc, s0, v4
	s_mov_b32 s0, 0xdaa66d2b
	v_add_co_u32_e32 v28, vcc, s0, v14
	s_mov_b32 s0, 0x76cf5d0a
	v_add_co_u32_e32 v29, vcc, s0, v4
	s_mov_b32 s0, 0x9e3779b9
	v_alignbit_b32 v31, v3, v2, 2
	s_mov_b32 s23, 0xd2511f53
	v_add_co_u32_e32 v30, vcc, s0, v14
	v_mad_u64_u32 v[6:7], s[0:1], v31, s23, 0
	v_xor_b32_e32 v1, v7, v15
	v_xor_b32_e32 v1, v1, v19
	s_mov_b32 s24, 0xcd9e8d57
	v_mad_u64_u32 v[8:9], s[0:1], v1, s24, 0
	v_xor_b32_e32 v1, v30, v9
	v_mad_u64_u32 v[10:11], s[0:1], v18, s24, 0
	v_and_b32_e32 v20, 3, v2
	v_xor_b32_e32 v1, v1, v10
	v_xor_b32_e32 v2, v14, v11
	v_lshrrev_b32_e32 v32, 2, v3
	v_mad_u64_u32 v[12:13], s[0:1], v1, s23, 0
	v_xor_b32_e32 v2, v2, v32
	v_xor_b32_e32 v1, v29, v13
	v_mad_u64_u32 v[2:3], s[0:1], v2, s23, 0
	v_xor_b32_e32 v1, v1, v2
	v_mad_u64_u32 v[10:11], s[0:1], v1, s24, 0
	s_mov_b32 s0, 0xbb67ae85
	v_add_co_u32_e32 v33, vcc, s0, v4
	v_xor_b32_e32 v2, v33, v3
	v_xor_b32_e32 v2, v2, v6
	v_xor_b32_e32 v1, v28, v11
	v_mad_u64_u32 v[2:3], s[0:1], v2, s24, 0
	v_xor_b32_e32 v1, v1, v2
	v_mad_u64_u32 v[6:7], s[0:1], v1, s23, 0
	s_mov_b32 s0, 0x3c6ef372
	v_add_co_u32_e32 v34, vcc, s0, v14
	v_xor_b32_e32 v2, v34, v3
	;; [unrolled: 8-line block ×7, first 2 shown]
	v_xor_b32_e32 v1, v1, v12
	v_mad_u64_u32 v[2:3], s[0:1], v1, s24, 0
	s_mov_b32 s0, 0xf1bbcdc8
	v_add_u32_e32 v21, 0x8ff34781, v14
	v_xor_b32_e32 v1, v9, v2
	v_add_co_u32_e32 v40, vcc, s0, v14
	s_load_dwordx2 s[16:17], s[4:5], 0x30
	s_load_dword s2, s[4:5], 0x38
	s_load_dwordx4 s[12:15], s[4:5], 0x40
	v_xor_b32_e32 v2, v21, v1
	v_xor_b32_e32 v1, v40, v3
	;; [unrolled: 1-line block ×3, first 2 shown]
	v_mad_u64_u32 v[10:11], s[0:1], v1, s23, 0
	v_add_u32_e32 v22, 0x96a522ad, v15
	v_xor_b32_e32 v1, v11, v6
	s_mul_i32 s0, s6, s7
	v_xor_b32_e32 v4, v22, v1
	v_add_u32_e32 v1, s0, v0
	s_waitcnt lgkmcnt(0)
	s_mul_i32 s0, s18, s2
	s_mul_i32 s0, s0, s7
	s_lshl_b32 s25, s0, 1
	s_add_i32 s0, s6, s18
	s_mul_i32 s0, s0, s7
	s_mov_b32 s22, 0
	v_add_u32_e32 v0, s0, v0
	v_mov_b32_e32 v3, v8
	v_mov_b32_e32 v5, v10
	v_mul_lo_u32 v41, s2, v1
	v_mul_lo_u32 v42, s2, v0
	s_mov_b64 s[4:5], 0
	s_mov_b32 s26, s22
	v_mov_b32_e32 v43, v18
	v_mov_b32_e32 v44, v19
	s_branch .LBB32_9
.LBB32_7:                               ;   in Loop: Header=BB32_9 Depth=1
	s_or_b64 exec, exec, s[0:1]
	v_mov_b32_e32 v3, s15
	v_add_co_u32_e32 v2, vcc, s14, v10
	v_addc_co_u32_e32 v3, vcc, v11, v3, vcc
	v_xor_b32_e32 v4, v2, v3
	v_ashrrev_i32_e32 v4, 31, v4
	v_ffbh_i32_e32 v5, v3
	v_add_u32_e32 v4, 32, v4
	v_add_u32_e32 v5, -1, v5
	v_min_u32_e32 v4, v5, v4
	v_lshlrev_b64 v[2:3], v4, v[2:3]
	v_min_u32_e32 v2, 1, v2
	v_or_b32_e32 v2, v3, v2
	v_cvt_f32_i32_e32 v2, v2
	v_sub_u32_e32 v4, 32, v4
	v_add_u32_e32 v1, s26, v42
	v_ashrrev_i32_e32 v3, 31, v1
	v_ldexp_f32 v2, v2, v4
	v_cvt_f16_f32_e32 v4, v2
	v_mov_b32_e32 v5, s17
	v_add_co_u32_e32 v2, vcc, s16, v1
	v_addc_co_u32_e32 v3, vcc, v5, v3, vcc
	global_store_short v[2:3], v4, off
.LBB32_8:                               ;   in Loop: Header=BB32_9 Depth=1
	s_or_b64 exec, exec, s[6:7]
	v_add_co_u32_e32 v18, vcc, s21, v18
	v_addc_co_u32_e32 v19, vcc, 0, v19, vcc
	v_mov_b32_e32 v9, v0
	s_add_i32 s26, s26, s25
	v_cmp_le_i64_e32 vcc, s[10:11], v[18:19]
	v_pk_mov_b32 v[2:3], v[6:7], v[6:7] op_sel:[0,1]
	s_or_b64 s[4:5], vcc, s[4:5]
	v_pk_mov_b32 v[4:5], v[8:9], v[8:9] op_sel:[0,1]
	s_barrier
	s_andn2_b64 exec, exec, s[4:5]
	s_cbranch_execz .LBB32_30
.LBB32_9:                               ; =>This Inner Loop Header: Depth=1
	v_add_co_u32_e32 v31, vcc, 1, v31
	v_cndmask_b32_e64 v0, 0, 1, vcc
	v_addc_co_u32_e32 v32, vcc, 0, v32, vcc
	v_cmp_eq_u32_e32 vcc, 0, v32
	v_cndmask_b32_e32 v0, 0, v0, vcc
	v_add_u32_e32 v43, v0, v43
	v_cmp_eq_u32_e32 vcc, 0, v43
	v_cndmask_b32_e32 v0, 0, v0, vcc
	v_add_u32_e32 v44, v0, v44
	v_mad_u64_u32 v[0:1], s[0:1], v31, s23, 0
	v_mad_u64_u32 v[6:7], s[0:1], v43, s24, 0
	v_xor_b32_e32 v1, v1, v15
	v_xor_b32_e32 v7, v7, v14
	v_xor_b32_e32 v1, v44, v1
	v_xor_b32_e32 v7, v32, v7
	v_mad_u64_u32 v[10:11], s[0:1], v1, s24, 0
	v_mad_u64_u32 v[8:9], s[0:1], v7, s23, 0
	v_xor_b32_e32 v1, v30, v11
	v_xor_b32_e32 v1, v1, v6
	v_xor_b32_e32 v6, v33, v9
	v_xor_b32_e32 v6, v6, v0
	;; [unrolled: 6-line block ×10, first 2 shown]
	v_mov_b32_e32 v7, v12
	v_mov_b32_e32 v8, v13
	v_cmp_lt_i32_e32 vcc, 1, v20
	s_and_saveexec_b64 s[0:1], vcc
	s_xor_b64 s[0:1], exec, s[0:1]
	s_cbranch_execnz .LBB32_12
; %bb.10:                               ;   in Loop: Header=BB32_9 Depth=1
	s_andn2_saveexec_b64 s[0:1], s[0:1]
	s_cbranch_execnz .LBB32_17
.LBB32_11:                              ;   in Loop: Header=BB32_9 Depth=1
	s_or_b64 exec, exec, s[0:1]
	v_cmp_gt_i64_e32 vcc, s[8:9], v[18:19]
	s_and_saveexec_b64 s[6:7], vcc
	s_cbranch_execnz .LBB32_20
	s_branch .LBB32_25
.LBB32_12:                              ;   in Loop: Header=BB32_9 Depth=1
	v_cmp_lt_i32_e32 vcc, 2, v20
	s_and_saveexec_b64 s[2:3], vcc
	s_xor_b64 s[2:3], exec, s[2:3]
; %bb.13:                               ;   in Loop: Header=BB32_9 Depth=1
	v_mov_b32_e32 v10, v5
	v_mov_b32_e32 v11, v6
	v_pk_mov_b32 v[2:3], v[10:11], v[10:11] op_sel:[0,1]
	v_pk_mov_b32 v[4:5], v[12:13], v[12:13] op_sel:[0,1]
                                        ; implicit-def: $vgpr12_vgpr13
; %bb.14:                               ;   in Loop: Header=BB32_9 Depth=1
	s_andn2_saveexec_b64 s[2:3], s[2:3]
; %bb.15:                               ;   in Loop: Header=BB32_9 Depth=1
	v_mov_b32_e32 v2, v4
	v_mov_b32_e32 v3, v5
	;; [unrolled: 1-line block ×4, first 2 shown]
; %bb.16:                               ;   in Loop: Header=BB32_9 Depth=1
	s_or_b64 exec, exec, s[2:3]
	s_andn2_saveexec_b64 s[0:1], s[0:1]
	s_cbranch_execz .LBB32_11
.LBB32_17:                              ;   in Loop: Header=BB32_9 Depth=1
	v_cmp_eq_u32_e32 vcc, 1, v20
	s_and_saveexec_b64 s[2:3], vcc
; %bb.18:                               ;   in Loop: Header=BB32_9 Depth=1
	v_mov_b32_e32 v2, v3
	v_mov_b32_e32 v3, v4
	v_mov_b32_e32 v4, v5
	v_mov_b32_e32 v5, v6
; %bb.19:                               ;   in Loop: Header=BB32_9 Depth=1
	s_or_b64 exec, exec, s[2:3]
	s_or_b64 exec, exec, s[0:1]
	v_cmp_gt_i64_e32 vcc, s[8:9], v[18:19]
	s_and_saveexec_b64 s[6:7], vcc
	s_cbranch_execz .LBB32_25
.LBB32_20:                              ;   in Loop: Header=BB32_9 Depth=1
	v_or_b32_e32 v17, s13, v2
	v_cmp_ne_u64_e32 vcc, 0, v[16:17]
                                        ; implicit-def: $vgpr10_vgpr11
	s_and_saveexec_b64 s[0:1], vcc
	s_xor_b64 s[18:19], exec, s[0:1]
	s_cbranch_execz .LBB32_22
; %bb.21:                               ;   in Loop: Header=BB32_9 Depth=1
	v_cvt_f32_u32_e32 v1, s12
	v_cvt_f32_u32_e32 v9, s13
	s_sub_u32 s0, 0, s12
	s_subb_u32 s1, 0, s13
	v_mac_f32_e32 v1, 0x4f800000, v9
	v_rcp_f32_e32 v1, v1
	v_mul_f32_e32 v1, 0x5f7ffffc, v1
	v_mul_f32_e32 v9, 0x2f800000, v1
	v_trunc_f32_e32 v9, v9
	v_mac_f32_e32 v1, 0xcf800000, v9
	v_cvt_u32_f32_e32 v9, v9
	v_cvt_u32_f32_e32 v1, v1
	v_mul_lo_u32 v10, s0, v9
	v_mul_hi_u32 v12, s0, v1
	v_mul_lo_u32 v11, s1, v1
	v_add_u32_e32 v10, v12, v10
	v_mul_lo_u32 v13, s0, v1
	v_add_u32_e32 v10, v10, v11
	v_mul_hi_u32 v12, v1, v13
	v_mul_lo_u32 v17, v1, v10
	v_mul_hi_u32 v11, v1, v10
	v_add_co_u32_e32 v12, vcc, v12, v17
	v_addc_co_u32_e32 v11, vcc, 0, v11, vcc
	v_mul_hi_u32 v45, v9, v13
	v_mul_lo_u32 v13, v9, v13
	v_add_co_u32_e32 v12, vcc, v12, v13
	v_mul_hi_u32 v17, v9, v10
	v_addc_co_u32_e32 v11, vcc, v11, v45, vcc
	v_addc_co_u32_e32 v12, vcc, 0, v17, vcc
	v_mul_lo_u32 v10, v9, v10
	v_add_co_u32_e32 v10, vcc, v11, v10
	v_addc_co_u32_e32 v11, vcc, 0, v12, vcc
	v_add_co_u32_e32 v1, vcc, v1, v10
	v_addc_co_u32_e32 v9, vcc, v9, v11, vcc
	v_mul_lo_u32 v10, s0, v9
	v_mul_hi_u32 v11, s0, v1
	v_add_u32_e32 v10, v11, v10
	v_mul_lo_u32 v11, s1, v1
	v_add_u32_e32 v10, v10, v11
	v_mul_lo_u32 v12, s0, v1
	v_mul_hi_u32 v13, v9, v12
	v_mul_lo_u32 v17, v9, v12
	v_mul_lo_u32 v46, v1, v10
	v_mul_hi_u32 v12, v1, v12
	v_mul_hi_u32 v45, v1, v10
	v_add_co_u32_e32 v12, vcc, v12, v46
	v_addc_co_u32_e32 v45, vcc, 0, v45, vcc
	v_add_co_u32_e32 v12, vcc, v12, v17
	v_mul_hi_u32 v11, v9, v10
	v_addc_co_u32_e32 v12, vcc, v45, v13, vcc
	v_addc_co_u32_e32 v11, vcc, 0, v11, vcc
	v_mul_lo_u32 v10, v9, v10
	v_add_co_u32_e32 v10, vcc, v12, v10
	v_addc_co_u32_e32 v11, vcc, 0, v11, vcc
	v_add_co_u32_e32 v1, vcc, v1, v10
	v_addc_co_u32_e32 v9, vcc, v9, v11, vcc
	v_mad_u64_u32 v[10:11], s[0:1], v3, v9, 0
	v_mul_hi_u32 v12, v3, v1
	v_add_co_u32_e32 v17, vcc, v12, v10
	v_addc_co_u32_e32 v45, vcc, 0, v11, vcc
	v_mad_u64_u32 v[12:13], s[0:1], v2, v1, 0
	v_add_co_u32_e32 v1, vcc, v17, v12
	v_mad_u64_u32 v[10:11], s[0:1], v2, v9, 0
	v_addc_co_u32_e32 v1, vcc, v45, v13, vcc
	v_addc_co_u32_e32 v9, vcc, 0, v11, vcc
	v_add_co_u32_e32 v1, vcc, v1, v10
	v_addc_co_u32_e32 v9, vcc, 0, v9, vcc
	v_mul_lo_u32 v12, s13, v1
	v_mul_lo_u32 v9, s12, v9
	v_mad_u64_u32 v[10:11], s[0:1], s12, v1, 0
	v_add3_u32 v1, v11, v9, v12
	v_sub_u32_e32 v9, v2, v1
	v_mov_b32_e32 v11, s13
	v_sub_co_u32_e32 v10, vcc, v3, v10
	v_subb_co_u32_e64 v9, s[0:1], v9, v11, vcc
	v_subrev_co_u32_e64 v12, s[0:1], s12, v10
	v_subbrev_co_u32_e64 v13, s[2:3], 0, v9, s[0:1]
	v_cmp_le_u32_e64 s[2:3], s13, v13
	v_cndmask_b32_e64 v17, 0, -1, s[2:3]
	v_cmp_le_u32_e64 s[2:3], s12, v12
	v_subb_co_u32_e32 v1, vcc, v2, v1, vcc
	v_cndmask_b32_e64 v45, 0, -1, s[2:3]
	v_cmp_eq_u32_e64 s[2:3], s13, v13
	v_subb_co_u32_e64 v9, s[0:1], v9, v11, s[0:1]
	v_cmp_le_u32_e32 vcc, s13, v1
	v_cndmask_b32_e64 v17, v17, v45, s[2:3]
	v_subrev_co_u32_e64 v45, s[0:1], s12, v12
	v_cndmask_b32_e64 v2, 0, -1, vcc
	v_cmp_le_u32_e32 vcc, s12, v10
	v_subbrev_co_u32_e64 v9, s[0:1], 0, v9, s[0:1]
	v_cndmask_b32_e64 v11, 0, -1, vcc
	v_cmp_eq_u32_e32 vcc, s13, v1
	v_cmp_ne_u32_e64 s[0:1], 0, v17
	v_cndmask_b32_e32 v2, v2, v11, vcc
	v_cndmask_b32_e64 v9, v13, v9, s[0:1]
	v_cmp_ne_u32_e32 vcc, 0, v2
	v_cndmask_b32_e32 v11, v1, v9, vcc
	v_cndmask_b32_e64 v1, v12, v45, s[0:1]
	v_cndmask_b32_e32 v10, v10, v1, vcc
.LBB32_22:                              ;   in Loop: Header=BB32_9 Depth=1
	s_andn2_saveexec_b64 s[0:1], s[18:19]
	s_cbranch_execz .LBB32_24
; %bb.23:                               ;   in Loop: Header=BB32_9 Depth=1
	v_cvt_f32_u32_e32 v1, s12
	s_sub_i32 s2, 0, s12
	v_mov_b32_e32 v11, v16
	v_rcp_iflag_f32_e32 v1, v1
	v_mul_f32_e32 v1, 0x4f7ffffe, v1
	v_cvt_u32_f32_e32 v1, v1
	v_mul_lo_u32 v2, s2, v1
	v_mul_hi_u32 v2, v1, v2
	v_add_u32_e32 v1, v1, v2
	v_mul_hi_u32 v1, v3, v1
	v_mul_lo_u32 v1, v1, s12
	v_sub_u32_e32 v1, v3, v1
	v_subrev_u32_e32 v2, s12, v1
	v_cmp_le_u32_e32 vcc, s12, v1
	v_cndmask_b32_e32 v1, v1, v2, vcc
	v_subrev_u32_e32 v2, s12, v1
	v_cmp_le_u32_e32 vcc, s12, v1
	v_cndmask_b32_e32 v10, v1, v2, vcc
.LBB32_24:                              ;   in Loop: Header=BB32_9 Depth=1
	s_or_b64 exec, exec, s[0:1]
	v_mov_b32_e32 v3, s15
	v_add_co_u32_e32 v2, vcc, s14, v10
	v_addc_co_u32_e32 v3, vcc, v11, v3, vcc
	v_xor_b32_e32 v9, v2, v3
	v_ashrrev_i32_e32 v9, 31, v9
	v_ffbh_i32_e32 v10, v3
	v_add_u32_e32 v9, 32, v9
	v_add_u32_e32 v10, -1, v10
	v_min_u32_e32 v9, v10, v9
	v_lshlrev_b64 v[2:3], v9, v[2:3]
	v_min_u32_e32 v2, 1, v2
	v_or_b32_e32 v2, v3, v2
	v_cvt_f32_i32_e32 v2, v2
	v_sub_u32_e32 v9, 32, v9
	v_add_u32_e32 v1, s26, v41
	v_ashrrev_i32_e32 v3, 31, v1
	v_ldexp_f32 v2, v2, v9
	v_cvt_f16_f32_e32 v9, v2
	v_mov_b32_e32 v10, s17
	v_add_co_u32_e32 v2, vcc, s16, v1
	v_addc_co_u32_e32 v3, vcc, v10, v3, vcc
	global_store_short v[2:3], v9, off
.LBB32_25:                              ;   in Loop: Header=BB32_9 Depth=1
	s_or_b64 exec, exec, s[6:7]
	v_mov_b32_e32 v1, s22
	v_add_co_u32_e32 v2, vcc, s20, v18
	v_addc_co_u32_e32 v3, vcc, v1, v19, vcc
	v_cmp_gt_i64_e32 vcc, s[8:9], v[2:3]
	s_and_saveexec_b64 s[6:7], vcc
	s_cbranch_execz .LBB32_8
; %bb.26:                               ;   in Loop: Header=BB32_9 Depth=1
	v_or_b32_e32 v17, s13, v4
	v_cmp_ne_u64_e32 vcc, 0, v[16:17]
                                        ; implicit-def: $vgpr10_vgpr11
	s_and_saveexec_b64 s[0:1], vcc
	s_xor_b64 s[18:19], exec, s[0:1]
	s_cbranch_execz .LBB32_28
; %bb.27:                               ;   in Loop: Header=BB32_9 Depth=1
	v_cvt_f32_u32_e32 v1, s12
	v_cvt_f32_u32_e32 v2, s13
	s_sub_u32 s0, 0, s12
	s_subb_u32 s1, 0, s13
	v_mac_f32_e32 v1, 0x4f800000, v2
	v_rcp_f32_e32 v1, v1
	v_mul_f32_e32 v1, 0x5f7ffffc, v1
	v_mul_f32_e32 v2, 0x2f800000, v1
	v_trunc_f32_e32 v2, v2
	v_mac_f32_e32 v1, 0xcf800000, v2
	v_cvt_u32_f32_e32 v2, v2
	v_cvt_u32_f32_e32 v1, v1
	v_mul_lo_u32 v3, s0, v2
	v_mul_hi_u32 v10, s0, v1
	v_mul_lo_u32 v9, s1, v1
	v_add_u32_e32 v3, v10, v3
	v_mul_lo_u32 v11, s0, v1
	v_add_u32_e32 v3, v3, v9
	v_mul_hi_u32 v10, v1, v11
	v_mul_lo_u32 v12, v1, v3
	v_mul_hi_u32 v9, v1, v3
	v_add_co_u32_e32 v10, vcc, v10, v12
	v_addc_co_u32_e32 v9, vcc, 0, v9, vcc
	v_mul_hi_u32 v13, v2, v11
	v_mul_lo_u32 v11, v2, v11
	v_add_co_u32_e32 v10, vcc, v10, v11
	v_mul_hi_u32 v12, v2, v3
	v_addc_co_u32_e32 v9, vcc, v9, v13, vcc
	v_addc_co_u32_e32 v10, vcc, 0, v12, vcc
	v_mul_lo_u32 v3, v2, v3
	v_add_co_u32_e32 v3, vcc, v9, v3
	v_addc_co_u32_e32 v9, vcc, 0, v10, vcc
	v_add_co_u32_e32 v1, vcc, v1, v3
	v_addc_co_u32_e32 v2, vcc, v2, v9, vcc
	v_mul_lo_u32 v3, s0, v2
	v_mul_hi_u32 v9, s0, v1
	v_add_u32_e32 v3, v9, v3
	v_mul_lo_u32 v9, s1, v1
	v_add_u32_e32 v3, v3, v9
	v_mul_lo_u32 v10, s0, v1
	v_mul_hi_u32 v11, v2, v10
	v_mul_lo_u32 v12, v2, v10
	v_mul_lo_u32 v17, v1, v3
	v_mul_hi_u32 v10, v1, v10
	v_mul_hi_u32 v13, v1, v3
	v_add_co_u32_e32 v10, vcc, v10, v17
	v_addc_co_u32_e32 v13, vcc, 0, v13, vcc
	v_add_co_u32_e32 v10, vcc, v10, v12
	v_mul_hi_u32 v9, v2, v3
	v_addc_co_u32_e32 v10, vcc, v13, v11, vcc
	v_addc_co_u32_e32 v9, vcc, 0, v9, vcc
	v_mul_lo_u32 v3, v2, v3
	v_add_co_u32_e32 v3, vcc, v10, v3
	v_addc_co_u32_e32 v9, vcc, 0, v9, vcc
	v_add_co_u32_e32 v1, vcc, v1, v3
	v_addc_co_u32_e32 v9, vcc, v2, v9, vcc
	v_mad_u64_u32 v[2:3], s[0:1], v5, v9, 0
	v_mul_hi_u32 v10, v5, v1
	v_add_co_u32_e32 v12, vcc, v10, v2
	v_addc_co_u32_e32 v13, vcc, 0, v3, vcc
	v_mad_u64_u32 v[10:11], s[0:1], v4, v1, 0
	v_add_co_u32_e32 v1, vcc, v12, v10
	v_mad_u64_u32 v[2:3], s[0:1], v4, v9, 0
	v_addc_co_u32_e32 v1, vcc, v13, v11, vcc
	v_addc_co_u32_e32 v3, vcc, 0, v3, vcc
	v_add_co_u32_e32 v1, vcc, v1, v2
	v_addc_co_u32_e32 v2, vcc, 0, v3, vcc
	v_mul_lo_u32 v9, s13, v1
	v_mul_lo_u32 v10, s12, v2
	v_mad_u64_u32 v[2:3], s[0:1], s12, v1, 0
	v_add3_u32 v1, v3, v10, v9
	v_sub_u32_e32 v3, v4, v1
	v_mov_b32_e32 v9, s13
	v_sub_co_u32_e32 v2, vcc, v5, v2
	v_subb_co_u32_e64 v3, s[0:1], v3, v9, vcc
	v_subrev_co_u32_e64 v5, s[0:1], s12, v2
	v_subbrev_co_u32_e64 v10, s[2:3], 0, v3, s[0:1]
	v_cmp_le_u32_e64 s[2:3], s13, v10
	v_cndmask_b32_e64 v11, 0, -1, s[2:3]
	v_cmp_le_u32_e64 s[2:3], s12, v5
	v_subb_co_u32_e64 v3, s[0:1], v3, v9, s[0:1]
	v_cndmask_b32_e64 v12, 0, -1, s[2:3]
	v_cmp_eq_u32_e64 s[2:3], s13, v10
	v_subrev_co_u32_e64 v9, s[0:1], s12, v5
	v_subb_co_u32_e32 v1, vcc, v4, v1, vcc
	v_cndmask_b32_e64 v11, v11, v12, s[2:3]
	v_subbrev_co_u32_e64 v3, s[0:1], 0, v3, s[0:1]
	v_cmp_le_u32_e32 vcc, s13, v1
	v_cmp_ne_u32_e64 s[0:1], 0, v11
	v_cndmask_b32_e64 v4, 0, -1, vcc
	v_cmp_le_u32_e32 vcc, s12, v2
	v_cndmask_b32_e64 v3, v10, v3, s[0:1]
	v_cndmask_b32_e64 v10, 0, -1, vcc
	v_cmp_eq_u32_e32 vcc, s13, v1
	v_cndmask_b32_e32 v4, v4, v10, vcc
	v_cmp_ne_u32_e32 vcc, 0, v4
	v_cndmask_b32_e32 v11, v1, v3, vcc
	v_cndmask_b32_e64 v1, v5, v9, s[0:1]
	v_cndmask_b32_e32 v10, v2, v1, vcc
                                        ; implicit-def: $vgpr2_vgpr3_vgpr4_vgpr5
.LBB32_28:                              ;   in Loop: Header=BB32_9 Depth=1
	s_andn2_saveexec_b64 s[0:1], s[18:19]
	s_cbranch_execz .LBB32_7
; %bb.29:                               ;   in Loop: Header=BB32_9 Depth=1
	v_cvt_f32_u32_e32 v1, s12
	s_sub_i32 s2, 0, s12
	v_mov_b32_e32 v11, v16
	v_rcp_iflag_f32_e32 v1, v1
	v_mul_f32_e32 v1, 0x4f7ffffe, v1
	v_cvt_u32_f32_e32 v1, v1
	v_mul_lo_u32 v2, s2, v1
	v_mul_hi_u32 v2, v1, v2
	v_add_u32_e32 v1, v1, v2
	v_mul_hi_u32 v1, v5, v1
	v_mul_lo_u32 v1, v1, s12
	v_sub_u32_e32 v1, v5, v1
	v_subrev_u32_e32 v2, s12, v1
	v_cmp_le_u32_e32 vcc, s12, v1
	v_cndmask_b32_e32 v1, v1, v2, vcc
	v_subrev_u32_e32 v2, s12, v1
	v_cmp_le_u32_e32 vcc, s12, v1
	v_cndmask_b32_e32 v10, v1, v2, vcc
	s_branch .LBB32_7
.LBB32_30:
	s_endpgm
.LBB32_31:
                                        ; implicit-def: $sgpr2_sgpr3
	s_andn2_b64 vcc, exec, s[0:1]
	s_cbranch_vccz .LBB32_4
	s_branch .LBB32_5
	.section	.rodata,"a",@progbits
	.p2align	6, 0x0
	.amdhsa_kernel _ZN2at6native12_GLOBAL__N_143distribution_elementwise_grid_stride_kernelImLi2EZZZNS0_9templates4cuda21random_from_to_kernelIPNS_17CUDAGeneratorImplEEEvRNS_18TensorIteratorBaseEmlT_ENKUlvE_clEvENKUlvE7_clEvEUlP25hiprandStatePhilox4_32_10E_ZNS1_27distribution_nullary_kernelIN3c104HalfEm15HIP_vector_typeIyLj2EES7_SF_ZZZNS5_IS7_EEvS9_mlSA_ENKSB_clEvENKSC_clEvEUlmE_EEvS9_T2_RKT3_T4_EUlimE_EEvlNS_15PhiloxCudaStateET1_SM_
		.amdhsa_group_segment_fixed_size 0
		.amdhsa_private_segment_fixed_size 0
		.amdhsa_kernarg_size 336
		.amdhsa_user_sgpr_count 6
		.amdhsa_user_sgpr_private_segment_buffer 1
		.amdhsa_user_sgpr_dispatch_ptr 0
		.amdhsa_user_sgpr_queue_ptr 0
		.amdhsa_user_sgpr_kernarg_segment_ptr 1
		.amdhsa_user_sgpr_dispatch_id 0
		.amdhsa_user_sgpr_flat_scratch_init 0
		.amdhsa_user_sgpr_kernarg_preload_length 0
		.amdhsa_user_sgpr_kernarg_preload_offset 0
		.amdhsa_user_sgpr_private_segment_size 0
		.amdhsa_uses_dynamic_stack 0
		.amdhsa_system_sgpr_private_segment_wavefront_offset 0
		.amdhsa_system_sgpr_workgroup_id_x 1
		.amdhsa_system_sgpr_workgroup_id_y 0
		.amdhsa_system_sgpr_workgroup_id_z 0
		.amdhsa_system_sgpr_workgroup_info 0
		.amdhsa_system_vgpr_workitem_id 0
		.amdhsa_next_free_vgpr 48
		.amdhsa_next_free_sgpr 27
		.amdhsa_accum_offset 48
		.amdhsa_reserve_vcc 1
		.amdhsa_reserve_flat_scratch 0
		.amdhsa_float_round_mode_32 0
		.amdhsa_float_round_mode_16_64 0
		.amdhsa_float_denorm_mode_32 3
		.amdhsa_float_denorm_mode_16_64 3
		.amdhsa_dx10_clamp 1
		.amdhsa_ieee_mode 1
		.amdhsa_fp16_overflow 0
		.amdhsa_tg_split 0
		.amdhsa_exception_fp_ieee_invalid_op 0
		.amdhsa_exception_fp_denorm_src 0
		.amdhsa_exception_fp_ieee_div_zero 0
		.amdhsa_exception_fp_ieee_overflow 0
		.amdhsa_exception_fp_ieee_underflow 0
		.amdhsa_exception_fp_ieee_inexact 0
		.amdhsa_exception_int_div_zero 0
	.end_amdhsa_kernel
	.section	.text._ZN2at6native12_GLOBAL__N_143distribution_elementwise_grid_stride_kernelImLi2EZZZNS0_9templates4cuda21random_from_to_kernelIPNS_17CUDAGeneratorImplEEEvRNS_18TensorIteratorBaseEmlT_ENKUlvE_clEvENKUlvE7_clEvEUlP25hiprandStatePhilox4_32_10E_ZNS1_27distribution_nullary_kernelIN3c104HalfEm15HIP_vector_typeIyLj2EES7_SF_ZZZNS5_IS7_EEvS9_mlSA_ENKSB_clEvENKSC_clEvEUlmE_EEvS9_T2_RKT3_T4_EUlimE_EEvlNS_15PhiloxCudaStateET1_SM_,"axG",@progbits,_ZN2at6native12_GLOBAL__N_143distribution_elementwise_grid_stride_kernelImLi2EZZZNS0_9templates4cuda21random_from_to_kernelIPNS_17CUDAGeneratorImplEEEvRNS_18TensorIteratorBaseEmlT_ENKUlvE_clEvENKUlvE7_clEvEUlP25hiprandStatePhilox4_32_10E_ZNS1_27distribution_nullary_kernelIN3c104HalfEm15HIP_vector_typeIyLj2EES7_SF_ZZZNS5_IS7_EEvS9_mlSA_ENKSB_clEvENKSC_clEvEUlmE_EEvS9_T2_RKT3_T4_EUlimE_EEvlNS_15PhiloxCudaStateET1_SM_,comdat
.Lfunc_end32:
	.size	_ZN2at6native12_GLOBAL__N_143distribution_elementwise_grid_stride_kernelImLi2EZZZNS0_9templates4cuda21random_from_to_kernelIPNS_17CUDAGeneratorImplEEEvRNS_18TensorIteratorBaseEmlT_ENKUlvE_clEvENKUlvE7_clEvEUlP25hiprandStatePhilox4_32_10E_ZNS1_27distribution_nullary_kernelIN3c104HalfEm15HIP_vector_typeIyLj2EES7_SF_ZZZNS5_IS7_EEvS9_mlSA_ENKSB_clEvENKSC_clEvEUlmE_EEvS9_T2_RKT3_T4_EUlimE_EEvlNS_15PhiloxCudaStateET1_SM_, .Lfunc_end32-_ZN2at6native12_GLOBAL__N_143distribution_elementwise_grid_stride_kernelImLi2EZZZNS0_9templates4cuda21random_from_to_kernelIPNS_17CUDAGeneratorImplEEEvRNS_18TensorIteratorBaseEmlT_ENKUlvE_clEvENKUlvE7_clEvEUlP25hiprandStatePhilox4_32_10E_ZNS1_27distribution_nullary_kernelIN3c104HalfEm15HIP_vector_typeIyLj2EES7_SF_ZZZNS5_IS7_EEvS9_mlSA_ENKSB_clEvENKSC_clEvEUlmE_EEvS9_T2_RKT3_T4_EUlimE_EEvlNS_15PhiloxCudaStateET1_SM_
                                        ; -- End function
	.section	.AMDGPU.csdata,"",@progbits
; Kernel info:
; codeLenInByte = 3768
; NumSgprs: 31
; NumVgprs: 48
; NumAgprs: 0
; TotalNumVgprs: 48
; ScratchSize: 0
; MemoryBound: 0
; FloatMode: 240
; IeeeMode: 1
; LDSByteSize: 0 bytes/workgroup (compile time only)
; SGPRBlocks: 3
; VGPRBlocks: 5
; NumSGPRsForWavesPerEU: 31
; NumVGPRsForWavesPerEU: 48
; AccumOffset: 48
; Occupancy: 8
; WaveLimiterHint : 0
; COMPUTE_PGM_RSRC2:SCRATCH_EN: 0
; COMPUTE_PGM_RSRC2:USER_SGPR: 6
; COMPUTE_PGM_RSRC2:TRAP_HANDLER: 0
; COMPUTE_PGM_RSRC2:TGID_X_EN: 1
; COMPUTE_PGM_RSRC2:TGID_Y_EN: 0
; COMPUTE_PGM_RSRC2:TGID_Z_EN: 0
; COMPUTE_PGM_RSRC2:TIDIG_COMP_CNT: 0
; COMPUTE_PGM_RSRC3_GFX90A:ACCUM_OFFSET: 11
; COMPUTE_PGM_RSRC3_GFX90A:TG_SPLIT: 0
	.section	.text._ZN2at6native12_GLOBAL__N_143distribution_elementwise_grid_stride_kernelImLi2EZZZNS0_9templates4cuda21random_from_to_kernelIPNS_17CUDAGeneratorImplEEEvRNS_18TensorIteratorBaseEmlT_ENKUlvE_clEvENKUlvE7_clEvEUlP25hiprandStatePhilox4_32_10E_ZNS1_27distribution_nullary_kernelIN3c104HalfEm15HIP_vector_typeIyLj2EES7_SF_ZZZNS5_IS7_EEvS9_mlSA_ENKSB_clEvENKSC_clEvEUlmE_EEvS9_T2_RKT3_T4_EUlimE0_EEvlNS_15PhiloxCudaStateET1_SM_,"axG",@progbits,_ZN2at6native12_GLOBAL__N_143distribution_elementwise_grid_stride_kernelImLi2EZZZNS0_9templates4cuda21random_from_to_kernelIPNS_17CUDAGeneratorImplEEEvRNS_18TensorIteratorBaseEmlT_ENKUlvE_clEvENKUlvE7_clEvEUlP25hiprandStatePhilox4_32_10E_ZNS1_27distribution_nullary_kernelIN3c104HalfEm15HIP_vector_typeIyLj2EES7_SF_ZZZNS5_IS7_EEvS9_mlSA_ENKSB_clEvENKSC_clEvEUlmE_EEvS9_T2_RKT3_T4_EUlimE0_EEvlNS_15PhiloxCudaStateET1_SM_,comdat
	.globl	_ZN2at6native12_GLOBAL__N_143distribution_elementwise_grid_stride_kernelImLi2EZZZNS0_9templates4cuda21random_from_to_kernelIPNS_17CUDAGeneratorImplEEEvRNS_18TensorIteratorBaseEmlT_ENKUlvE_clEvENKUlvE7_clEvEUlP25hiprandStatePhilox4_32_10E_ZNS1_27distribution_nullary_kernelIN3c104HalfEm15HIP_vector_typeIyLj2EES7_SF_ZZZNS5_IS7_EEvS9_mlSA_ENKSB_clEvENKSC_clEvEUlmE_EEvS9_T2_RKT3_T4_EUlimE0_EEvlNS_15PhiloxCudaStateET1_SM_ ; -- Begin function _ZN2at6native12_GLOBAL__N_143distribution_elementwise_grid_stride_kernelImLi2EZZZNS0_9templates4cuda21random_from_to_kernelIPNS_17CUDAGeneratorImplEEEvRNS_18TensorIteratorBaseEmlT_ENKUlvE_clEvENKUlvE7_clEvEUlP25hiprandStatePhilox4_32_10E_ZNS1_27distribution_nullary_kernelIN3c104HalfEm15HIP_vector_typeIyLj2EES7_SF_ZZZNS5_IS7_EEvS9_mlSA_ENKSB_clEvENKSC_clEvEUlmE_EEvS9_T2_RKT3_T4_EUlimE0_EEvlNS_15PhiloxCudaStateET1_SM_
	.p2align	8
	.type	_ZN2at6native12_GLOBAL__N_143distribution_elementwise_grid_stride_kernelImLi2EZZZNS0_9templates4cuda21random_from_to_kernelIPNS_17CUDAGeneratorImplEEEvRNS_18TensorIteratorBaseEmlT_ENKUlvE_clEvENKUlvE7_clEvEUlP25hiprandStatePhilox4_32_10E_ZNS1_27distribution_nullary_kernelIN3c104HalfEm15HIP_vector_typeIyLj2EES7_SF_ZZZNS5_IS7_EEvS9_mlSA_ENKSB_clEvENKSC_clEvEUlmE_EEvS9_T2_RKT3_T4_EUlimE0_EEvlNS_15PhiloxCudaStateET1_SM_,@function
_ZN2at6native12_GLOBAL__N_143distribution_elementwise_grid_stride_kernelImLi2EZZZNS0_9templates4cuda21random_from_to_kernelIPNS_17CUDAGeneratorImplEEEvRNS_18TensorIteratorBaseEmlT_ENKUlvE_clEvENKUlvE7_clEvEUlP25hiprandStatePhilox4_32_10E_ZNS1_27distribution_nullary_kernelIN3c104HalfEm15HIP_vector_typeIyLj2EES7_SF_ZZZNS5_IS7_EEvS9_mlSA_ENKSB_clEvENKSC_clEvEUlmE_EEvS9_T2_RKT3_T4_EUlimE0_EEvlNS_15PhiloxCudaStateET1_SM_: ; @_ZN2at6native12_GLOBAL__N_143distribution_elementwise_grid_stride_kernelImLi2EZZZNS0_9templates4cuda21random_from_to_kernelIPNS_17CUDAGeneratorImplEEEvRNS_18TensorIteratorBaseEmlT_ENKUlvE_clEvENKUlvE7_clEvEUlP25hiprandStatePhilox4_32_10E_ZNS1_27distribution_nullary_kernelIN3c104HalfEm15HIP_vector_typeIyLj2EES7_SF_ZZZNS5_IS7_EEvS9_mlSA_ENKSB_clEvENKSC_clEvEUlmE_EEvS9_T2_RKT3_T4_EUlimE0_EEvlNS_15PhiloxCudaStateET1_SM_
; %bb.0:
	s_load_dword s2, s[4:5], 0x20
	s_load_dwordx2 s[0:1], s[4:5], 0x10
	s_load_dwordx4 s[24:27], s[4:5], 0x0
	s_waitcnt lgkmcnt(0)
	s_bitcmp0_b32 s2, 0
	s_mov_b32 s2, 0
	v_pk_mov_b32 v[2:3], s[0:1], s[0:1] op_sel:[0,1]
	v_pk_mov_b32 v[12:13], s[26:27], s[26:27] op_sel:[0,1]
	s_cbranch_scc1 .LBB33_2
; %bb.1:
	v_pk_mov_b32 v[2:3], s[0:1], s[0:1] op_sel:[0,1]
	flat_load_dwordx2 v[2:3], v[2:3]
	v_pk_mov_b32 v[4:5], s[26:27], s[26:27] op_sel:[0,1]
	flat_load_dwordx2 v[12:13], v[4:5]
	s_load_dwordx2 s[0:1], s[4:5], 0x18
	s_waitcnt lgkmcnt(0)
	v_mov_b32_e32 v1, s1
	s_waitcnt vmcnt(0)
	v_add_co_u32_e32 v2, vcc, s0, v2
	v_addc_co_u32_e32 v3, vcc, v3, v1, vcc
.LBB33_2:
	s_load_dword s0, s[4:5], 0x15c
	s_load_dword s7, s[4:5], 0x150
	s_waitcnt lgkmcnt(0)
	s_and_b32 s8, s0, 0xffff
	s_add_u32 s9, s24, -1
	s_mul_i32 s33, s7, s8
	s_addc_u32 s3, s25, -1
	s_lshl_b32 s62, s33, 1
	s_cmp_lg_u64 s[2:3], 0
	s_mov_b64 s[0:1], -1
	s_cbranch_scc0 .LBB33_59
; %bb.3:
	v_cvt_f32_u32_e32 v1, s62
	v_cvt_f32_ubyte0_e32 v4, 0
	s_sub_u32 s2, 0, s62
	s_subb_u32 s10, 0, 0
	v_madmk_f32 v1, v4, 0x4f800000, v1
	v_rcp_f32_e32 v1, v1
	v_mul_f32_e32 v1, 0x5f7ffffc, v1
	v_mul_f32_e32 v4, 0x2f800000, v1
	v_trunc_f32_e32 v4, v4
	v_madmk_f32 v1, v4, 0xcf800000, v1
	v_cvt_u32_f32_e32 v4, v4
	v_cvt_u32_f32_e32 v1, v1
	v_readfirstlane_b32 s11, v4
	v_readfirstlane_b32 s12, v1
	s_mul_i32 s13, s2, s11
	s_mul_hi_u32 s15, s2, s12
	s_mul_i32 s14, s10, s12
	s_add_i32 s13, s15, s13
	s_add_i32 s13, s13, s14
	s_mul_i32 s16, s2, s12
	s_mul_hi_u32 s14, s12, s13
	s_mul_i32 s15, s12, s13
	s_mul_hi_u32 s12, s12, s16
	s_add_u32 s12, s12, s15
	s_addc_u32 s14, 0, s14
	s_mul_hi_u32 s17, s11, s16
	s_mul_i32 s16, s11, s16
	s_add_u32 s12, s12, s16
	s_mul_hi_u32 s15, s11, s13
	s_addc_u32 s12, s14, s17
	s_addc_u32 s14, s15, 0
	s_mul_i32 s13, s11, s13
	s_add_u32 s12, s12, s13
	s_addc_u32 s13, 0, s14
	v_add_co_u32_e32 v1, vcc, s12, v1
	s_cmp_lg_u64 vcc, 0
	s_addc_u32 s11, s11, s13
	v_readfirstlane_b32 s13, v1
	s_mul_i32 s12, s2, s11
	s_mul_hi_u32 s14, s2, s13
	s_add_i32 s12, s14, s12
	s_mul_i32 s10, s10, s13
	s_add_i32 s12, s12, s10
	s_mul_i32 s2, s2, s13
	s_mul_hi_u32 s14, s11, s2
	s_mul_i32 s15, s11, s2
	s_mul_i32 s17, s13, s12
	s_mul_hi_u32 s2, s13, s2
	s_mul_hi_u32 s16, s13, s12
	s_add_u32 s2, s2, s17
	s_addc_u32 s13, 0, s16
	s_add_u32 s2, s2, s15
	s_mul_hi_u32 s10, s11, s12
	s_addc_u32 s2, s13, s14
	s_addc_u32 s10, s10, 0
	s_mul_i32 s12, s11, s12
	s_add_u32 s2, s2, s12
	s_addc_u32 s10, 0, s10
	v_add_co_u32_e32 v1, vcc, s2, v1
	s_cmp_lg_u64 vcc, 0
	s_addc_u32 s12, s11, s10
	s_ashr_i32 s10, s3, 31
	s_add_u32 s2, s9, s10
	s_mov_b32 s11, s10
	s_addc_u32 s3, s3, s10
	s_xor_b64 s[2:3], s[2:3], s[10:11]
	v_readfirstlane_b32 s15, v1
	s_mul_i32 s14, s2, s12
	s_mul_hi_u32 s16, s2, s15
	s_mul_hi_u32 s13, s2, s12
	s_add_u32 s14, s16, s14
	s_addc_u32 s13, 0, s13
	s_mul_hi_u32 s17, s3, s15
	s_mul_i32 s15, s3, s15
	s_add_u32 s14, s14, s15
	s_mul_hi_u32 s16, s3, s12
	s_addc_u32 s13, s13, s17
	s_addc_u32 s14, s16, 0
	s_mul_i32 s12, s3, s12
	s_add_u32 s12, s13, s12
	s_addc_u32 s13, 0, s14
	s_add_u32 s14, s12, 1
	s_addc_u32 s15, s13, 0
	s_add_u32 s16, s12, 2
	s_mul_i32 s18, s62, s13
	s_mul_hi_u32 s19, s62, s12
	s_addc_u32 s17, s13, 0
	s_add_i32 s19, s19, s18
	s_mul_i32 s18, s62, s12
	v_mov_b32_e32 v1, s18
	v_sub_co_u32_e32 v1, vcc, s2, v1
	s_cmp_lg_u64 vcc, 0
	s_subb_u32 s2, s3, s19
	v_subrev_co_u32_e32 v4, vcc, s62, v1
	s_cmp_lg_u64 vcc, 0
	s_subb_u32 s3, s2, 0
	v_readfirstlane_b32 s18, v4
	s_cmp_ge_u32 s18, s62
	s_cselect_b32 s18, -1, 0
	s_cmp_eq_u32 s3, 0
	s_cselect_b32 s3, s18, -1
	s_cmp_lg_u32 s3, 0
	s_cselect_b32 s3, s17, s15
	v_readfirstlane_b32 s15, v1
	s_cselect_b32 s14, s16, s14
	s_cmp_ge_u32 s15, s62
	s_cselect_b32 s15, -1, 0
	s_cmp_eq_u32 s2, 0
	s_cselect_b32 s2, s15, -1
	s_cmp_lg_u32 s2, 0
	s_cselect_b32 s3, s3, s13
	s_cselect_b32 s2, s14, s12
	s_xor_b64 s[2:3], s[2:3], s[10:11]
	s_sub_u32 s2, s2, s10
	s_subb_u32 s3, s3, s10
	s_cbranch_execnz .LBB33_5
.LBB33_4:
	v_cvt_f32_u32_e32 v1, s62
	s_sub_i32 s0, 0, s62
	s_mov_b32 s3, 0
	v_rcp_iflag_f32_e32 v1, v1
	v_mul_f32_e32 v1, 0x4f7ffffe, v1
	v_cvt_u32_f32_e32 v1, v1
	v_readfirstlane_b32 s1, v1
	s_mul_i32 s0, s0, s1
	s_mul_hi_u32 s0, s1, s0
	s_add_i32 s1, s1, s0
	s_mul_hi_u32 s0, s9, s1
	s_mul_i32 s2, s0, s62
	s_sub_i32 s2, s9, s2
	s_add_i32 s1, s0, 1
	s_sub_i32 s9, s2, s62
	s_cmp_ge_u32 s2, s62
	s_cselect_b32 s0, s1, s0
	s_cselect_b32 s2, s9, s2
	s_add_i32 s1, s0, 1
	s_cmp_ge_u32 s2, s62
	s_cselect_b32 s2, s1, s0
.LBB33_5:
	v_mov_b32_e32 v14, 0
	v_mov_b32_e32 v1, v14
	;; [unrolled: 1-line block ×3, first 2 shown]
	v_mad_u64_u32 v[16:17], s[0:1], s8, v4, v[0:1]
	s_add_u32 s0, s2, 1
	s_addc_u32 s1, s3, 0
	s_mul_hi_u32 s2, s7, s8
	s_mul_i32 s1, s33, s1
	s_mul_hi_u32 s3, s33, s0
	s_add_i32 s1, s3, s1
	s_mul_i32 s2, s2, s0
	s_add_i32 s1, s1, s2
	s_mul_i32 s0, s33, s0
	s_lshl_b64 s[26:27], s[0:1], 1
	v_cmp_gt_i64_e32 vcc, s[26:27], v[16:17]
	s_and_saveexec_b64 s[0:1], vcc
	s_cbranch_execz .LBB33_58
; %bb.6:
	s_mov_b32 s0, 0x5384540f
	v_mov_b32_e32 v0, v13
	v_add_co_u32_e32 v24, vcc, s0, v12
	s_mov_b32 s0, 0x646e171e
	v_add_co_u32_e32 v25, vcc, s0, v0
	s_mov_b32 s0, 0x1715609d
	;; [unrolled: 2-line block ×6, first 2 shown]
	v_alignbit_b32 v31, v3, v2, 2
	s_mov_b32 s64, 0xd2511f53
	v_add_co_u32_e32 v30, vcc, s0, v12
	v_mad_u64_u32 v[4:5], s[0:1], v31, s64, 0
	v_xor_b32_e32 v1, v5, v13
	v_xor_b32_e32 v1, v1, v17
	s_mov_b32 s65, 0xcd9e8d57
	v_mad_u64_u32 v[6:7], s[0:1], v1, s65, 0
	v_xor_b32_e32 v1, v30, v7
	v_mad_u64_u32 v[8:9], s[0:1], v16, s65, 0
	v_and_b32_e32 v20, 3, v2
	v_xor_b32_e32 v1, v1, v8
	v_xor_b32_e32 v2, v12, v9
	v_lshrrev_b32_e32 v32, 2, v3
	v_mad_u64_u32 v[10:11], s[0:1], v1, s64, 0
	v_xor_b32_e32 v2, v2, v32
	v_xor_b32_e32 v1, v29, v11
	v_mad_u64_u32 v[2:3], s[0:1], v2, s64, 0
	v_xor_b32_e32 v1, v1, v2
	v_mad_u64_u32 v[8:9], s[0:1], v1, s65, 0
	s_mov_b32 s0, 0xbb67ae85
	v_add_co_u32_e32 v33, vcc, s0, v0
	v_xor_b32_e32 v2, v33, v3
	v_xor_b32_e32 v2, v2, v4
	v_xor_b32_e32 v1, v28, v9
	v_mad_u64_u32 v[2:3], s[0:1], v2, s65, 0
	v_xor_b32_e32 v1, v1, v2
	v_mad_u64_u32 v[4:5], s[0:1], v1, s64, 0
	s_mov_b32 s0, 0x3c6ef372
	v_add_co_u32_e32 v34, vcc, s0, v12
	v_xor_b32_e32 v2, v34, v3
	;; [unrolled: 8-line block ×6, first 2 shown]
	v_add_co_u32_e32 v23, vcc, 0xdb3d7428, v0
	v_xor_b32_e32 v2, v2, v6
	v_xor_b32_e32 v1, v23, v5
	v_mad_u64_u32 v[2:3], s[0:1], v2, s64, 0
	v_xor_b32_e32 v1, v1, v2
	v_mad_u64_u32 v[6:7], s[0:1], v1, s65, 0
	s_mov_b32 s0, 0x1fd5c5a3
	v_add_co_u32_e32 v39, vcc, s0, v0
	v_xor_b32_e32 v0, v39, v3
	v_xor_b32_e32 v0, v0, v10
	v_mad_u64_u32 v[0:1], s[0:1], v0, s65, 0
	s_mov_b32 s0, 0xf1bbcdc8
	s_load_dwordx8 s[8:15], s[4:5], 0x30
	v_add_co_u32_e32 v40, vcc, s0, v12
	v_xor_b32_e32 v1, v40, v1
	v_xor_b32_e32 v1, v1, v8
	s_add_u32 s34, s4, 48
	v_mad_u64_u32 v[8:9], s[0:1], v1, s64, 0
	s_addc_u32 s35, s5, 0
	s_waitcnt lgkmcnt(0)
	s_add_i32 s0, s8, -1
	s_cmp_gt_u32 s0, 1
	s_cselect_b64 s[40:41], -1, 0
	s_cmp_lg_u32 s8, 0
	s_cselect_b64 s[42:43], -1, 0
	s_add_u32 s44, s4, 0xf4
	s_addc_u32 s45, s5, 0
	s_min_u32 s1, s0, 15
	s_cmp_gt_u32 s8, 1
	s_cselect_b64 s[46:47], -1, 0
	s_load_dwordx2 s[48:49], s[4:5], 0x148
	s_load_dwordx2 s[50:51], s[4:5], 0xf4
	s_load_dwordx4 s[28:31], s[4:5], 0x138
	s_add_i32 s1, s1, 1
	s_mov_b32 s8, s13
	s_and_b32 s13, s1, 3
	s_cmp_lg_u32 s0, 2
	s_cselect_b64 s[52:53], -1, 0
	s_and_b32 s15, s1, 28
	v_add_u32_e32 v21, 0x8ff34781, v12
	v_add_u32_e32 v22, 0x96a522ad, v13
	v_xor_b32_e32 v0, v7, v0
	v_xor_b32_e32 v1, v9, v4
	s_cmp_lg_u32 s13, 0
	s_mov_b32 s63, 0
	v_xor_b32_e32 v0, v21, v0
	v_xor_b32_e32 v2, v22, v1
	v_mov_b32_e32 v1, v6
	v_mov_b32_e32 v3, v8
	s_mov_b64 s[54:55], 0
	s_cselect_b64 s[56:57], -1, 0
	v_mov_b32_e32 v41, v16
	v_mov_b32_e32 v42, v17
	s_branch .LBB33_9
.LBB33_7:                               ;   in Loop: Header=BB33_9 Depth=1
	s_or_b64 exec, exec, s[0:1]
	v_mov_b32_e32 v1, s49
	v_add_co_u32_e32 v0, vcc, s48, v10
	v_addc_co_u32_e32 v1, vcc, v11, v1, vcc
	v_xor_b32_e32 v2, v0, v1
	v_ashrrev_i32_e32 v2, 31, v2
	v_ffbh_i32_e32 v3, v1
	v_add_u32_e32 v2, 32, v2
	v_add_u32_e32 v3, -1, v3
	v_min_u32_e32 v2, v3, v2
	v_lshlrev_b64 v[0:1], v2, v[0:1]
	v_min_u32_e32 v0, 1, v0
	v_or_b32_e32 v0, v1, v0
	v_cvt_f32_i32_e32 v0, v0
	v_sub_u32_e32 v1, 32, v2
	v_ldexp_f32 v0, v0, v1
	v_cvt_f16_f32_e32 v0, v0
	global_store_short v8, v0, s[28:29]
.LBB33_8:                               ;   in Loop: Header=BB33_9 Depth=1
	s_or_b64 exec, exec, s[36:37]
	v_add_co_u32_e32 v16, vcc, s62, v16
	v_addc_co_u32_e32 v17, vcc, 0, v17, vcc
	v_mov_b32_e32 v7, v18
	v_cmp_le_i64_e32 vcc, s[26:27], v[16:17]
	v_pk_mov_b32 v[0:1], v[4:5], v[4:5] op_sel:[0,1]
	s_or_b64 s[54:55], vcc, s[54:55]
	v_pk_mov_b32 v[2:3], v[6:7], v[6:7] op_sel:[0,1]
	s_waitcnt lgkmcnt(0)
	s_barrier
	s_andn2_b64 exec, exec, s[54:55]
	s_cbranch_execz .LBB33_58
.LBB33_9:                               ; =>This Loop Header: Depth=1
                                        ;     Child Loop BB33_24 Depth 2
                                        ;     Child Loop BB33_30 Depth 2
	;; [unrolled: 1-line block ×4, first 2 shown]
	v_add_co_u32_e32 v31, vcc, 1, v31
	v_cndmask_b32_e64 v4, 0, 1, vcc
	v_addc_co_u32_e32 v32, vcc, 0, v32, vcc
	v_cmp_eq_u32_e32 vcc, 0, v32
	v_cndmask_b32_e32 v4, 0, v4, vcc
	v_add_u32_e32 v41, v4, v41
	v_cmp_eq_u32_e32 vcc, 0, v41
	v_cndmask_b32_e32 v4, 0, v4, vcc
	v_add_u32_e32 v42, v4, v42
	v_mad_u64_u32 v[4:5], s[0:1], v31, s64, 0
	v_mad_u64_u32 v[6:7], s[0:1], v41, s65, 0
	v_xor_b32_e32 v5, v5, v13
	v_xor_b32_e32 v7, v7, v12
	v_xor_b32_e32 v5, v42, v5
	v_xor_b32_e32 v7, v32, v7
	v_mad_u64_u32 v[10:11], s[0:1], v5, s65, 0
	v_mad_u64_u32 v[8:9], s[0:1], v7, s64, 0
	v_xor_b32_e32 v5, v30, v11
	v_xor_b32_e32 v5, v5, v6
	v_xor_b32_e32 v6, v33, v9
	v_xor_b32_e32 v6, v6, v4
	v_mad_u64_u32 v[4:5], s[0:1], v5, s64, 0
	v_mad_u64_u32 v[6:7], s[0:1], v6, s65, 0
	v_xor_b32_e32 v5, v29, v5
	v_xor_b32_e32 v7, v34, v7
	v_xor_b32_e32 v5, v5, v8
	v_xor_b32_e32 v7, v7, v10
	v_mad_u64_u32 v[10:11], s[0:1], v5, s65, 0
	v_mad_u64_u32 v[8:9], s[0:1], v7, s64, 0
	v_xor_b32_e32 v5, v28, v11
	v_xor_b32_e32 v5, v5, v6
	v_xor_b32_e32 v6, v35, v9
	v_xor_b32_e32 v6, v6, v4
	v_mad_u64_u32 v[4:5], s[0:1], v5, s64, 0
	v_mad_u64_u32 v[6:7], s[0:1], v6, s65, 0
	v_xor_b32_e32 v5, v27, v5
	v_xor_b32_e32 v7, v36, v7
	v_xor_b32_e32 v5, v5, v8
	v_xor_b32_e32 v7, v7, v10
	v_mad_u64_u32 v[10:11], s[0:1], v5, s65, 0
	v_mad_u64_u32 v[8:9], s[0:1], v7, s64, 0
	v_xor_b32_e32 v5, v26, v11
	v_xor_b32_e32 v5, v5, v6
	v_xor_b32_e32 v6, v37, v9
	v_xor_b32_e32 v6, v6, v4
	v_mad_u64_u32 v[4:5], s[0:1], v5, s64, 0
	v_mad_u64_u32 v[6:7], s[0:1], v6, s65, 0
	v_xor_b32_e32 v5, v25, v5
	v_xor_b32_e32 v7, v38, v7
	v_xor_b32_e32 v5, v5, v8
	v_xor_b32_e32 v7, v7, v10
	v_mad_u64_u32 v[10:11], s[0:1], v5, s65, 0
	v_mad_u64_u32 v[8:9], s[0:1], v7, s64, 0
	v_xor_b32_e32 v5, v24, v11
	v_xor_b32_e32 v5, v5, v6
	v_xor_b32_e32 v6, v39, v9
	v_xor_b32_e32 v4, v6, v4
	v_mad_u64_u32 v[6:7], s[0:1], v5, s64, 0
	v_mad_u64_u32 v[4:5], s[0:1], v4, s65, 0
	v_xor_b32_e32 v5, v40, v5
	v_xor_b32_e32 v5, v5, v10
	v_xor_b32_e32 v7, v23, v7
	v_xor_b32_e32 v7, v7, v8
	v_mad_u64_u32 v[18:19], s[0:1], v5, s64, 0
	v_mad_u64_u32 v[10:11], s[0:1], v7, s65, 0
	v_xor_b32_e32 v5, v19, v6
	v_xor_b32_e32 v4, v11, v4
	v_xor_b32_e32 v11, v22, v5
	v_xor_b32_e32 v4, v21, v4
	v_mov_b32_e32 v5, v10
	v_mov_b32_e32 v6, v11
	v_cmp_lt_i32_e32 vcc, 1, v20
	s_and_saveexec_b64 s[0:1], vcc
	s_xor_b64 s[0:1], exec, s[0:1]
	s_cbranch_execz .LBB33_15
; %bb.10:                               ;   in Loop: Header=BB33_9 Depth=1
	v_cmp_lt_i32_e32 vcc, 2, v20
	s_and_saveexec_b64 s[2:3], vcc
	s_xor_b64 s[2:3], exec, s[2:3]
; %bb.11:                               ;   in Loop: Header=BB33_9 Depth=1
	v_mov_b32_e32 v8, v3
	v_mov_b32_e32 v9, v4
	v_pk_mov_b32 v[0:1], v[8:9], v[8:9] op_sel:[0,1]
	v_pk_mov_b32 v[2:3], v[10:11], v[10:11] op_sel:[0,1]
                                        ; implicit-def: $vgpr10_vgpr11
; %bb.12:                               ;   in Loop: Header=BB33_9 Depth=1
	s_andn2_saveexec_b64 s[2:3], s[2:3]
; %bb.13:                               ;   in Loop: Header=BB33_9 Depth=1
	v_mov_b32_e32 v0, v2
	v_mov_b32_e32 v1, v3
	;; [unrolled: 1-line block ×4, first 2 shown]
; %bb.14:                               ;   in Loop: Header=BB33_9 Depth=1
	s_or_b64 exec, exec, s[2:3]
.LBB33_15:                              ;   in Loop: Header=BB33_9 Depth=1
	s_andn2_saveexec_b64 s[0:1], s[0:1]
	s_cbranch_execz .LBB33_19
; %bb.16:                               ;   in Loop: Header=BB33_9 Depth=1
	v_cmp_eq_u32_e32 vcc, 1, v20
	s_and_saveexec_b64 s[2:3], vcc
; %bb.17:                               ;   in Loop: Header=BB33_9 Depth=1
	v_mov_b32_e32 v0, v1
	v_mov_b32_e32 v1, v2
	;; [unrolled: 1-line block ×4, first 2 shown]
; %bb.18:                               ;   in Loop: Header=BB33_9 Depth=1
	s_or_b64 exec, exec, s[2:3]
.LBB33_19:                              ;   in Loop: Header=BB33_9 Depth=1
	s_or_b64 exec, exec, s[0:1]
	v_cndmask_b32_e64 v7, 0, 1, s[40:41]
	v_cmp_gt_i64_e32 vcc, s[24:25], v[16:17]
	v_cmp_ne_u32_e64 s[0:1], 1, v7
	s_and_saveexec_b64 s[58:59], vcc
	s_cbranch_execz .LBB33_39
; %bb.20:                               ;   in Loop: Header=BB33_9 Depth=1
	s_and_b64 vcc, exec, s[0:1]
	s_cbranch_vccnz .LBB33_26
; %bb.21:                               ;   in Loop: Header=BB33_9 Depth=1
	s_andn2_b64 vcc, exec, s[42:43]
	s_cbranch_vccnz .LBB33_27
; %bb.22:                               ;   in Loop: Header=BB33_9 Depth=1
	s_mov_b32 s4, 0
	s_andn2_b64 vcc, exec, s[52:53]
	v_mov_b32_e32 v8, 0
	s_cbranch_vccnz .LBB33_28
; %bb.23:                               ;   in Loop: Header=BB33_9 Depth=1
	s_mov_b32 s66, 0
	v_mov_b32_e32 v8, 0
	s_mov_b64 s[2:3], s[34:35]
	s_mov_b64 s[60:61], s[44:45]
	v_mov_b32_e32 v7, v16
.LBB33_24:                              ;   Parent Loop BB33_9 Depth=1
                                        ; =>  This Inner Loop Header: Depth=2
	s_load_dwordx8 s[16:23], s[2:3], 0x4
	s_load_dwordx4 s[4:7], s[2:3], 0x24
	s_load_dwordx4 s[36:39], s[60:61], 0x0
	s_add_u32 s2, s2, 48
	s_addc_u32 s3, s3, 0
	s_waitcnt lgkmcnt(0)
	v_mul_hi_u32 v9, s17, v7
	v_add_u32_e32 v9, v7, v9
	v_lshrrev_b32_e32 v9, s18, v9
	v_mul_lo_u32 v10, v9, s16
	v_mul_hi_u32 v11, s20, v9
	v_sub_u32_e32 v7, v7, v10
	v_add_u32_e32 v10, v9, v11
	v_lshrrev_b32_e32 v10, s21, v10
	v_mul_lo_u32 v11, v10, s19
	v_mul_hi_u32 v15, s23, v10
	v_sub_u32_e32 v9, v9, v11
	v_add_u32_e32 v11, v10, v15
	v_mul_lo_u32 v7, v7, s36
	v_mul_lo_u32 v9, v9, s37
	v_lshrrev_b32_e32 v11, s4, v11
	v_add3_u32 v8, v7, v8, v9
	v_mul_lo_u32 v7, v11, s22
	v_mul_hi_u32 v9, s6, v11
	v_sub_u32_e32 v7, v10, v7
	v_add_u32_e32 v9, v11, v9
	v_mul_lo_u32 v10, v7, s38
	v_lshrrev_b32_e32 v7, s7, v9
	s_add_i32 s66, s66, 4
	v_mul_lo_u32 v9, v7, s5
	s_add_u32 s60, s60, 16
	v_sub_u32_e32 v9, v11, v9
	s_addc_u32 s61, s61, 0
	v_mul_lo_u32 v9, v9, s39
	s_cmp_lg_u32 s15, s66
	v_add3_u32 v8, v10, v8, v9
	s_cbranch_scc1 .LBB33_24
; %bb.25:                               ;   in Loop: Header=BB33_9 Depth=1
	s_mov_b32 s4, s15
	s_andn2_b64 vcc, exec, s[56:57]
	s_cbranch_vccz .LBB33_29
	s_branch .LBB33_31
.LBB33_26:                              ;   in Loop: Header=BB33_9 Depth=1
                                        ; implicit-def: $vgpr8
	s_branch .LBB33_32
.LBB33_27:                              ;   in Loop: Header=BB33_9 Depth=1
	v_mov_b32_e32 v8, 0
	s_branch .LBB33_31
.LBB33_28:                              ;   in Loop: Header=BB33_9 Depth=1
	v_mov_b32_e32 v7, v16
	s_andn2_b64 vcc, exec, s[56:57]
	s_cbranch_vccnz .LBB33_31
.LBB33_29:                              ;   in Loop: Header=BB33_9 Depth=1
	s_lshl_b32 s2, s4, 2
	s_add_u32 s2, s44, s2
	s_addc_u32 s3, s45, 0
	s_mul_i32 s4, s4, 12
	s_add_u32 s4, s34, s4
	s_addc_u32 s5, s35, 0
	s_mov_b32 s6, s13
.LBB33_30:                              ;   Parent Loop BB33_9 Depth=1
                                        ; =>  This Inner Loop Header: Depth=2
	s_load_dwordx2 s[16:17], s[4:5], 0x4
	s_load_dword s7, s[4:5], 0xc
	s_load_dword s18, s[2:3], 0x0
	s_add_u32 s4, s4, 12
	s_addc_u32 s5, s5, 0
	s_waitcnt lgkmcnt(0)
	v_mul_hi_u32 v9, s17, v7
	v_add_u32_e32 v9, v7, v9
	v_lshrrev_b32_e32 v9, s7, v9
	s_add_u32 s2, s2, 4
	v_mul_lo_u32 v10, v9, s16
	s_addc_u32 s3, s3, 0
	s_add_i32 s6, s6, -1
	v_sub_u32_e32 v10, v7, v10
	s_cmp_lg_u32 s6, 0
	v_mov_b32_e32 v7, v9
	v_mad_u64_u32 v[8:9], s[16:17], v10, s18, v[8:9]
	s_cbranch_scc1 .LBB33_30
.LBB33_31:                              ;   in Loop: Header=BB33_9 Depth=1
	s_cbranch_execnz .LBB33_34
.LBB33_32:                              ;   in Loop: Header=BB33_9 Depth=1
	v_mul_hi_u32 v7, v16, s10
	v_add_u32_e32 v7, v7, v16
	v_lshrrev_b32_e32 v7, s11, v7
	v_mul_lo_u32 v8, v7, s9
	v_sub_u32_e32 v8, v16, v8
	s_andn2_b64 vcc, exec, s[46:47]
	s_waitcnt lgkmcnt(0)
	v_mul_lo_u32 v8, v8, s50
	s_cbranch_vccnz .LBB33_34
; %bb.33:                               ;   in Loop: Header=BB33_9 Depth=1
	v_mul_hi_u32 v9, s8, v7
	v_add_u32_e32 v9, v7, v9
	v_lshrrev_b32_e32 v9, s14, v9
	v_mul_lo_u32 v9, v9, s12
	v_sub_u32_e32 v7, v7, v9
	v_mad_u64_u32 v[8:9], s[2:3], v7, s51, v[8:9]
.LBB33_34:                              ;   in Loop: Header=BB33_9 Depth=1
	s_waitcnt lgkmcnt(0)
	v_or_b32_e32 v15, s31, v0
	v_cmp_ne_u64_e32 vcc, 0, v[14:15]
                                        ; implicit-def: $vgpr10_vgpr11
	s_and_saveexec_b64 s[2:3], vcc
	s_xor_b64 s[6:7], exec, s[2:3]
	s_cbranch_execz .LBB33_36
; %bb.35:                               ;   in Loop: Header=BB33_9 Depth=1
	v_cvt_f32_u32_e32 v7, s30
	v_cvt_f32_u32_e32 v9, s31
	s_sub_u32 s2, 0, s30
	s_subb_u32 s3, 0, s31
	v_mac_f32_e32 v7, 0x4f800000, v9
	v_rcp_f32_e32 v7, v7
	v_mul_f32_e32 v7, 0x5f7ffffc, v7
	v_mul_f32_e32 v9, 0x2f800000, v7
	v_trunc_f32_e32 v9, v9
	v_mac_f32_e32 v7, 0xcf800000, v9
	v_cvt_u32_f32_e32 v9, v9
	v_cvt_u32_f32_e32 v7, v7
	v_mul_lo_u32 v10, s2, v9
	v_mul_hi_u32 v15, s2, v7
	v_mul_lo_u32 v11, s3, v7
	v_add_u32_e32 v10, v15, v10
	v_mul_lo_u32 v19, s2, v7
	v_add_u32_e32 v10, v10, v11
	v_mul_hi_u32 v15, v7, v19
	v_mul_lo_u32 v43, v7, v10
	v_mul_hi_u32 v11, v7, v10
	v_add_co_u32_e32 v15, vcc, v15, v43
	v_addc_co_u32_e32 v11, vcc, 0, v11, vcc
	v_mul_hi_u32 v44, v9, v19
	v_mul_lo_u32 v19, v9, v19
	v_add_co_u32_e32 v15, vcc, v15, v19
	v_mul_hi_u32 v43, v9, v10
	v_addc_co_u32_e32 v11, vcc, v11, v44, vcc
	v_addc_co_u32_e32 v15, vcc, 0, v43, vcc
	v_mul_lo_u32 v10, v9, v10
	v_add_co_u32_e32 v10, vcc, v11, v10
	v_addc_co_u32_e32 v11, vcc, 0, v15, vcc
	v_add_co_u32_e32 v7, vcc, v7, v10
	v_addc_co_u32_e32 v9, vcc, v9, v11, vcc
	v_mul_lo_u32 v10, s2, v9
	v_mul_hi_u32 v11, s2, v7
	v_add_u32_e32 v10, v11, v10
	v_mul_lo_u32 v11, s3, v7
	v_add_u32_e32 v10, v10, v11
	v_mul_lo_u32 v15, s2, v7
	v_mul_hi_u32 v19, v9, v15
	v_mul_lo_u32 v43, v9, v15
	v_mul_lo_u32 v45, v7, v10
	v_mul_hi_u32 v15, v7, v15
	v_mul_hi_u32 v44, v7, v10
	v_add_co_u32_e32 v15, vcc, v15, v45
	v_addc_co_u32_e32 v44, vcc, 0, v44, vcc
	v_add_co_u32_e32 v15, vcc, v15, v43
	v_mul_hi_u32 v11, v9, v10
	v_addc_co_u32_e32 v15, vcc, v44, v19, vcc
	v_addc_co_u32_e32 v11, vcc, 0, v11, vcc
	v_mul_lo_u32 v10, v9, v10
	v_add_co_u32_e32 v10, vcc, v15, v10
	v_addc_co_u32_e32 v11, vcc, 0, v11, vcc
	v_add_co_u32_e32 v7, vcc, v7, v10
	v_addc_co_u32_e32 v9, vcc, v9, v11, vcc
	v_mad_u64_u32 v[10:11], s[2:3], v1, v9, 0
	v_mul_hi_u32 v15, v1, v7
	v_add_co_u32_e32 v15, vcc, v15, v10
	v_addc_co_u32_e32 v19, vcc, 0, v11, vcc
	v_mad_u64_u32 v[44:45], s[2:3], v0, v7, 0
	v_add_co_u32_e32 v7, vcc, v15, v44
	v_mad_u64_u32 v[10:11], s[2:3], v0, v9, 0
	v_addc_co_u32_e32 v7, vcc, v19, v45, vcc
	v_addc_co_u32_e32 v9, vcc, 0, v11, vcc
	v_add_co_u32_e32 v7, vcc, v7, v10
	v_addc_co_u32_e32 v9, vcc, 0, v9, vcc
	v_mul_lo_u32 v15, s31, v7
	v_mul_lo_u32 v9, s30, v9
	v_mad_u64_u32 v[10:11], s[2:3], s30, v7, 0
	v_add3_u32 v7, v11, v9, v15
	v_sub_u32_e32 v9, v0, v7
	v_mov_b32_e32 v11, s31
	v_sub_co_u32_e32 v10, vcc, v1, v10
	v_subb_co_u32_e64 v9, s[2:3], v9, v11, vcc
	v_subrev_co_u32_e64 v15, s[2:3], s30, v10
	v_subbrev_co_u32_e64 v19, s[4:5], 0, v9, s[2:3]
	v_cmp_le_u32_e64 s[4:5], s31, v19
	v_cndmask_b32_e64 v43, 0, -1, s[4:5]
	v_cmp_le_u32_e64 s[4:5], s30, v15
	v_subb_co_u32_e32 v0, vcc, v0, v7, vcc
	v_cndmask_b32_e64 v44, 0, -1, s[4:5]
	v_cmp_eq_u32_e64 s[4:5], s31, v19
	v_subb_co_u32_e64 v9, s[2:3], v9, v11, s[2:3]
	v_cmp_le_u32_e32 vcc, s31, v0
	v_cndmask_b32_e64 v43, v43, v44, s[4:5]
	v_subrev_co_u32_e64 v44, s[2:3], s30, v15
	v_cndmask_b32_e64 v7, 0, -1, vcc
	v_cmp_le_u32_e32 vcc, s30, v10
	v_subbrev_co_u32_e64 v9, s[2:3], 0, v9, s[2:3]
	v_cndmask_b32_e64 v11, 0, -1, vcc
	v_cmp_eq_u32_e32 vcc, s31, v0
	v_cmp_ne_u32_e64 s[2:3], 0, v43
	v_cndmask_b32_e32 v7, v7, v11, vcc
	v_cndmask_b32_e64 v9, v19, v9, s[2:3]
	v_cmp_ne_u32_e32 vcc, 0, v7
	v_cndmask_b32_e32 v11, v0, v9, vcc
	v_cndmask_b32_e64 v0, v15, v44, s[2:3]
	v_cndmask_b32_e32 v10, v10, v0, vcc
.LBB33_36:                              ;   in Loop: Header=BB33_9 Depth=1
	s_andn2_saveexec_b64 s[2:3], s[6:7]
	s_cbranch_execz .LBB33_38
; %bb.37:                               ;   in Loop: Header=BB33_9 Depth=1
	v_cvt_f32_u32_e32 v0, s30
	s_sub_i32 s4, 0, s30
	v_mov_b32_e32 v11, v14
	v_rcp_iflag_f32_e32 v0, v0
	v_mul_f32_e32 v0, 0x4f7ffffe, v0
	v_cvt_u32_f32_e32 v0, v0
	v_mul_lo_u32 v7, s4, v0
	v_mul_hi_u32 v7, v0, v7
	v_add_u32_e32 v0, v0, v7
	v_mul_hi_u32 v0, v1, v0
	v_mul_lo_u32 v0, v0, s30
	v_sub_u32_e32 v0, v1, v0
	v_subrev_u32_e32 v1, s30, v0
	v_cmp_le_u32_e32 vcc, s30, v0
	v_cndmask_b32_e32 v0, v0, v1, vcc
	v_subrev_u32_e32 v1, s30, v0
	v_cmp_le_u32_e32 vcc, s30, v0
	v_cndmask_b32_e32 v10, v0, v1, vcc
.LBB33_38:                              ;   in Loop: Header=BB33_9 Depth=1
	s_or_b64 exec, exec, s[2:3]
	v_mov_b32_e32 v1, s49
	v_add_co_u32_e32 v0, vcc, s48, v10
	v_addc_co_u32_e32 v1, vcc, v11, v1, vcc
	v_xor_b32_e32 v7, v0, v1
	v_ashrrev_i32_e32 v7, 31, v7
	v_ffbh_i32_e32 v9, v1
	v_add_u32_e32 v7, 32, v7
	v_add_u32_e32 v9, -1, v9
	v_min_u32_e32 v7, v9, v7
	v_lshlrev_b64 v[0:1], v7, v[0:1]
	v_min_u32_e32 v0, 1, v0
	v_or_b32_e32 v0, v1, v0
	v_cvt_f32_i32_e32 v0, v0
	v_sub_u32_e32 v1, 32, v7
	v_ldexp_f32 v0, v0, v1
	v_cvt_f16_f32_e32 v0, v0
	global_store_short v8, v0, s[28:29]
.LBB33_39:                              ;   in Loop: Header=BB33_9 Depth=1
	s_or_b64 exec, exec, s[58:59]
	v_mov_b32_e32 v1, s63
	v_add_co_u32_e32 v0, vcc, s33, v16
	v_addc_co_u32_e32 v1, vcc, v17, v1, vcc
	v_cmp_gt_i64_e32 vcc, s[24:25], v[0:1]
	s_and_saveexec_b64 s[36:37], vcc
	s_cbranch_execz .LBB33_8
; %bb.40:                               ;   in Loop: Header=BB33_9 Depth=1
	s_and_b64 vcc, exec, s[0:1]
	s_cbranch_vccnz .LBB33_46
; %bb.41:                               ;   in Loop: Header=BB33_9 Depth=1
	s_andn2_b64 vcc, exec, s[42:43]
	s_cbranch_vccnz .LBB33_47
; %bb.42:                               ;   in Loop: Header=BB33_9 Depth=1
	s_mov_b32 s2, 0
	s_andn2_b64 vcc, exec, s[52:53]
	v_mov_b32_e32 v8, 0
	s_cbranch_vccnz .LBB33_48
; %bb.43:                               ;   in Loop: Header=BB33_9 Depth=1
	s_mov_b32 s60, 0
	v_mov_b32_e32 v8, 0
	s_mov_b64 s[38:39], s[34:35]
	s_mov_b64 s[58:59], s[44:45]
	v_mov_b32_e32 v1, v0
.LBB33_44:                              ;   Parent Loop BB33_9 Depth=1
                                        ; =>  This Inner Loop Header: Depth=2
	s_load_dwordx8 s[0:7], s[38:39], 0x4
	s_load_dwordx4 s[16:19], s[38:39], 0x24
	s_load_dwordx4 s[20:23], s[58:59], 0x0
	s_add_u32 s38, s38, 48
	s_addc_u32 s39, s39, 0
	s_waitcnt lgkmcnt(0)
	v_mul_hi_u32 v7, s1, v1
	v_add_u32_e32 v7, v1, v7
	v_lshrrev_b32_e32 v7, s2, v7
	v_mul_lo_u32 v9, v7, s0
	v_mul_hi_u32 v10, s4, v7
	v_sub_u32_e32 v1, v1, v9
	v_add_u32_e32 v9, v7, v10
	v_lshrrev_b32_e32 v9, s5, v9
	v_mul_lo_u32 v10, v9, s3
	v_mul_hi_u32 v11, s7, v9
	v_sub_u32_e32 v7, v7, v10
	v_add_u32_e32 v10, v9, v11
	v_mul_lo_u32 v1, v1, s20
	v_mul_lo_u32 v7, v7, s21
	v_lshrrev_b32_e32 v10, s16, v10
	v_add3_u32 v7, v1, v8, v7
	v_mul_lo_u32 v1, v10, s6
	v_mul_hi_u32 v8, s18, v10
	v_sub_u32_e32 v1, v9, v1
	v_add_u32_e32 v8, v10, v8
	v_mul_lo_u32 v9, v1, s22
	v_lshrrev_b32_e32 v1, s19, v8
	s_add_i32 s60, s60, 4
	v_mul_lo_u32 v8, v1, s17
	s_add_u32 s58, s58, 16
	v_sub_u32_e32 v8, v10, v8
	s_addc_u32 s59, s59, 0
	v_mul_lo_u32 v8, v8, s23
	s_cmp_eq_u32 s15, s60
	v_add3_u32 v8, v9, v7, v8
	s_cbranch_scc0 .LBB33_44
; %bb.45:                               ;   in Loop: Header=BB33_9 Depth=1
	s_mov_b32 s2, s15
	s_andn2_b64 vcc, exec, s[56:57]
	s_cbranch_vccz .LBB33_49
	s_branch .LBB33_51
.LBB33_46:                              ;   in Loop: Header=BB33_9 Depth=1
                                        ; implicit-def: $vgpr8
	s_branch .LBB33_52
.LBB33_47:                              ;   in Loop: Header=BB33_9 Depth=1
	v_mov_b32_e32 v8, 0
	s_branch .LBB33_51
.LBB33_48:                              ;   in Loop: Header=BB33_9 Depth=1
	v_mov_b32_e32 v1, v0
	s_andn2_b64 vcc, exec, s[56:57]
	s_cbranch_vccnz .LBB33_51
.LBB33_49:                              ;   in Loop: Header=BB33_9 Depth=1
	s_lshl_b32 s0, s2, 2
	s_add_u32 s0, s44, s0
	s_addc_u32 s1, s45, 0
	s_mul_i32 s2, s2, 12
	s_add_u32 s2, s34, s2
	s_addc_u32 s3, s35, 0
	s_mov_b32 s4, s13
.LBB33_50:                              ;   Parent Loop BB33_9 Depth=1
                                        ; =>  This Inner Loop Header: Depth=2
	s_load_dwordx2 s[6:7], s[2:3], 0x4
	s_load_dword s5, s[2:3], 0xc
	s_load_dword s16, s[0:1], 0x0
	s_add_u32 s2, s2, 12
	s_addc_u32 s3, s3, 0
	s_waitcnt lgkmcnt(0)
	v_mul_hi_u32 v7, s7, v1
	v_add_u32_e32 v7, v1, v7
	v_lshrrev_b32_e32 v7, s5, v7
	s_add_u32 s0, s0, 4
	v_mul_lo_u32 v9, v7, s6
	s_addc_u32 s1, s1, 0
	s_add_i32 s4, s4, -1
	v_sub_u32_e32 v9, v1, v9
	s_cmp_lg_u32 s4, 0
	v_mov_b32_e32 v1, v7
	v_mad_u64_u32 v[8:9], s[6:7], v9, s16, v[8:9]
	s_cbranch_scc1 .LBB33_50
.LBB33_51:                              ;   in Loop: Header=BB33_9 Depth=1
	s_cbranch_execnz .LBB33_54
.LBB33_52:                              ;   in Loop: Header=BB33_9 Depth=1
	v_mul_hi_u32 v1, v0, s10
	v_add_u32_e32 v1, v1, v0
	v_lshrrev_b32_e32 v1, s11, v1
	v_mul_lo_u32 v7, v1, s9
	v_sub_u32_e32 v0, v0, v7
	s_andn2_b64 vcc, exec, s[46:47]
	s_waitcnt lgkmcnt(0)
	v_mul_lo_u32 v8, v0, s50
	s_cbranch_vccnz .LBB33_54
; %bb.53:                               ;   in Loop: Header=BB33_9 Depth=1
	v_mul_hi_u32 v0, s8, v1
	v_add_u32_e32 v0, v1, v0
	v_lshrrev_b32_e32 v0, s14, v0
	v_mul_lo_u32 v0, v0, s12
	v_sub_u32_e32 v0, v1, v0
	v_mad_u64_u32 v[8:9], s[0:1], v0, s51, v[8:9]
.LBB33_54:                              ;   in Loop: Header=BB33_9 Depth=1
	s_waitcnt lgkmcnt(0)
	v_or_b32_e32 v15, s31, v2
	v_cmp_ne_u64_e32 vcc, 0, v[14:15]
                                        ; implicit-def: $vgpr10_vgpr11
	s_and_saveexec_b64 s[0:1], vcc
	s_xor_b64 s[4:5], exec, s[0:1]
	s_cbranch_execz .LBB33_56
; %bb.55:                               ;   in Loop: Header=BB33_9 Depth=1
	v_cvt_f32_u32_e32 v0, s30
	v_cvt_f32_u32_e32 v1, s31
	s_sub_u32 s0, 0, s30
	s_subb_u32 s1, 0, s31
	v_mac_f32_e32 v0, 0x4f800000, v1
	v_rcp_f32_e32 v0, v0
	v_mul_f32_e32 v0, 0x5f7ffffc, v0
	v_mul_f32_e32 v1, 0x2f800000, v0
	v_trunc_f32_e32 v1, v1
	v_mac_f32_e32 v0, 0xcf800000, v1
	v_cvt_u32_f32_e32 v1, v1
	v_cvt_u32_f32_e32 v0, v0
	v_mul_lo_u32 v7, s0, v1
	v_mul_hi_u32 v10, s0, v0
	v_mul_lo_u32 v9, s1, v0
	v_add_u32_e32 v7, v10, v7
	v_mul_lo_u32 v11, s0, v0
	v_add_u32_e32 v7, v7, v9
	v_mul_hi_u32 v10, v0, v11
	v_mul_lo_u32 v15, v0, v7
	v_mul_hi_u32 v9, v0, v7
	v_add_co_u32_e32 v10, vcc, v10, v15
	v_addc_co_u32_e32 v9, vcc, 0, v9, vcc
	v_mul_hi_u32 v19, v1, v11
	v_mul_lo_u32 v11, v1, v11
	v_add_co_u32_e32 v10, vcc, v10, v11
	v_mul_hi_u32 v15, v1, v7
	v_addc_co_u32_e32 v9, vcc, v9, v19, vcc
	v_addc_co_u32_e32 v10, vcc, 0, v15, vcc
	v_mul_lo_u32 v7, v1, v7
	v_add_co_u32_e32 v7, vcc, v9, v7
	v_addc_co_u32_e32 v9, vcc, 0, v10, vcc
	v_add_co_u32_e32 v0, vcc, v0, v7
	v_addc_co_u32_e32 v1, vcc, v1, v9, vcc
	v_mul_lo_u32 v7, s0, v1
	v_mul_hi_u32 v9, s0, v0
	v_add_u32_e32 v7, v9, v7
	v_mul_lo_u32 v9, s1, v0
	v_add_u32_e32 v7, v7, v9
	v_mul_lo_u32 v10, s0, v0
	v_mul_hi_u32 v11, v1, v10
	v_mul_lo_u32 v15, v1, v10
	v_mul_lo_u32 v43, v0, v7
	v_mul_hi_u32 v10, v0, v10
	v_mul_hi_u32 v19, v0, v7
	v_add_co_u32_e32 v10, vcc, v10, v43
	v_addc_co_u32_e32 v19, vcc, 0, v19, vcc
	v_add_co_u32_e32 v10, vcc, v10, v15
	v_mul_hi_u32 v9, v1, v7
	v_addc_co_u32_e32 v10, vcc, v19, v11, vcc
	v_addc_co_u32_e32 v9, vcc, 0, v9, vcc
	v_mul_lo_u32 v7, v1, v7
	v_add_co_u32_e32 v7, vcc, v10, v7
	v_addc_co_u32_e32 v9, vcc, 0, v9, vcc
	v_add_co_u32_e32 v7, vcc, v0, v7
	v_addc_co_u32_e32 v9, vcc, v1, v9, vcc
	v_mad_u64_u32 v[0:1], s[0:1], v3, v9, 0
	v_mul_hi_u32 v10, v3, v7
	v_add_co_u32_e32 v15, vcc, v10, v0
	v_addc_co_u32_e32 v19, vcc, 0, v1, vcc
	v_mad_u64_u32 v[10:11], s[0:1], v2, v7, 0
	v_add_co_u32_e32 v7, vcc, v15, v10
	v_mad_u64_u32 v[0:1], s[0:1], v2, v9, 0
	v_addc_co_u32_e32 v7, vcc, v19, v11, vcc
	v_addc_co_u32_e32 v1, vcc, 0, v1, vcc
	v_add_co_u32_e32 v0, vcc, v7, v0
	v_addc_co_u32_e32 v1, vcc, 0, v1, vcc
	v_mul_lo_u32 v7, s31, v0
	v_mul_lo_u32 v9, s30, v1
	v_mad_u64_u32 v[0:1], s[0:1], s30, v0, 0
	v_add3_u32 v1, v1, v9, v7
	v_sub_u32_e32 v7, v2, v1
	v_mov_b32_e32 v9, s31
	v_sub_co_u32_e32 v0, vcc, v3, v0
	v_subb_co_u32_e64 v3, s[0:1], v7, v9, vcc
	v_subrev_co_u32_e64 v7, s[0:1], s30, v0
	v_subbrev_co_u32_e64 v10, s[2:3], 0, v3, s[0:1]
	v_cmp_le_u32_e64 s[2:3], s31, v10
	v_cndmask_b32_e64 v11, 0, -1, s[2:3]
	v_cmp_le_u32_e64 s[2:3], s30, v7
	v_subb_co_u32_e64 v3, s[0:1], v3, v9, s[0:1]
	v_cndmask_b32_e64 v15, 0, -1, s[2:3]
	v_cmp_eq_u32_e64 s[2:3], s31, v10
	v_subrev_co_u32_e64 v9, s[0:1], s30, v7
	v_subb_co_u32_e32 v1, vcc, v2, v1, vcc
	v_cndmask_b32_e64 v11, v11, v15, s[2:3]
	v_subbrev_co_u32_e64 v3, s[0:1], 0, v3, s[0:1]
	v_cmp_le_u32_e32 vcc, s31, v1
	v_cmp_ne_u32_e64 s[0:1], 0, v11
	v_cndmask_b32_e64 v2, 0, -1, vcc
	v_cmp_le_u32_e32 vcc, s30, v0
	v_cndmask_b32_e64 v3, v10, v3, s[0:1]
	v_cndmask_b32_e64 v10, 0, -1, vcc
	v_cmp_eq_u32_e32 vcc, s31, v1
	v_cndmask_b32_e32 v2, v2, v10, vcc
	v_cmp_ne_u32_e32 vcc, 0, v2
	v_cndmask_b32_e32 v11, v1, v3, vcc
	v_cndmask_b32_e64 v1, v7, v9, s[0:1]
	v_cndmask_b32_e32 v10, v0, v1, vcc
                                        ; implicit-def: $vgpr0_vgpr1_vgpr2_vgpr3
.LBB33_56:                              ;   in Loop: Header=BB33_9 Depth=1
	s_andn2_saveexec_b64 s[0:1], s[4:5]
	s_cbranch_execz .LBB33_7
; %bb.57:                               ;   in Loop: Header=BB33_9 Depth=1
	v_cvt_f32_u32_e32 v0, s30
	s_sub_i32 s2, 0, s30
	v_mov_b32_e32 v11, v14
	v_rcp_iflag_f32_e32 v0, v0
	v_mul_f32_e32 v0, 0x4f7ffffe, v0
	v_cvt_u32_f32_e32 v0, v0
	v_mul_lo_u32 v1, s2, v0
	v_mul_hi_u32 v1, v0, v1
	v_add_u32_e32 v0, v0, v1
	v_mul_hi_u32 v0, v3, v0
	v_mul_lo_u32 v0, v0, s30
	v_sub_u32_e32 v0, v3, v0
	v_subrev_u32_e32 v1, s30, v0
	v_cmp_le_u32_e32 vcc, s30, v0
	v_cndmask_b32_e32 v0, v0, v1, vcc
	v_subrev_u32_e32 v1, s30, v0
	v_cmp_le_u32_e32 vcc, s30, v0
	v_cndmask_b32_e32 v10, v0, v1, vcc
	s_branch .LBB33_7
.LBB33_58:
	s_endpgm
.LBB33_59:
                                        ; implicit-def: $sgpr2_sgpr3
	s_andn2_b64 vcc, exec, s[0:1]
	s_cbranch_vccz .LBB33_4
	s_branch .LBB33_5
	.section	.rodata,"a",@progbits
	.p2align	6, 0x0
	.amdhsa_kernel _ZN2at6native12_GLOBAL__N_143distribution_elementwise_grid_stride_kernelImLi2EZZZNS0_9templates4cuda21random_from_to_kernelIPNS_17CUDAGeneratorImplEEEvRNS_18TensorIteratorBaseEmlT_ENKUlvE_clEvENKUlvE7_clEvEUlP25hiprandStatePhilox4_32_10E_ZNS1_27distribution_nullary_kernelIN3c104HalfEm15HIP_vector_typeIyLj2EES7_SF_ZZZNS5_IS7_EEvS9_mlSA_ENKSB_clEvENKSC_clEvEUlmE_EEvS9_T2_RKT3_T4_EUlimE0_EEvlNS_15PhiloxCudaStateET1_SM_
		.amdhsa_group_segment_fixed_size 0
		.amdhsa_private_segment_fixed_size 0
		.amdhsa_kernarg_size 592
		.amdhsa_user_sgpr_count 6
		.amdhsa_user_sgpr_private_segment_buffer 1
		.amdhsa_user_sgpr_dispatch_ptr 0
		.amdhsa_user_sgpr_queue_ptr 0
		.amdhsa_user_sgpr_kernarg_segment_ptr 1
		.amdhsa_user_sgpr_dispatch_id 0
		.amdhsa_user_sgpr_flat_scratch_init 0
		.amdhsa_user_sgpr_kernarg_preload_length 0
		.amdhsa_user_sgpr_kernarg_preload_offset 0
		.amdhsa_user_sgpr_private_segment_size 0
		.amdhsa_uses_dynamic_stack 0
		.amdhsa_system_sgpr_private_segment_wavefront_offset 0
		.amdhsa_system_sgpr_workgroup_id_x 1
		.amdhsa_system_sgpr_workgroup_id_y 0
		.amdhsa_system_sgpr_workgroup_id_z 0
		.amdhsa_system_sgpr_workgroup_info 0
		.amdhsa_system_vgpr_workitem_id 0
		.amdhsa_next_free_vgpr 46
		.amdhsa_next_free_sgpr 67
		.amdhsa_accum_offset 48
		.amdhsa_reserve_vcc 1
		.amdhsa_reserve_flat_scratch 0
		.amdhsa_float_round_mode_32 0
		.amdhsa_float_round_mode_16_64 0
		.amdhsa_float_denorm_mode_32 3
		.amdhsa_float_denorm_mode_16_64 3
		.amdhsa_dx10_clamp 1
		.amdhsa_ieee_mode 1
		.amdhsa_fp16_overflow 0
		.amdhsa_tg_split 0
		.amdhsa_exception_fp_ieee_invalid_op 0
		.amdhsa_exception_fp_denorm_src 0
		.amdhsa_exception_fp_ieee_div_zero 0
		.amdhsa_exception_fp_ieee_overflow 0
		.amdhsa_exception_fp_ieee_underflow 0
		.amdhsa_exception_fp_ieee_inexact 0
		.amdhsa_exception_int_div_zero 0
	.end_amdhsa_kernel
	.section	.text._ZN2at6native12_GLOBAL__N_143distribution_elementwise_grid_stride_kernelImLi2EZZZNS0_9templates4cuda21random_from_to_kernelIPNS_17CUDAGeneratorImplEEEvRNS_18TensorIteratorBaseEmlT_ENKUlvE_clEvENKUlvE7_clEvEUlP25hiprandStatePhilox4_32_10E_ZNS1_27distribution_nullary_kernelIN3c104HalfEm15HIP_vector_typeIyLj2EES7_SF_ZZZNS5_IS7_EEvS9_mlSA_ENKSB_clEvENKSC_clEvEUlmE_EEvS9_T2_RKT3_T4_EUlimE0_EEvlNS_15PhiloxCudaStateET1_SM_,"axG",@progbits,_ZN2at6native12_GLOBAL__N_143distribution_elementwise_grid_stride_kernelImLi2EZZZNS0_9templates4cuda21random_from_to_kernelIPNS_17CUDAGeneratorImplEEEvRNS_18TensorIteratorBaseEmlT_ENKUlvE_clEvENKUlvE7_clEvEUlP25hiprandStatePhilox4_32_10E_ZNS1_27distribution_nullary_kernelIN3c104HalfEm15HIP_vector_typeIyLj2EES7_SF_ZZZNS5_IS7_EEvS9_mlSA_ENKSB_clEvENKSC_clEvEUlmE_EEvS9_T2_RKT3_T4_EUlimE0_EEvlNS_15PhiloxCudaStateET1_SM_,comdat
.Lfunc_end33:
	.size	_ZN2at6native12_GLOBAL__N_143distribution_elementwise_grid_stride_kernelImLi2EZZZNS0_9templates4cuda21random_from_to_kernelIPNS_17CUDAGeneratorImplEEEvRNS_18TensorIteratorBaseEmlT_ENKUlvE_clEvENKUlvE7_clEvEUlP25hiprandStatePhilox4_32_10E_ZNS1_27distribution_nullary_kernelIN3c104HalfEm15HIP_vector_typeIyLj2EES7_SF_ZZZNS5_IS7_EEvS9_mlSA_ENKSB_clEvENKSC_clEvEUlmE_EEvS9_T2_RKT3_T4_EUlimE0_EEvlNS_15PhiloxCudaStateET1_SM_, .Lfunc_end33-_ZN2at6native12_GLOBAL__N_143distribution_elementwise_grid_stride_kernelImLi2EZZZNS0_9templates4cuda21random_from_to_kernelIPNS_17CUDAGeneratorImplEEEvRNS_18TensorIteratorBaseEmlT_ENKUlvE_clEvENKUlvE7_clEvEUlP25hiprandStatePhilox4_32_10E_ZNS1_27distribution_nullary_kernelIN3c104HalfEm15HIP_vector_typeIyLj2EES7_SF_ZZZNS5_IS7_EEvS9_mlSA_ENKSB_clEvENKSC_clEvEUlmE_EEvS9_T2_RKT3_T4_EUlimE0_EEvlNS_15PhiloxCudaStateET1_SM_
                                        ; -- End function
	.section	.AMDGPU.csdata,"",@progbits
; Kernel info:
; codeLenInByte = 4800
; NumSgprs: 71
; NumVgprs: 46
; NumAgprs: 0
; TotalNumVgprs: 46
; ScratchSize: 0
; MemoryBound: 0
; FloatMode: 240
; IeeeMode: 1
; LDSByteSize: 0 bytes/workgroup (compile time only)
; SGPRBlocks: 8
; VGPRBlocks: 5
; NumSGPRsForWavesPerEU: 71
; NumVGPRsForWavesPerEU: 46
; AccumOffset: 48
; Occupancy: 8
; WaveLimiterHint : 1
; COMPUTE_PGM_RSRC2:SCRATCH_EN: 0
; COMPUTE_PGM_RSRC2:USER_SGPR: 6
; COMPUTE_PGM_RSRC2:TRAP_HANDLER: 0
; COMPUTE_PGM_RSRC2:TGID_X_EN: 1
; COMPUTE_PGM_RSRC2:TGID_Y_EN: 0
; COMPUTE_PGM_RSRC2:TGID_Z_EN: 0
; COMPUTE_PGM_RSRC2:TIDIG_COMP_CNT: 0
; COMPUTE_PGM_RSRC3_GFX90A:ACCUM_OFFSET: 11
; COMPUTE_PGM_RSRC3_GFX90A:TG_SPLIT: 0
	.section	.text._ZN2at6native12_GLOBAL__N_143distribution_elementwise_grid_stride_kernelIjLi4EZZZNS0_9templates4cuda21random_from_to_kernelIPNS_17CUDAGeneratorImplEEEvRNS_18TensorIteratorBaseEmlT_ENKUlvE_clEvENKUlvE7_clEvEUlP25hiprandStatePhilox4_32_10E0_ZNS1_27distribution_nullary_kernelIN3c104HalfEj15HIP_vector_typeIjLj4EES7_SF_ZZZNS5_IS7_EEvS9_mlSA_ENKSB_clEvENKSC_clEvEUljE_EEvS9_T2_RKT3_T4_EUlijE_EEvlNS_15PhiloxCudaStateET1_SM_,"axG",@progbits,_ZN2at6native12_GLOBAL__N_143distribution_elementwise_grid_stride_kernelIjLi4EZZZNS0_9templates4cuda21random_from_to_kernelIPNS_17CUDAGeneratorImplEEEvRNS_18TensorIteratorBaseEmlT_ENKUlvE_clEvENKUlvE7_clEvEUlP25hiprandStatePhilox4_32_10E0_ZNS1_27distribution_nullary_kernelIN3c104HalfEj15HIP_vector_typeIjLj4EES7_SF_ZZZNS5_IS7_EEvS9_mlSA_ENKSB_clEvENKSC_clEvEUljE_EEvS9_T2_RKT3_T4_EUlijE_EEvlNS_15PhiloxCudaStateET1_SM_,comdat
	.globl	_ZN2at6native12_GLOBAL__N_143distribution_elementwise_grid_stride_kernelIjLi4EZZZNS0_9templates4cuda21random_from_to_kernelIPNS_17CUDAGeneratorImplEEEvRNS_18TensorIteratorBaseEmlT_ENKUlvE_clEvENKUlvE7_clEvEUlP25hiprandStatePhilox4_32_10E0_ZNS1_27distribution_nullary_kernelIN3c104HalfEj15HIP_vector_typeIjLj4EES7_SF_ZZZNS5_IS7_EEvS9_mlSA_ENKSB_clEvENKSC_clEvEUljE_EEvS9_T2_RKT3_T4_EUlijE_EEvlNS_15PhiloxCudaStateET1_SM_ ; -- Begin function _ZN2at6native12_GLOBAL__N_143distribution_elementwise_grid_stride_kernelIjLi4EZZZNS0_9templates4cuda21random_from_to_kernelIPNS_17CUDAGeneratorImplEEEvRNS_18TensorIteratorBaseEmlT_ENKUlvE_clEvENKUlvE7_clEvEUlP25hiprandStatePhilox4_32_10E0_ZNS1_27distribution_nullary_kernelIN3c104HalfEj15HIP_vector_typeIjLj4EES7_SF_ZZZNS5_IS7_EEvS9_mlSA_ENKSB_clEvENKSC_clEvEUljE_EEvS9_T2_RKT3_T4_EUlijE_EEvlNS_15PhiloxCudaStateET1_SM_
	.p2align	8
	.type	_ZN2at6native12_GLOBAL__N_143distribution_elementwise_grid_stride_kernelIjLi4EZZZNS0_9templates4cuda21random_from_to_kernelIPNS_17CUDAGeneratorImplEEEvRNS_18TensorIteratorBaseEmlT_ENKUlvE_clEvENKUlvE7_clEvEUlP25hiprandStatePhilox4_32_10E0_ZNS1_27distribution_nullary_kernelIN3c104HalfEj15HIP_vector_typeIjLj4EES7_SF_ZZZNS5_IS7_EEvS9_mlSA_ENKSB_clEvENKSC_clEvEUljE_EEvS9_T2_RKT3_T4_EUlijE_EEvlNS_15PhiloxCudaStateET1_SM_,@function
_ZN2at6native12_GLOBAL__N_143distribution_elementwise_grid_stride_kernelIjLi4EZZZNS0_9templates4cuda21random_from_to_kernelIPNS_17CUDAGeneratorImplEEEvRNS_18TensorIteratorBaseEmlT_ENKUlvE_clEvENKUlvE7_clEvEUlP25hiprandStatePhilox4_32_10E0_ZNS1_27distribution_nullary_kernelIN3c104HalfEj15HIP_vector_typeIjLj4EES7_SF_ZZZNS5_IS7_EEvS9_mlSA_ENKSB_clEvENKSC_clEvEUljE_EEvS9_T2_RKT3_T4_EUlijE_EEvlNS_15PhiloxCudaStateET1_SM_: ; @_ZN2at6native12_GLOBAL__N_143distribution_elementwise_grid_stride_kernelIjLi4EZZZNS0_9templates4cuda21random_from_to_kernelIPNS_17CUDAGeneratorImplEEEvRNS_18TensorIteratorBaseEmlT_ENKUlvE_clEvENKUlvE7_clEvEUlP25hiprandStatePhilox4_32_10E0_ZNS1_27distribution_nullary_kernelIN3c104HalfEj15HIP_vector_typeIjLj4EES7_SF_ZZZNS5_IS7_EEvS9_mlSA_ENKSB_clEvENKSC_clEvEUljE_EEvS9_T2_RKT3_T4_EUlijE_EEvlNS_15PhiloxCudaStateET1_SM_
; %bb.0:
	s_load_dword s7, s[4:5], 0x20
	s_load_dwordx2 s[10:11], s[4:5], 0x10
	s_load_dwordx4 s[0:3], s[4:5], 0x0
	s_mov_b32 s8, 0
	s_waitcnt lgkmcnt(0)
	s_bitcmp0_b32 s7, 0
	v_pk_mov_b32 v[2:3], s[10:11], s[10:11] op_sel:[0,1]
	v_pk_mov_b32 v[14:15], s[2:3], s[2:3] op_sel:[0,1]
	s_cbranch_scc1 .LBB34_2
; %bb.1:
	v_pk_mov_b32 v[2:3], s[10:11], s[10:11] op_sel:[0,1]
	flat_load_dwordx2 v[2:3], v[2:3]
	v_pk_mov_b32 v[4:5], s[2:3], s[2:3] op_sel:[0,1]
	flat_load_dwordx2 v[14:15], v[4:5]
	s_load_dwordx2 s[2:3], s[4:5], 0x18
	s_waitcnt lgkmcnt(0)
	v_mov_b32_e32 v1, s3
	s_waitcnt vmcnt(0)
	v_add_co_u32_e32 v2, vcc, s2, v2
	v_addc_co_u32_e32 v3, vcc, v3, v1, vcc
.LBB34_2:
	s_load_dword s2, s[4:5], 0x5c
	s_load_dword s14, s[4:5], 0x50
	s_waitcnt lgkmcnt(0)
	s_and_b32 s7, s2, 0xffff
	s_add_u32 s10, s0, -1
	s_mul_i32 s16, s14, s7
	s_addc_u32 s9, s1, -1
	s_lshl_b32 s17, s16, 2
	s_cmp_lg_u64 s[8:9], 0
	s_mov_b64 s[2:3], -1
	s_cbranch_scc0 .LBB34_35
; %bb.3:
	v_cvt_f32_u32_e32 v1, s17
	v_cvt_f32_ubyte0_e32 v4, 0
	s_sub_u32 s8, 0, s17
	s_subb_u32 s11, 0, 0
	v_madmk_f32 v1, v4, 0x4f800000, v1
	v_rcp_f32_e32 v1, v1
	v_mul_f32_e32 v1, 0x5f7ffffc, v1
	v_mul_f32_e32 v4, 0x2f800000, v1
	v_trunc_f32_e32 v4, v4
	v_madmk_f32 v1, v4, 0xcf800000, v1
	v_cvt_u32_f32_e32 v4, v4
	v_cvt_u32_f32_e32 v1, v1
	v_readfirstlane_b32 s12, v4
	v_readfirstlane_b32 s13, v1
	s_mul_i32 s15, s8, s12
	s_mul_hi_u32 s19, s8, s13
	s_mul_i32 s18, s11, s13
	s_add_i32 s15, s19, s15
	s_add_i32 s15, s15, s18
	s_mul_i32 s20, s8, s13
	s_mul_hi_u32 s18, s13, s15
	s_mul_i32 s19, s13, s15
	s_mul_hi_u32 s13, s13, s20
	s_add_u32 s13, s13, s19
	s_addc_u32 s18, 0, s18
	s_mul_hi_u32 s21, s12, s20
	s_mul_i32 s20, s12, s20
	s_add_u32 s13, s13, s20
	s_mul_hi_u32 s19, s12, s15
	s_addc_u32 s13, s18, s21
	s_addc_u32 s18, s19, 0
	s_mul_i32 s15, s12, s15
	s_add_u32 s13, s13, s15
	s_addc_u32 s15, 0, s18
	v_add_co_u32_e32 v1, vcc, s13, v1
	s_cmp_lg_u64 vcc, 0
	s_addc_u32 s12, s12, s15
	v_readfirstlane_b32 s15, v1
	s_mul_i32 s13, s8, s12
	s_mul_hi_u32 s18, s8, s15
	s_add_i32 s13, s18, s13
	s_mul_i32 s11, s11, s15
	s_add_i32 s13, s13, s11
	s_mul_i32 s8, s8, s15
	s_mul_hi_u32 s18, s12, s8
	s_mul_i32 s19, s12, s8
	s_mul_i32 s21, s15, s13
	s_mul_hi_u32 s8, s15, s8
	s_mul_hi_u32 s20, s15, s13
	s_add_u32 s8, s8, s21
	s_addc_u32 s15, 0, s20
	s_add_u32 s8, s8, s19
	s_mul_hi_u32 s11, s12, s13
	s_addc_u32 s8, s15, s18
	s_addc_u32 s11, s11, 0
	s_mul_i32 s13, s12, s13
	s_add_u32 s8, s8, s13
	s_addc_u32 s11, 0, s11
	v_add_co_u32_e32 v1, vcc, s8, v1
	s_cmp_lg_u64 vcc, 0
	s_addc_u32 s11, s12, s11
	s_ashr_i32 s12, s9, 31
	s_add_u32 s8, s10, s12
	s_mov_b32 s13, s12
	s_addc_u32 s9, s9, s12
	s_xor_b64 s[8:9], s[8:9], s[12:13]
	v_readfirstlane_b32 s19, v1
	s_mul_i32 s18, s8, s11
	s_mul_hi_u32 s20, s8, s19
	s_mul_hi_u32 s15, s8, s11
	s_add_u32 s18, s20, s18
	s_addc_u32 s15, 0, s15
	s_mul_hi_u32 s21, s9, s19
	s_mul_i32 s19, s9, s19
	s_add_u32 s18, s18, s19
	s_mul_hi_u32 s20, s9, s11
	s_addc_u32 s15, s15, s21
	s_addc_u32 s18, s20, 0
	s_mul_i32 s11, s9, s11
	s_add_u32 s11, s15, s11
	s_addc_u32 s15, 0, s18
	s_add_u32 s18, s11, 1
	s_addc_u32 s19, s15, 0
	s_add_u32 s20, s11, 2
	s_mul_i32 s22, s17, s15
	s_mul_hi_u32 s23, s17, s11
	s_addc_u32 s21, s15, 0
	s_add_i32 s23, s23, s22
	s_mul_i32 s22, s17, s11
	v_mov_b32_e32 v1, s22
	v_sub_co_u32_e32 v1, vcc, s8, v1
	s_cmp_lg_u64 vcc, 0
	s_subb_u32 s8, s9, s23
	v_subrev_co_u32_e32 v4, vcc, s17, v1
	s_cmp_lg_u64 vcc, 0
	s_subb_u32 s9, s8, 0
	v_readfirstlane_b32 s22, v4
	s_cmp_ge_u32 s22, s17
	s_cselect_b32 s22, -1, 0
	s_cmp_eq_u32 s9, 0
	s_cselect_b32 s9, s22, -1
	s_cmp_lg_u32 s9, 0
	s_cselect_b32 s9, s21, s19
	v_readfirstlane_b32 s19, v1
	s_cselect_b32 s18, s20, s18
	s_cmp_ge_u32 s19, s17
	s_cselect_b32 s19, -1, 0
	s_cmp_eq_u32 s8, 0
	s_cselect_b32 s8, s19, -1
	s_cmp_lg_u32 s8, 0
	s_cselect_b32 s9, s9, s15
	s_cselect_b32 s8, s18, s11
	s_xor_b64 s[8:9], s[8:9], s[12:13]
	s_sub_u32 s8, s8, s12
	s_subb_u32 s9, s9, s12
	s_cbranch_execnz .LBB34_5
.LBB34_4:
	v_cvt_f32_u32_e32 v1, s17
	s_sub_i32 s2, 0, s17
	s_mov_b32 s9, 0
	v_rcp_iflag_f32_e32 v1, v1
	v_mul_f32_e32 v1, 0x4f7ffffe, v1
	v_cvt_u32_f32_e32 v1, v1
	v_readfirstlane_b32 s3, v1
	s_mul_i32 s2, s2, s3
	s_mul_hi_u32 s2, s3, s2
	s_add_i32 s3, s3, s2
	s_mul_hi_u32 s2, s10, s3
	s_mul_i32 s8, s2, s17
	s_sub_i32 s8, s10, s8
	s_add_i32 s3, s2, 1
	s_sub_i32 s10, s8, s17
	s_cmp_ge_u32 s8, s17
	s_cselect_b32 s2, s3, s2
	s_cselect_b32 s8, s10, s8
	s_add_i32 s3, s2, 1
	s_cmp_ge_u32 s8, s17
	s_cselect_b32 s8, s3, s2
.LBB34_5:
	v_mov_b32_e32 v1, 0
	v_mov_b32_e32 v4, s6
	v_mad_u64_u32 v[16:17], s[2:3], s7, v4, v[0:1]
	s_add_u32 s2, s8, 1
	s_addc_u32 s3, s9, 0
	s_mul_hi_u32 s8, s14, s7
	s_mul_i32 s3, s16, s3
	s_mul_hi_u32 s9, s16, s2
	s_add_i32 s3, s9, s3
	s_mul_i32 s8, s8, s2
	s_add_i32 s3, s3, s8
	s_mul_i32 s2, s16, s2
	s_lshl_b64 s[2:3], s[2:3], 2
	v_cmp_gt_i64_e32 vcc, s[2:3], v[16:17]
	s_and_saveexec_b64 s[8:9], vcc
	s_cbranch_execz .LBB34_34
; %bb.6:
	s_load_dwordx2 s[12:13], s[4:5], 0x30
	s_load_dword s15, s[4:5], 0x38
	s_load_dwordx4 s[8:11], s[4:5], 0x40
	v_mov_b32_e32 v4, v15
	s_mov_b32 s4, 0xdb3d7428
	v_add_co_u32_e32 v23, vcc, s4, v4
	s_mov_b32 s4, 0x5384540f
	v_add_co_u32_e32 v24, vcc, s4, v14
	s_mov_b32 s4, 0x646e171e
	v_add_co_u32_e32 v25, vcc, s4, v4
	s_mov_b32 s4, 0x1715609d
	v_add_co_u32_e32 v26, vcc, s4, v14
	s_mov_b32 s4, 0xed9eba14
	v_add_co_u32_e32 v27, vcc, s4, v4
	s_mov_b32 s4, 0xdaa66d2b
	v_add_co_u32_e32 v28, vcc, s4, v14
	s_mov_b32 s4, 0x76cf5d0a
	v_add_co_u32_e32 v29, vcc, s4, v4
	s_mov_b32 s4, 0x9e3779b9
	v_alignbit_b32 v31, v3, v2, 2
	s_mov_b32 s19, 0xd2511f53
	v_add_co_u32_e32 v30, vcc, s4, v14
	v_mad_u64_u32 v[6:7], s[4:5], v31, s19, 0
	v_and_b32_e32 v20, 3, v2
	v_xor_b32_e32 v2, v7, v15
	v_xor_b32_e32 v2, v2, v17
	s_mov_b32 s20, 0xcd9e8d57
	v_mad_u64_u32 v[8:9], s[4:5], v2, s20, 0
	v_xor_b32_e32 v2, v30, v9
	v_mad_u64_u32 v[10:11], s[4:5], v16, s20, 0
	v_xor_b32_e32 v2, v2, v10
	;; [unrolled: 2-line block ×3, first 2 shown]
	v_lshrrev_b32_e32 v32, 2, v3
	v_xor_b32_e32 v2, v2, v32
	v_xor_b32_e32 v5, v29, v13
	v_mad_u64_u32 v[2:3], s[4:5], v2, s19, 0
	v_xor_b32_e32 v2, v5, v2
	v_mad_u64_u32 v[10:11], s[4:5], v2, s20, 0
	s_mov_b32 s4, 0xbb67ae85
	v_add_co_u32_e32 v33, vcc, s4, v4
	v_xor_b32_e32 v2, v33, v3
	v_xor_b32_e32 v2, v2, v6
	v_xor_b32_e32 v5, v28, v11
	v_mad_u64_u32 v[2:3], s[4:5], v2, s20, 0
	v_xor_b32_e32 v2, v5, v2
	v_mad_u64_u32 v[6:7], s[4:5], v2, s19, 0
	s_mov_b32 s4, 0x3c6ef372
	v_add_co_u32_e32 v34, vcc, s4, v14
	v_xor_b32_e32 v2, v34, v3
	;; [unrolled: 8-line block ×7, first 2 shown]
	v_xor_b32_e32 v2, v2, v12
	v_mad_u64_u32 v[2:3], s[4:5], v2, s20, 0
	s_mov_b32 s4, 0xf1bbcdc8
	v_add_co_u32_e32 v40, vcc, s4, v14
	v_xor_b32_e32 v3, v40, v3
	v_xor_b32_e32 v3, v3, v10
	v_mad_u64_u32 v[10:11], s[4:5], v3, s19, 0
	s_mul_i32 s4, s6, s7
	v_xor_b32_e32 v3, v11, v6
	v_add_u32_e32 v6, s4, v0
	s_waitcnt lgkmcnt(0)
	s_mul_i32 s4, s14, s15
	s_mul_i32 s4, s4, s7
	s_lshl_b32 s25, s4, 2
	s_mul_i32 s4, s14, 3
	s_add_i32 s4, s6, s4
	s_mul_i32 s4, s4, s7
	v_mul_lo_u32 v41, s15, v6
	v_add_u32_e32 v6, s4, v0
	s_lshl_b32 s4, s14, 1
	s_add_i32 s4, s6, s4
	s_mul_i32 s4, s4, s7
	v_mul_lo_u32 v42, s15, v6
	v_add_u32_e32 v6, s4, v0
	s_add_i32 s4, s6, s14
	s_mul_i32 s4, s4, s7
	s_mov_b32 s18, 0
	v_add_u32_e32 v21, 0x8ff34781, v14
	v_add_u32_e32 v22, 0x96a522ad, v15
	v_xor_b32_e32 v2, v9, v2
	v_add_u32_e32 v0, s4, v0
	v_xor_b32_e32 v2, v21, v2
	v_xor_b32_e32 v4, v22, v3
	v_mov_b32_e32 v3, v8
	v_mov_b32_e32 v5, v10
	s_lshl_b32 s21, s16, 1
	s_mov_b32 s22, s18
	s_mul_i32 s23, s16, 3
	s_mov_b32 s24, s18
	v_mul_lo_u32 v43, s15, v6
	v_mul_lo_u32 v44, s15, v0
	s_mov_b64 s[4:5], 0
	s_mov_b32 s26, s18
	v_mov_b32_e32 v45, v16
	v_mov_b32_e32 v46, v17
	s_branch .LBB34_9
.LBB34_7:                               ;   in Loop: Header=BB34_9 Depth=1
	s_or_b64 exec, exec, s[14:15]
	v_mov_b32_e32 v3, s11
	v_add_co_u32_e32 v2, vcc, s10, v0
	v_addc_co_u32_e32 v3, vcc, v1, v3, vcc
	v_xor_b32_e32 v0, v2, v3
	v_ashrrev_i32_e32 v0, 31, v0
	v_ffbh_i32_e32 v5, v3
	v_add_u32_e32 v0, 32, v0
	v_add_u32_e32 v5, -1, v5
	v_min_u32_e32 v0, v5, v0
	v_lshlrev_b64 v[2:3], v0, v[2:3]
	v_min_u32_e32 v2, 1, v2
	v_or_b32_e32 v2, v3, v2
	v_cvt_f32_i32_e32 v2, v2
	v_sub_u32_e32 v0, 32, v0
	v_add_u32_e32 v4, s26, v42
	v_ashrrev_i32_e32 v3, 31, v4
	v_ldexp_f32 v0, v2, v0
	v_cvt_f16_f32_e32 v0, v0
	v_mov_b32_e32 v5, s13
	v_add_co_u32_e32 v2, vcc, s12, v4
	v_addc_co_u32_e32 v3, vcc, v5, v3, vcc
	global_store_short v[2:3], v0, off
.LBB34_8:                               ;   in Loop: Header=BB34_9 Depth=1
	s_or_b64 exec, exec, s[6:7]
	v_add_co_u32_e32 v16, vcc, s17, v16
	v_addc_co_u32_e32 v17, vcc, 0, v17, vcc
	v_mov_b32_e32 v9, v18
	s_add_i32 s26, s26, s25
	v_cmp_le_i64_e32 vcc, s[2:3], v[16:17]
	v_pk_mov_b32 v[2:3], v[6:7], v[6:7] op_sel:[0,1]
	s_or_b64 s[4:5], vcc, s[4:5]
	v_pk_mov_b32 v[4:5], v[8:9], v[8:9] op_sel:[0,1]
	s_barrier
	s_andn2_b64 exec, exec, s[4:5]
	s_cbranch_execz .LBB34_34
.LBB34_9:                               ; =>This Inner Loop Header: Depth=1
	v_add_co_u32_e32 v31, vcc, 1, v31
	v_cndmask_b32_e64 v0, 0, 1, vcc
	v_addc_co_u32_e32 v32, vcc, 0, v32, vcc
	v_cmp_eq_u32_e32 vcc, 0, v32
	v_cndmask_b32_e32 v0, 0, v0, vcc
	v_add_u32_e32 v45, v0, v45
	v_cmp_eq_u32_e32 vcc, 0, v45
	v_cndmask_b32_e32 v0, 0, v0, vcc
	v_mad_u64_u32 v[6:7], s[6:7], v31, s19, 0
	v_mad_u64_u32 v[8:9], s[6:7], v45, s20, 0
	v_add_u32_e32 v46, v0, v46
	v_xor_b32_e32 v0, v9, v14
	v_xor_b32_e32 v7, v7, v15
	v_xor_b32_e32 v0, v32, v0
	v_xor_b32_e32 v7, v46, v7
	v_mad_u64_u32 v[10:11], s[6:7], v0, s19, 0
	v_mad_u64_u32 v[12:13], s[6:7], v7, s20, 0
	v_xor_b32_e32 v0, v30, v13
	v_xor_b32_e32 v7, v33, v11
	v_xor_b32_e32 v0, v0, v8
	v_xor_b32_e32 v8, v7, v6
	v_mad_u64_u32 v[6:7], s[6:7], v0, s19, 0
	v_mad_u64_u32 v[8:9], s[6:7], v8, s20, 0
	;; [unrolled: 6-line block ×9, first 2 shown]
	v_xor_b32_e32 v0, v13, v6
	v_xor_b32_e32 v6, v21, v0
	;; [unrolled: 1-line block ×4, first 2 shown]
	v_mov_b32_e32 v7, v12
	v_mov_b32_e32 v8, v13
	v_cmp_lt_i32_e32 vcc, 1, v20
	s_and_saveexec_b64 s[6:7], vcc
	s_xor_b64 s[6:7], exec, s[6:7]
	s_cbranch_execnz .LBB34_12
; %bb.10:                               ;   in Loop: Header=BB34_9 Depth=1
	s_andn2_saveexec_b64 s[6:7], s[6:7]
	s_cbranch_execnz .LBB34_17
.LBB34_11:                              ;   in Loop: Header=BB34_9 Depth=1
	s_or_b64 exec, exec, s[6:7]
	v_cmp_gt_i64_e32 vcc, s[0:1], v[16:17]
	s_and_saveexec_b64 s[6:7], vcc
	s_cbranch_execnz .LBB34_20
	s_branch .LBB34_23
.LBB34_12:                              ;   in Loop: Header=BB34_9 Depth=1
	v_cmp_lt_i32_e32 vcc, 2, v20
	s_and_saveexec_b64 s[14:15], vcc
	s_xor_b64 s[14:15], exec, s[14:15]
; %bb.13:                               ;   in Loop: Header=BB34_9 Depth=1
	v_mov_b32_e32 v10, v5
	v_mov_b32_e32 v11, v6
	v_pk_mov_b32 v[2:3], v[10:11], v[10:11] op_sel:[0,1]
	v_pk_mov_b32 v[4:5], v[12:13], v[12:13] op_sel:[0,1]
                                        ; implicit-def: $vgpr12_vgpr13
; %bb.14:                               ;   in Loop: Header=BB34_9 Depth=1
	s_andn2_saveexec_b64 s[14:15], s[14:15]
; %bb.15:                               ;   in Loop: Header=BB34_9 Depth=1
	v_mov_b32_e32 v2, v4
	v_mov_b32_e32 v3, v5
	;; [unrolled: 1-line block ×4, first 2 shown]
; %bb.16:                               ;   in Loop: Header=BB34_9 Depth=1
	s_or_b64 exec, exec, s[14:15]
	s_andn2_saveexec_b64 s[6:7], s[6:7]
	s_cbranch_execz .LBB34_11
.LBB34_17:                              ;   in Loop: Header=BB34_9 Depth=1
	v_cmp_eq_u32_e32 vcc, 1, v20
	s_and_saveexec_b64 s[14:15], vcc
; %bb.18:                               ;   in Loop: Header=BB34_9 Depth=1
	v_mov_b32_e32 v2, v3
	v_mov_b32_e32 v3, v4
	;; [unrolled: 1-line block ×4, first 2 shown]
; %bb.19:                               ;   in Loop: Header=BB34_9 Depth=1
	s_or_b64 exec, exec, s[14:15]
	s_or_b64 exec, exec, s[6:7]
	v_cmp_gt_i64_e32 vcc, s[0:1], v[16:17]
	s_and_saveexec_b64 s[6:7], vcc
	s_cbranch_execz .LBB34_23
.LBB34_20:                              ;   in Loop: Header=BB34_9 Depth=1
	v_mov_b32_e32 v0, v2
	v_cmp_le_u64_e32 vcc, s[8:9], v[0:1]
	s_and_saveexec_b64 s[14:15], vcc
	s_cbranch_execz .LBB34_22
; %bb.21:                               ;   in Loop: Header=BB34_9 Depth=1
	v_cvt_f32_u32_e32 v2, s8
	s_sub_i32 s27, 0, s8
	v_rcp_iflag_f32_e32 v2, v2
	v_mul_f32_e32 v2, 0x4f7ffffe, v2
	v_cvt_u32_f32_e32 v2, v2
	v_mul_lo_u32 v9, s27, v2
	v_mul_hi_u32 v9, v2, v9
	v_add_u32_e32 v2, v2, v9
	v_mul_hi_u32 v2, v0, v2
	v_mul_lo_u32 v2, v2, s8
	v_sub_u32_e32 v0, v0, v2
	v_subrev_u32_e32 v2, s8, v0
	v_cmp_le_u32_e32 vcc, s8, v0
	v_cndmask_b32_e32 v0, v0, v2, vcc
	v_subrev_u32_e32 v2, s8, v0
	v_cmp_le_u32_e32 vcc, s8, v0
	v_cndmask_b32_e32 v0, v0, v2, vcc
.LBB34_22:                              ;   in Loop: Header=BB34_9 Depth=1
	s_or_b64 exec, exec, s[14:15]
	v_mov_b32_e32 v9, s11
	v_add_co_u32_e32 v10, vcc, s10, v0
	v_addc_co_u32_e32 v11, vcc, v1, v9, vcc
	v_xor_b32_e32 v0, v10, v11
	v_ashrrev_i32_e32 v0, 31, v0
	v_ffbh_i32_e32 v9, v11
	v_add_u32_e32 v0, 32, v0
	v_add_u32_e32 v9, -1, v9
	v_min_u32_e32 v0, v9, v0
	v_lshlrev_b64 v[10:11], v0, v[10:11]
	v_min_u32_e32 v9, 1, v10
	v_or_b32_e32 v9, v11, v9
	v_cvt_f32_i32_e32 v9, v9
	v_sub_u32_e32 v0, 32, v0
	v_add_u32_e32 v2, s26, v41
	v_ashrrev_i32_e32 v11, 31, v2
	v_ldexp_f32 v0, v9, v0
	v_cvt_f16_f32_e32 v0, v0
	v_mov_b32_e32 v12, s13
	v_add_co_u32_e32 v10, vcc, s12, v2
	v_addc_co_u32_e32 v11, vcc, v12, v11, vcc
	global_store_short v[10:11], v0, off
.LBB34_23:                              ;   in Loop: Header=BB34_9 Depth=1
	s_or_b64 exec, exec, s[6:7]
	v_mov_b32_e32 v0, s18
	v_add_co_u32_e32 v10, vcc, s16, v16
	v_addc_co_u32_e32 v11, vcc, v0, v17, vcc
	v_cmp_gt_i64_e32 vcc, s[0:1], v[10:11]
	s_and_saveexec_b64 s[6:7], vcc
	s_cbranch_execz .LBB34_27
; %bb.24:                               ;   in Loop: Header=BB34_9 Depth=1
	v_mov_b32_e32 v0, v3
	v_cmp_le_u64_e32 vcc, s[8:9], v[0:1]
	s_and_saveexec_b64 s[14:15], vcc
	s_cbranch_execz .LBB34_26
; %bb.25:                               ;   in Loop: Header=BB34_9 Depth=1
	v_cvt_f32_u32_e32 v2, s8
	s_sub_i32 s27, 0, s8
	v_rcp_iflag_f32_e32 v2, v2
	v_mul_f32_e32 v2, 0x4f7ffffe, v2
	v_cvt_u32_f32_e32 v2, v2
	v_mul_lo_u32 v3, s27, v2
	v_mul_hi_u32 v3, v2, v3
	v_add_u32_e32 v2, v2, v3
	v_mul_hi_u32 v2, v0, v2
	v_mul_lo_u32 v2, v2, s8
	v_sub_u32_e32 v0, v0, v2
	v_subrev_u32_e32 v2, s8, v0
	v_cmp_le_u32_e32 vcc, s8, v0
	v_cndmask_b32_e32 v0, v0, v2, vcc
	v_subrev_u32_e32 v2, s8, v0
	v_cmp_le_u32_e32 vcc, s8, v0
	v_cndmask_b32_e32 v0, v0, v2, vcc
.LBB34_26:                              ;   in Loop: Header=BB34_9 Depth=1
	s_or_b64 exec, exec, s[14:15]
	v_mov_b32_e32 v3, s11
	v_add_co_u32_e32 v2, vcc, s10, v0
	v_addc_co_u32_e32 v3, vcc, v1, v3, vcc
	v_xor_b32_e32 v0, v2, v3
	v_ashrrev_i32_e32 v0, 31, v0
	v_ffbh_i32_e32 v10, v3
	v_add_u32_e32 v0, 32, v0
	v_add_u32_e32 v10, -1, v10
	v_min_u32_e32 v0, v10, v0
	v_lshlrev_b64 v[2:3], v0, v[2:3]
	v_min_u32_e32 v2, 1, v2
	v_or_b32_e32 v2, v3, v2
	v_cvt_f32_i32_e32 v2, v2
	v_sub_u32_e32 v0, 32, v0
	v_add_u32_e32 v9, s26, v44
	v_ashrrev_i32_e32 v3, 31, v9
	v_ldexp_f32 v0, v2, v0
	v_cvt_f16_f32_e32 v0, v0
	v_mov_b32_e32 v10, s13
	v_add_co_u32_e32 v2, vcc, s12, v9
	v_addc_co_u32_e32 v3, vcc, v10, v3, vcc
	global_store_short v[2:3], v0, off
.LBB34_27:                              ;   in Loop: Header=BB34_9 Depth=1
	s_or_b64 exec, exec, s[6:7]
	v_mov_b32_e32 v0, s22
	v_add_co_u32_e32 v2, vcc, s21, v16
	v_addc_co_u32_e32 v3, vcc, v0, v17, vcc
	v_cmp_gt_i64_e32 vcc, s[0:1], v[2:3]
	s_and_saveexec_b64 s[6:7], vcc
	s_cbranch_execz .LBB34_31
; %bb.28:                               ;   in Loop: Header=BB34_9 Depth=1
	v_mov_b32_e32 v0, v4
	v_cmp_le_u64_e32 vcc, s[8:9], v[0:1]
	s_and_saveexec_b64 s[14:15], vcc
	s_cbranch_execz .LBB34_30
; %bb.29:                               ;   in Loop: Header=BB34_9 Depth=1
	v_cvt_f32_u32_e32 v2, s8
	s_sub_i32 s27, 0, s8
	v_rcp_iflag_f32_e32 v2, v2
	v_mul_f32_e32 v2, 0x4f7ffffe, v2
	v_cvt_u32_f32_e32 v2, v2
	v_mul_lo_u32 v3, s27, v2
	v_mul_hi_u32 v3, v2, v3
	v_add_u32_e32 v2, v2, v3
	v_mul_hi_u32 v2, v0, v2
	v_mul_lo_u32 v2, v2, s8
	v_sub_u32_e32 v0, v0, v2
	v_subrev_u32_e32 v2, s8, v0
	v_cmp_le_u32_e32 vcc, s8, v0
	v_cndmask_b32_e32 v0, v0, v2, vcc
	v_subrev_u32_e32 v2, s8, v0
	v_cmp_le_u32_e32 vcc, s8, v0
	v_cndmask_b32_e32 v0, v0, v2, vcc
.LBB34_30:                              ;   in Loop: Header=BB34_9 Depth=1
	s_or_b64 exec, exec, s[14:15]
	v_mov_b32_e32 v3, s11
	v_add_co_u32_e32 v2, vcc, s10, v0
	v_addc_co_u32_e32 v3, vcc, v1, v3, vcc
	v_xor_b32_e32 v0, v2, v3
	v_ashrrev_i32_e32 v0, 31, v0
	v_ffbh_i32_e32 v9, v3
	v_add_u32_e32 v0, 32, v0
	v_add_u32_e32 v9, -1, v9
	v_min_u32_e32 v0, v9, v0
	v_lshlrev_b64 v[2:3], v0, v[2:3]
	v_min_u32_e32 v2, 1, v2
	v_or_b32_e32 v2, v3, v2
	v_cvt_f32_i32_e32 v2, v2
	v_sub_u32_e32 v0, 32, v0
	v_add_u32_e32 v4, s26, v43
	v_ashrrev_i32_e32 v3, 31, v4
	v_ldexp_f32 v0, v2, v0
	v_cvt_f16_f32_e32 v0, v0
	v_mov_b32_e32 v9, s13
	v_add_co_u32_e32 v2, vcc, s12, v4
	v_addc_co_u32_e32 v3, vcc, v9, v3, vcc
	global_store_short v[2:3], v0, off
.LBB34_31:                              ;   in Loop: Header=BB34_9 Depth=1
	s_or_b64 exec, exec, s[6:7]
	v_mov_b32_e32 v0, s24
	v_add_co_u32_e32 v2, vcc, s23, v16
	v_addc_co_u32_e32 v3, vcc, v0, v17, vcc
	v_cmp_gt_i64_e32 vcc, s[0:1], v[2:3]
	s_and_saveexec_b64 s[6:7], vcc
	s_cbranch_execz .LBB34_8
; %bb.32:                               ;   in Loop: Header=BB34_9 Depth=1
	v_mov_b32_e32 v0, v5
	v_cmp_le_u64_e32 vcc, s[8:9], v[0:1]
	s_and_saveexec_b64 s[14:15], vcc
	s_cbranch_execz .LBB34_7
; %bb.33:                               ;   in Loop: Header=BB34_9 Depth=1
	v_cvt_f32_u32_e32 v2, s8
	s_sub_i32 s27, 0, s8
	v_rcp_iflag_f32_e32 v2, v2
	v_mul_f32_e32 v2, 0x4f7ffffe, v2
	v_cvt_u32_f32_e32 v2, v2
	v_mul_lo_u32 v3, s27, v2
	v_mul_hi_u32 v3, v2, v3
	v_add_u32_e32 v2, v2, v3
	v_mul_hi_u32 v2, v0, v2
	v_mul_lo_u32 v2, v2, s8
	v_sub_u32_e32 v0, v0, v2
	v_subrev_u32_e32 v2, s8, v0
	v_cmp_le_u32_e32 vcc, s8, v0
	v_cndmask_b32_e32 v0, v0, v2, vcc
	v_subrev_u32_e32 v2, s8, v0
	v_cmp_le_u32_e32 vcc, s8, v0
	v_cndmask_b32_e32 v0, v0, v2, vcc
	s_branch .LBB34_7
.LBB34_34:
	s_endpgm
.LBB34_35:
                                        ; implicit-def: $sgpr8_sgpr9
	s_andn2_b64 vcc, exec, s[2:3]
	s_cbranch_vccz .LBB34_4
	s_branch .LBB34_5
	.section	.rodata,"a",@progbits
	.p2align	6, 0x0
	.amdhsa_kernel _ZN2at6native12_GLOBAL__N_143distribution_elementwise_grid_stride_kernelIjLi4EZZZNS0_9templates4cuda21random_from_to_kernelIPNS_17CUDAGeneratorImplEEEvRNS_18TensorIteratorBaseEmlT_ENKUlvE_clEvENKUlvE7_clEvEUlP25hiprandStatePhilox4_32_10E0_ZNS1_27distribution_nullary_kernelIN3c104HalfEj15HIP_vector_typeIjLj4EES7_SF_ZZZNS5_IS7_EEvS9_mlSA_ENKSB_clEvENKSC_clEvEUljE_EEvS9_T2_RKT3_T4_EUlijE_EEvlNS_15PhiloxCudaStateET1_SM_
		.amdhsa_group_segment_fixed_size 0
		.amdhsa_private_segment_fixed_size 0
		.amdhsa_kernarg_size 336
		.amdhsa_user_sgpr_count 6
		.amdhsa_user_sgpr_private_segment_buffer 1
		.amdhsa_user_sgpr_dispatch_ptr 0
		.amdhsa_user_sgpr_queue_ptr 0
		.amdhsa_user_sgpr_kernarg_segment_ptr 1
		.amdhsa_user_sgpr_dispatch_id 0
		.amdhsa_user_sgpr_flat_scratch_init 0
		.amdhsa_user_sgpr_kernarg_preload_length 0
		.amdhsa_user_sgpr_kernarg_preload_offset 0
		.amdhsa_user_sgpr_private_segment_size 0
		.amdhsa_uses_dynamic_stack 0
		.amdhsa_system_sgpr_private_segment_wavefront_offset 0
		.amdhsa_system_sgpr_workgroup_id_x 1
		.amdhsa_system_sgpr_workgroup_id_y 0
		.amdhsa_system_sgpr_workgroup_id_z 0
		.amdhsa_system_sgpr_workgroup_info 0
		.amdhsa_system_vgpr_workitem_id 0
		.amdhsa_next_free_vgpr 47
		.amdhsa_next_free_sgpr 28
		.amdhsa_accum_offset 48
		.amdhsa_reserve_vcc 1
		.amdhsa_reserve_flat_scratch 0
		.amdhsa_float_round_mode_32 0
		.amdhsa_float_round_mode_16_64 0
		.amdhsa_float_denorm_mode_32 3
		.amdhsa_float_denorm_mode_16_64 3
		.amdhsa_dx10_clamp 1
		.amdhsa_ieee_mode 1
		.amdhsa_fp16_overflow 0
		.amdhsa_tg_split 0
		.amdhsa_exception_fp_ieee_invalid_op 0
		.amdhsa_exception_fp_denorm_src 0
		.amdhsa_exception_fp_ieee_div_zero 0
		.amdhsa_exception_fp_ieee_overflow 0
		.amdhsa_exception_fp_ieee_underflow 0
		.amdhsa_exception_fp_ieee_inexact 0
		.amdhsa_exception_int_div_zero 0
	.end_amdhsa_kernel
	.section	.text._ZN2at6native12_GLOBAL__N_143distribution_elementwise_grid_stride_kernelIjLi4EZZZNS0_9templates4cuda21random_from_to_kernelIPNS_17CUDAGeneratorImplEEEvRNS_18TensorIteratorBaseEmlT_ENKUlvE_clEvENKUlvE7_clEvEUlP25hiprandStatePhilox4_32_10E0_ZNS1_27distribution_nullary_kernelIN3c104HalfEj15HIP_vector_typeIjLj4EES7_SF_ZZZNS5_IS7_EEvS9_mlSA_ENKSB_clEvENKSC_clEvEUljE_EEvS9_T2_RKT3_T4_EUlijE_EEvlNS_15PhiloxCudaStateET1_SM_,"axG",@progbits,_ZN2at6native12_GLOBAL__N_143distribution_elementwise_grid_stride_kernelIjLi4EZZZNS0_9templates4cuda21random_from_to_kernelIPNS_17CUDAGeneratorImplEEEvRNS_18TensorIteratorBaseEmlT_ENKUlvE_clEvENKUlvE7_clEvEUlP25hiprandStatePhilox4_32_10E0_ZNS1_27distribution_nullary_kernelIN3c104HalfEj15HIP_vector_typeIjLj4EES7_SF_ZZZNS5_IS7_EEvS9_mlSA_ENKSB_clEvENKSC_clEvEUljE_EEvS9_T2_RKT3_T4_EUlijE_EEvlNS_15PhiloxCudaStateET1_SM_,comdat
.Lfunc_end34:
	.size	_ZN2at6native12_GLOBAL__N_143distribution_elementwise_grid_stride_kernelIjLi4EZZZNS0_9templates4cuda21random_from_to_kernelIPNS_17CUDAGeneratorImplEEEvRNS_18TensorIteratorBaseEmlT_ENKUlvE_clEvENKUlvE7_clEvEUlP25hiprandStatePhilox4_32_10E0_ZNS1_27distribution_nullary_kernelIN3c104HalfEj15HIP_vector_typeIjLj4EES7_SF_ZZZNS5_IS7_EEvS9_mlSA_ENKSB_clEvENKSC_clEvEUljE_EEvS9_T2_RKT3_T4_EUlijE_EEvlNS_15PhiloxCudaStateET1_SM_, .Lfunc_end34-_ZN2at6native12_GLOBAL__N_143distribution_elementwise_grid_stride_kernelIjLi4EZZZNS0_9templates4cuda21random_from_to_kernelIPNS_17CUDAGeneratorImplEEEvRNS_18TensorIteratorBaseEmlT_ENKUlvE_clEvENKUlvE7_clEvEUlP25hiprandStatePhilox4_32_10E0_ZNS1_27distribution_nullary_kernelIN3c104HalfEj15HIP_vector_typeIjLj4EES7_SF_ZZZNS5_IS7_EEvS9_mlSA_ENKSB_clEvENKSC_clEvEUljE_EEvS9_T2_RKT3_T4_EUlijE_EEvlNS_15PhiloxCudaStateET1_SM_
                                        ; -- End function
	.section	.AMDGPU.csdata,"",@progbits
; Kernel info:
; codeLenInByte = 3068
; NumSgprs: 32
; NumVgprs: 47
; NumAgprs: 0
; TotalNumVgprs: 47
; ScratchSize: 0
; MemoryBound: 0
; FloatMode: 240
; IeeeMode: 1
; LDSByteSize: 0 bytes/workgroup (compile time only)
; SGPRBlocks: 3
; VGPRBlocks: 5
; NumSGPRsForWavesPerEU: 32
; NumVGPRsForWavesPerEU: 47
; AccumOffset: 48
; Occupancy: 8
; WaveLimiterHint : 0
; COMPUTE_PGM_RSRC2:SCRATCH_EN: 0
; COMPUTE_PGM_RSRC2:USER_SGPR: 6
; COMPUTE_PGM_RSRC2:TRAP_HANDLER: 0
; COMPUTE_PGM_RSRC2:TGID_X_EN: 1
; COMPUTE_PGM_RSRC2:TGID_Y_EN: 0
; COMPUTE_PGM_RSRC2:TGID_Z_EN: 0
; COMPUTE_PGM_RSRC2:TIDIG_COMP_CNT: 0
; COMPUTE_PGM_RSRC3_GFX90A:ACCUM_OFFSET: 11
; COMPUTE_PGM_RSRC3_GFX90A:TG_SPLIT: 0
	.section	.text._ZN2at6native12_GLOBAL__N_143distribution_elementwise_grid_stride_kernelIjLi4EZZZNS0_9templates4cuda21random_from_to_kernelIPNS_17CUDAGeneratorImplEEEvRNS_18TensorIteratorBaseEmlT_ENKUlvE_clEvENKUlvE7_clEvEUlP25hiprandStatePhilox4_32_10E0_ZNS1_27distribution_nullary_kernelIN3c104HalfEj15HIP_vector_typeIjLj4EES7_SF_ZZZNS5_IS7_EEvS9_mlSA_ENKSB_clEvENKSC_clEvEUljE_EEvS9_T2_RKT3_T4_EUlijE0_EEvlNS_15PhiloxCudaStateET1_SM_,"axG",@progbits,_ZN2at6native12_GLOBAL__N_143distribution_elementwise_grid_stride_kernelIjLi4EZZZNS0_9templates4cuda21random_from_to_kernelIPNS_17CUDAGeneratorImplEEEvRNS_18TensorIteratorBaseEmlT_ENKUlvE_clEvENKUlvE7_clEvEUlP25hiprandStatePhilox4_32_10E0_ZNS1_27distribution_nullary_kernelIN3c104HalfEj15HIP_vector_typeIjLj4EES7_SF_ZZZNS5_IS7_EEvS9_mlSA_ENKSB_clEvENKSC_clEvEUljE_EEvS9_T2_RKT3_T4_EUlijE0_EEvlNS_15PhiloxCudaStateET1_SM_,comdat
	.globl	_ZN2at6native12_GLOBAL__N_143distribution_elementwise_grid_stride_kernelIjLi4EZZZNS0_9templates4cuda21random_from_to_kernelIPNS_17CUDAGeneratorImplEEEvRNS_18TensorIteratorBaseEmlT_ENKUlvE_clEvENKUlvE7_clEvEUlP25hiprandStatePhilox4_32_10E0_ZNS1_27distribution_nullary_kernelIN3c104HalfEj15HIP_vector_typeIjLj4EES7_SF_ZZZNS5_IS7_EEvS9_mlSA_ENKSB_clEvENKSC_clEvEUljE_EEvS9_T2_RKT3_T4_EUlijE0_EEvlNS_15PhiloxCudaStateET1_SM_ ; -- Begin function _ZN2at6native12_GLOBAL__N_143distribution_elementwise_grid_stride_kernelIjLi4EZZZNS0_9templates4cuda21random_from_to_kernelIPNS_17CUDAGeneratorImplEEEvRNS_18TensorIteratorBaseEmlT_ENKUlvE_clEvENKUlvE7_clEvEUlP25hiprandStatePhilox4_32_10E0_ZNS1_27distribution_nullary_kernelIN3c104HalfEj15HIP_vector_typeIjLj4EES7_SF_ZZZNS5_IS7_EEvS9_mlSA_ENKSB_clEvENKSC_clEvEUljE_EEvS9_T2_RKT3_T4_EUlijE0_EEvlNS_15PhiloxCudaStateET1_SM_
	.p2align	8
	.type	_ZN2at6native12_GLOBAL__N_143distribution_elementwise_grid_stride_kernelIjLi4EZZZNS0_9templates4cuda21random_from_to_kernelIPNS_17CUDAGeneratorImplEEEvRNS_18TensorIteratorBaseEmlT_ENKUlvE_clEvENKUlvE7_clEvEUlP25hiprandStatePhilox4_32_10E0_ZNS1_27distribution_nullary_kernelIN3c104HalfEj15HIP_vector_typeIjLj4EES7_SF_ZZZNS5_IS7_EEvS9_mlSA_ENKSB_clEvENKSC_clEvEUljE_EEvS9_T2_RKT3_T4_EUlijE0_EEvlNS_15PhiloxCudaStateET1_SM_,@function
_ZN2at6native12_GLOBAL__N_143distribution_elementwise_grid_stride_kernelIjLi4EZZZNS0_9templates4cuda21random_from_to_kernelIPNS_17CUDAGeneratorImplEEEvRNS_18TensorIteratorBaseEmlT_ENKUlvE_clEvENKUlvE7_clEvEUlP25hiprandStatePhilox4_32_10E0_ZNS1_27distribution_nullary_kernelIN3c104HalfEj15HIP_vector_typeIjLj4EES7_SF_ZZZNS5_IS7_EEvS9_mlSA_ENKSB_clEvENKSC_clEvEUljE_EEvS9_T2_RKT3_T4_EUlijE0_EEvlNS_15PhiloxCudaStateET1_SM_: ; @_ZN2at6native12_GLOBAL__N_143distribution_elementwise_grid_stride_kernelIjLi4EZZZNS0_9templates4cuda21random_from_to_kernelIPNS_17CUDAGeneratorImplEEEvRNS_18TensorIteratorBaseEmlT_ENKUlvE_clEvENKUlvE7_clEvEUlP25hiprandStatePhilox4_32_10E0_ZNS1_27distribution_nullary_kernelIN3c104HalfEj15HIP_vector_typeIjLj4EES7_SF_ZZZNS5_IS7_EEvS9_mlSA_ENKSB_clEvENKSC_clEvEUljE_EEvS9_T2_RKT3_T4_EUlijE0_EEvlNS_15PhiloxCudaStateET1_SM_
; %bb.0:
	s_load_dword s2, s[4:5], 0x20
	s_load_dwordx2 s[0:1], s[4:5], 0x10
	s_load_dwordx4 s[24:27], s[4:5], 0x0
	s_waitcnt lgkmcnt(0)
	s_bitcmp0_b32 s2, 0
	s_mov_b32 s2, 0
	v_pk_mov_b32 v[2:3], s[0:1], s[0:1] op_sel:[0,1]
	v_pk_mov_b32 v[14:15], s[26:27], s[26:27] op_sel:[0,1]
	s_cbranch_scc1 .LBB35_2
; %bb.1:
	v_pk_mov_b32 v[2:3], s[0:1], s[0:1] op_sel:[0,1]
	flat_load_dwordx2 v[2:3], v[2:3]
	v_pk_mov_b32 v[4:5], s[26:27], s[26:27] op_sel:[0,1]
	flat_load_dwordx2 v[14:15], v[4:5]
	s_load_dwordx2 s[0:1], s[4:5], 0x18
	s_waitcnt lgkmcnt(0)
	v_mov_b32_e32 v1, s1
	s_waitcnt vmcnt(0)
	v_add_co_u32_e32 v2, vcc, s0, v2
	v_addc_co_u32_e32 v3, vcc, v3, v1, vcc
.LBB35_2:
	s_load_dword s0, s[4:5], 0x15c
	s_load_dword s7, s[4:5], 0x150
	s_waitcnt lgkmcnt(0)
	s_and_b32 s8, s0, 0xffff
	s_add_u32 s9, s24, -1
	s_mul_i32 s33, s7, s8
	s_addc_u32 s3, s25, -1
	s_lshl_b32 s62, s33, 2
	s_cmp_lg_u64 s[2:3], 0
	s_mov_b64 s[0:1], -1
	s_cbranch_scc0 .LBB35_91
; %bb.3:
	v_cvt_f32_u32_e32 v1, s62
	v_cvt_f32_ubyte0_e32 v4, 0
	s_sub_u32 s2, 0, s62
	s_subb_u32 s10, 0, 0
	v_madmk_f32 v1, v4, 0x4f800000, v1
	v_rcp_f32_e32 v1, v1
	v_mul_f32_e32 v1, 0x5f7ffffc, v1
	v_mul_f32_e32 v4, 0x2f800000, v1
	v_trunc_f32_e32 v4, v4
	v_madmk_f32 v1, v4, 0xcf800000, v1
	v_cvt_u32_f32_e32 v4, v4
	v_cvt_u32_f32_e32 v1, v1
	v_readfirstlane_b32 s11, v4
	v_readfirstlane_b32 s12, v1
	s_mul_i32 s13, s2, s11
	s_mul_hi_u32 s15, s2, s12
	s_mul_i32 s14, s10, s12
	s_add_i32 s13, s15, s13
	s_add_i32 s13, s13, s14
	s_mul_i32 s16, s2, s12
	s_mul_hi_u32 s14, s12, s13
	s_mul_i32 s15, s12, s13
	s_mul_hi_u32 s12, s12, s16
	s_add_u32 s12, s12, s15
	s_addc_u32 s14, 0, s14
	s_mul_hi_u32 s17, s11, s16
	s_mul_i32 s16, s11, s16
	s_add_u32 s12, s12, s16
	s_mul_hi_u32 s15, s11, s13
	s_addc_u32 s12, s14, s17
	s_addc_u32 s14, s15, 0
	s_mul_i32 s13, s11, s13
	s_add_u32 s12, s12, s13
	s_addc_u32 s13, 0, s14
	v_add_co_u32_e32 v1, vcc, s12, v1
	s_cmp_lg_u64 vcc, 0
	s_addc_u32 s11, s11, s13
	v_readfirstlane_b32 s13, v1
	s_mul_i32 s12, s2, s11
	s_mul_hi_u32 s14, s2, s13
	s_add_i32 s12, s14, s12
	s_mul_i32 s10, s10, s13
	s_add_i32 s12, s12, s10
	s_mul_i32 s2, s2, s13
	s_mul_hi_u32 s14, s11, s2
	s_mul_i32 s15, s11, s2
	s_mul_i32 s17, s13, s12
	s_mul_hi_u32 s2, s13, s2
	s_mul_hi_u32 s16, s13, s12
	s_add_u32 s2, s2, s17
	s_addc_u32 s13, 0, s16
	s_add_u32 s2, s2, s15
	s_mul_hi_u32 s10, s11, s12
	s_addc_u32 s2, s13, s14
	s_addc_u32 s10, s10, 0
	s_mul_i32 s12, s11, s12
	s_add_u32 s2, s2, s12
	s_addc_u32 s10, 0, s10
	v_add_co_u32_e32 v1, vcc, s2, v1
	s_cmp_lg_u64 vcc, 0
	s_addc_u32 s12, s11, s10
	s_ashr_i32 s10, s3, 31
	s_add_u32 s2, s9, s10
	s_mov_b32 s11, s10
	s_addc_u32 s3, s3, s10
	s_xor_b64 s[2:3], s[2:3], s[10:11]
	v_readfirstlane_b32 s15, v1
	s_mul_i32 s14, s2, s12
	s_mul_hi_u32 s16, s2, s15
	s_mul_hi_u32 s13, s2, s12
	s_add_u32 s14, s16, s14
	s_addc_u32 s13, 0, s13
	s_mul_hi_u32 s17, s3, s15
	s_mul_i32 s15, s3, s15
	s_add_u32 s14, s14, s15
	s_mul_hi_u32 s16, s3, s12
	s_addc_u32 s13, s13, s17
	s_addc_u32 s14, s16, 0
	s_mul_i32 s12, s3, s12
	s_add_u32 s12, s13, s12
	s_addc_u32 s13, 0, s14
	s_add_u32 s14, s12, 1
	s_addc_u32 s15, s13, 0
	s_add_u32 s16, s12, 2
	s_mul_i32 s18, s62, s13
	s_mul_hi_u32 s19, s62, s12
	s_addc_u32 s17, s13, 0
	s_add_i32 s19, s19, s18
	s_mul_i32 s18, s62, s12
	v_mov_b32_e32 v1, s18
	v_sub_co_u32_e32 v1, vcc, s2, v1
	s_cmp_lg_u64 vcc, 0
	s_subb_u32 s2, s3, s19
	v_subrev_co_u32_e32 v4, vcc, s62, v1
	s_cmp_lg_u64 vcc, 0
	s_subb_u32 s3, s2, 0
	v_readfirstlane_b32 s18, v4
	s_cmp_ge_u32 s18, s62
	s_cselect_b32 s18, -1, 0
	s_cmp_eq_u32 s3, 0
	s_cselect_b32 s3, s18, -1
	s_cmp_lg_u32 s3, 0
	s_cselect_b32 s3, s17, s15
	v_readfirstlane_b32 s15, v1
	s_cselect_b32 s14, s16, s14
	s_cmp_ge_u32 s15, s62
	s_cselect_b32 s15, -1, 0
	s_cmp_eq_u32 s2, 0
	s_cselect_b32 s2, s15, -1
	s_cmp_lg_u32 s2, 0
	s_cselect_b32 s3, s3, s13
	s_cselect_b32 s2, s14, s12
	s_xor_b64 s[2:3], s[2:3], s[10:11]
	s_sub_u32 s2, s2, s10
	s_subb_u32 s3, s3, s10
	s_cbranch_execnz .LBB35_5
.LBB35_4:
	v_cvt_f32_u32_e32 v1, s62
	s_sub_i32 s0, 0, s62
	s_mov_b32 s3, 0
	v_rcp_iflag_f32_e32 v1, v1
	v_mul_f32_e32 v1, 0x4f7ffffe, v1
	v_cvt_u32_f32_e32 v1, v1
	v_readfirstlane_b32 s1, v1
	s_mul_i32 s0, s0, s1
	s_mul_hi_u32 s0, s1, s0
	s_add_i32 s1, s1, s0
	s_mul_hi_u32 s0, s9, s1
	s_mul_i32 s2, s0, s62
	s_sub_i32 s2, s9, s2
	s_add_i32 s1, s0, 1
	s_sub_i32 s9, s2, s62
	s_cmp_ge_u32 s2, s62
	s_cselect_b32 s0, s1, s0
	s_cselect_b32 s2, s9, s2
	s_add_i32 s1, s0, 1
	s_cmp_ge_u32 s2, s62
	s_cselect_b32 s2, s1, s0
.LBB35_5:
	v_mov_b32_e32 v1, 0
	v_mov_b32_e32 v4, s6
	v_mad_u64_u32 v[16:17], s[0:1], s8, v4, v[0:1]
	s_add_u32 s0, s2, 1
	s_addc_u32 s1, s3, 0
	s_mul_hi_u32 s2, s7, s8
	s_mul_i32 s1, s33, s1
	s_mul_hi_u32 s3, s33, s0
	s_add_i32 s1, s3, s1
	s_mul_i32 s2, s2, s0
	s_add_i32 s1, s1, s2
	s_mul_i32 s0, s33, s0
	s_lshl_b64 s[26:27], s[0:1], 2
	v_cmp_gt_i64_e32 vcc, s[26:27], v[16:17]
	s_and_saveexec_b64 s[0:1], vcc
	s_cbranch_execz .LBB35_90
; %bb.6:
	s_mov_b32 s0, 0x5384540f
	v_mov_b32_e32 v0, v15
	v_add_co_u32_e32 v24, vcc, s0, v14
	s_mov_b32 s0, 0x646e171e
	v_add_co_u32_e32 v25, vcc, s0, v0
	s_mov_b32 s0, 0x1715609d
	;; [unrolled: 2-line block ×6, first 2 shown]
	v_alignbit_b32 v31, v3, v2, 2
	s_mov_b32 s64, 0xd2511f53
	v_add_co_u32_e32 v30, vcc, s0, v14
	v_mad_u64_u32 v[4:5], s[0:1], v31, s64, 0
	v_and_b32_e32 v20, 3, v2
	v_xor_b32_e32 v2, v5, v15
	v_xor_b32_e32 v2, v2, v17
	s_mov_b32 s65, 0xcd9e8d57
	v_mad_u64_u32 v[6:7], s[0:1], v2, s65, 0
	v_xor_b32_e32 v2, v30, v7
	v_mad_u64_u32 v[8:9], s[0:1], v16, s65, 0
	v_xor_b32_e32 v2, v2, v8
	;; [unrolled: 2-line block ×3, first 2 shown]
	v_lshrrev_b32_e32 v32, 2, v3
	v_xor_b32_e32 v2, v2, v32
	v_xor_b32_e32 v5, v29, v11
	v_mad_u64_u32 v[2:3], s[0:1], v2, s64, 0
	v_xor_b32_e32 v2, v5, v2
	v_mad_u64_u32 v[8:9], s[0:1], v2, s65, 0
	s_mov_b32 s0, 0xbb67ae85
	v_add_co_u32_e32 v33, vcc, s0, v0
	v_xor_b32_e32 v2, v33, v3
	v_xor_b32_e32 v2, v2, v4
	v_xor_b32_e32 v5, v28, v9
	v_mad_u64_u32 v[2:3], s[0:1], v2, s65, 0
	v_xor_b32_e32 v2, v5, v2
	v_mad_u64_u32 v[4:5], s[0:1], v2, s64, 0
	s_mov_b32 s0, 0x3c6ef372
	v_add_co_u32_e32 v34, vcc, s0, v14
	v_xor_b32_e32 v2, v34, v3
	;; [unrolled: 8-line block ×6, first 2 shown]
	v_add_co_u32_e32 v23, vcc, 0xdb3d7428, v0
	v_xor_b32_e32 v2, v2, v6
	v_xor_b32_e32 v5, v23, v5
	v_mad_u64_u32 v[2:3], s[0:1], v2, s64, 0
	v_xor_b32_e32 v2, v5, v2
	v_mad_u64_u32 v[6:7], s[0:1], v2, s65, 0
	s_mov_b32 s0, 0x1fd5c5a3
	v_add_co_u32_e32 v39, vcc, s0, v0
	v_xor_b32_e32 v0, v39, v3
	v_xor_b32_e32 v0, v0, v10
	v_mad_u64_u32 v[2:3], s[0:1], v0, s65, 0
	s_mov_b32 s0, 0xf1bbcdc8
	s_load_dwordx8 s[8:15], s[4:5], 0x30
	v_add_u32_e32 v21, 0x8ff34781, v14
	v_xor_b32_e32 v0, v7, v2
	v_add_co_u32_e32 v40, vcc, s0, v14
	v_xor_b32_e32 v2, v21, v0
	v_xor_b32_e32 v0, v40, v3
	;; [unrolled: 1-line block ×3, first 2 shown]
	s_add_u32 s34, s4, 48
	v_mad_u64_u32 v[8:9], s[0:1], v0, s64, 0
	s_addc_u32 s35, s5, 0
	s_waitcnt lgkmcnt(0)
	s_add_i32 s0, s8, -1
	s_cmp_gt_u32 s0, 1
	s_cselect_b64 s[40:41], -1, 0
	s_cmp_lg_u32 s8, 0
	s_cselect_b64 s[42:43], -1, 0
	s_add_u32 s44, s4, 0xf4
	s_addc_u32 s45, s5, 0
	s_min_u32 s1, s0, 15
	s_cmp_gt_u32 s8, 1
	s_cselect_b64 s[46:47], -1, 0
	s_load_dwordx2 s[48:49], s[4:5], 0x148
	s_load_dwordx2 s[50:51], s[4:5], 0xf4
	s_load_dwordx4 s[28:31], s[4:5], 0x138
	s_add_i32 s1, s1, 1
	s_mov_b32 s8, s13
	s_lshl_b32 s13, s33, 1
	s_and_b32 s68, s1, 3
	s_cmp_lg_u32 s0, 2
	s_cselect_b64 s[52:53], -1, 0
	s_and_b32 s69, s1, 28
	s_mov_b32 s63, 0
	v_add_u32_e32 v22, 0x96a522ad, v15
	v_xor_b32_e32 v0, v9, v4
	s_cmp_lg_u32 s68, 0
	v_xor_b32_e32 v4, v22, v0
	v_mov_b32_e32 v3, v6
	v_mov_b32_e32 v5, v8
	s_mov_b32 s15, s63
	s_mul_i32 s66, s33, 3
	s_mov_b32 s67, s63
	s_mov_b64 s[54:55], 0
	s_cselect_b64 s[56:57], -1, 0
	v_mov_b32_e32 v41, v16
	v_mov_b32_e32 v42, v17
	s_branch .LBB35_9
.LBB35_7:                               ;   in Loop: Header=BB35_9 Depth=1
	s_or_b64 exec, exec, s[0:1]
	v_mov_b32_e32 v3, s49
	v_add_co_u32_e32 v4, vcc, s48, v0
	v_addc_co_u32_e32 v5, vcc, v1, v3, vcc
	v_xor_b32_e32 v0, v4, v5
	v_ashrrev_i32_e32 v0, 31, v0
	v_ffbh_i32_e32 v3, v5
	v_add_u32_e32 v0, 32, v0
	v_add_u32_e32 v3, -1, v3
	v_min_u32_e32 v0, v3, v0
	v_lshlrev_b64 v[4:5], v0, v[4:5]
	v_min_u32_e32 v3, 1, v4
	v_or_b32_e32 v3, v5, v3
	v_cvt_f32_i32_e32 v3, v3
	v_sub_u32_e32 v0, 32, v0
	v_ldexp_f32 v0, v3, v0
	v_cvt_f16_f32_e32 v0, v0
	global_store_short v2, v0, s[28:29]
.LBB35_8:                               ;   in Loop: Header=BB35_9 Depth=1
	s_or_b64 exec, exec, s[36:37]
	v_add_co_u32_e32 v16, vcc, s62, v16
	v_addc_co_u32_e32 v17, vcc, 0, v17, vcc
	v_mov_b32_e32 v9, v18
	v_cmp_le_i64_e32 vcc, s[26:27], v[16:17]
	v_pk_mov_b32 v[2:3], v[6:7], v[6:7] op_sel:[0,1]
	s_or_b64 s[54:55], vcc, s[54:55]
	v_pk_mov_b32 v[4:5], v[8:9], v[8:9] op_sel:[0,1]
	s_waitcnt lgkmcnt(0)
	s_barrier
	s_andn2_b64 exec, exec, s[54:55]
	s_cbranch_execz .LBB35_90
.LBB35_9:                               ; =>This Loop Header: Depth=1
                                        ;     Child Loop BB35_24 Depth 2
                                        ;     Child Loop BB35_30 Depth 2
	;; [unrolled: 1-line block ×8, first 2 shown]
	v_add_co_u32_e32 v31, vcc, 1, v31
	v_cndmask_b32_e64 v0, 0, 1, vcc
	v_addc_co_u32_e32 v32, vcc, 0, v32, vcc
	v_cmp_eq_u32_e32 vcc, 0, v32
	v_cndmask_b32_e32 v0, 0, v0, vcc
	v_add_u32_e32 v41, v0, v41
	v_cmp_eq_u32_e32 vcc, 0, v41
	v_cndmask_b32_e32 v0, 0, v0, vcc
	v_mad_u64_u32 v[6:7], s[0:1], v31, s64, 0
	v_mad_u64_u32 v[8:9], s[0:1], v41, s65, 0
	v_add_u32_e32 v42, v0, v42
	v_xor_b32_e32 v0, v9, v14
	v_xor_b32_e32 v7, v7, v15
	v_xor_b32_e32 v0, v32, v0
	v_xor_b32_e32 v7, v42, v7
	v_mad_u64_u32 v[10:11], s[0:1], v0, s64, 0
	v_mad_u64_u32 v[12:13], s[0:1], v7, s65, 0
	v_xor_b32_e32 v0, v30, v13
	v_xor_b32_e32 v7, v33, v11
	v_xor_b32_e32 v0, v0, v8
	v_xor_b32_e32 v8, v7, v6
	v_mad_u64_u32 v[6:7], s[0:1], v0, s64, 0
	v_mad_u64_u32 v[8:9], s[0:1], v8, s65, 0
	;; [unrolled: 6-line block ×9, first 2 shown]
	v_xor_b32_e32 v0, v13, v6
	v_xor_b32_e32 v6, v21, v0
	;; [unrolled: 1-line block ×4, first 2 shown]
	v_mov_b32_e32 v7, v12
	v_mov_b32_e32 v8, v13
	v_cmp_lt_i32_e32 vcc, 1, v20
	s_and_saveexec_b64 s[0:1], vcc
	s_xor_b64 s[0:1], exec, s[0:1]
	s_cbranch_execz .LBB35_15
; %bb.10:                               ;   in Loop: Header=BB35_9 Depth=1
	v_cmp_lt_i32_e32 vcc, 2, v20
	s_and_saveexec_b64 s[2:3], vcc
	s_xor_b64 s[2:3], exec, s[2:3]
; %bb.11:                               ;   in Loop: Header=BB35_9 Depth=1
	v_mov_b32_e32 v10, v5
	v_mov_b32_e32 v11, v6
	v_pk_mov_b32 v[2:3], v[10:11], v[10:11] op_sel:[0,1]
	v_pk_mov_b32 v[4:5], v[12:13], v[12:13] op_sel:[0,1]
                                        ; implicit-def: $vgpr12_vgpr13
; %bb.12:                               ;   in Loop: Header=BB35_9 Depth=1
	s_andn2_saveexec_b64 s[2:3], s[2:3]
; %bb.13:                               ;   in Loop: Header=BB35_9 Depth=1
	v_mov_b32_e32 v2, v4
	v_mov_b32_e32 v3, v5
	;; [unrolled: 1-line block ×4, first 2 shown]
; %bb.14:                               ;   in Loop: Header=BB35_9 Depth=1
	s_or_b64 exec, exec, s[2:3]
.LBB35_15:                              ;   in Loop: Header=BB35_9 Depth=1
	s_andn2_saveexec_b64 s[0:1], s[0:1]
	s_cbranch_execz .LBB35_19
; %bb.16:                               ;   in Loop: Header=BB35_9 Depth=1
	v_cmp_eq_u32_e32 vcc, 1, v20
	s_and_saveexec_b64 s[2:3], vcc
; %bb.17:                               ;   in Loop: Header=BB35_9 Depth=1
	v_mov_b32_e32 v2, v3
	v_mov_b32_e32 v3, v4
	v_mov_b32_e32 v4, v5
	v_mov_b32_e32 v5, v6
; %bb.18:                               ;   in Loop: Header=BB35_9 Depth=1
	s_or_b64 exec, exec, s[2:3]
.LBB35_19:                              ;   in Loop: Header=BB35_9 Depth=1
	s_or_b64 exec, exec, s[0:1]
	v_cndmask_b32_e64 v0, 0, 1, s[40:41]
	v_cmp_gt_i64_e32 vcc, s[24:25], v[16:17]
	v_cmp_ne_u32_e64 s[0:1], 1, v0
	s_and_saveexec_b64 s[2:3], vcc
	s_cbranch_execz .LBB35_37
; %bb.20:                               ;   in Loop: Header=BB35_9 Depth=1
	s_and_b64 vcc, exec, s[0:1]
	s_cbranch_vccnz .LBB35_26
; %bb.21:                               ;   in Loop: Header=BB35_9 Depth=1
	s_andn2_b64 vcc, exec, s[42:43]
	s_cbranch_vccnz .LBB35_27
; %bb.22:                               ;   in Loop: Header=BB35_9 Depth=1
	s_mov_b32 s6, 0
	s_andn2_b64 vcc, exec, s[52:53]
	v_mov_b32_e32 v10, 0
	s_cbranch_vccnz .LBB35_28
; %bb.23:                               ;   in Loop: Header=BB35_9 Depth=1
	s_mov_b32 s70, 0
	v_mov_b32_e32 v10, 0
	s_mov_b64 s[58:59], s[34:35]
	s_mov_b64 s[60:61], s[44:45]
	v_mov_b32_e32 v0, v16
.LBB35_24:                              ;   Parent Loop BB35_9 Depth=1
                                        ; =>  This Inner Loop Header: Depth=2
	s_load_dwordx8 s[16:23], s[58:59], 0x4
	s_load_dwordx4 s[4:7], s[58:59], 0x24
	s_load_dwordx4 s[36:39], s[60:61], 0x0
	s_add_u32 s58, s58, 48
	s_addc_u32 s59, s59, 0
	s_waitcnt lgkmcnt(0)
	v_mul_hi_u32 v9, s17, v0
	v_add_u32_e32 v9, v0, v9
	v_lshrrev_b32_e32 v9, s18, v9
	v_mul_lo_u32 v11, v9, s16
	v_mul_hi_u32 v12, s20, v9
	v_sub_u32_e32 v0, v0, v11
	v_add_u32_e32 v11, v9, v12
	v_lshrrev_b32_e32 v11, s21, v11
	v_mul_lo_u32 v12, v11, s19
	v_mul_hi_u32 v13, s23, v11
	v_sub_u32_e32 v9, v9, v12
	v_add_u32_e32 v12, v11, v13
	v_mul_lo_u32 v0, v0, s36
	v_mul_lo_u32 v9, v9, s37
	v_lshrrev_b32_e32 v12, s4, v12
	v_add3_u32 v9, v0, v10, v9
	v_mul_lo_u32 v0, v12, s22
	v_mul_hi_u32 v10, s6, v12
	v_sub_u32_e32 v0, v11, v0
	v_add_u32_e32 v10, v12, v10
	v_mul_lo_u32 v11, v0, s38
	v_lshrrev_b32_e32 v0, s7, v10
	s_add_i32 s70, s70, 4
	v_mul_lo_u32 v10, v0, s5
	s_add_u32 s60, s60, 16
	v_sub_u32_e32 v10, v12, v10
	s_addc_u32 s61, s61, 0
	v_mul_lo_u32 v10, v10, s39
	s_cmp_lg_u32 s69, s70
	v_add3_u32 v10, v11, v9, v10
	s_cbranch_scc1 .LBB35_24
; %bb.25:                               ;   in Loop: Header=BB35_9 Depth=1
	s_mov_b32 s6, s69
	s_andn2_b64 vcc, exec, s[56:57]
	s_cbranch_vccz .LBB35_29
	s_branch .LBB35_31
.LBB35_26:                              ;   in Loop: Header=BB35_9 Depth=1
                                        ; implicit-def: $vgpr10
	s_branch .LBB35_32
.LBB35_27:                              ;   in Loop: Header=BB35_9 Depth=1
	v_mov_b32_e32 v10, 0
	s_branch .LBB35_31
.LBB35_28:                              ;   in Loop: Header=BB35_9 Depth=1
	v_mov_b32_e32 v0, v16
	s_andn2_b64 vcc, exec, s[56:57]
	s_cbranch_vccnz .LBB35_31
.LBB35_29:                              ;   in Loop: Header=BB35_9 Depth=1
	s_lshl_b32 s4, s6, 2
	s_add_u32 s4, s44, s4
	s_addc_u32 s5, s45, 0
	s_mul_i32 s6, s6, 12
	s_add_u32 s6, s34, s6
	s_addc_u32 s7, s35, 0
	s_mov_b32 s16, s68
.LBB35_30:                              ;   Parent Loop BB35_9 Depth=1
                                        ; =>  This Inner Loop Header: Depth=2
	s_load_dwordx2 s[18:19], s[6:7], 0x4
	s_load_dword s17, s[6:7], 0xc
	s_load_dword s20, s[4:5], 0x0
	s_add_u32 s6, s6, 12
	s_addc_u32 s7, s7, 0
	s_waitcnt lgkmcnt(0)
	v_mul_hi_u32 v9, s19, v0
	v_add_u32_e32 v9, v0, v9
	v_lshrrev_b32_e32 v9, s17, v9
	s_add_u32 s4, s4, 4
	v_mul_lo_u32 v11, v9, s18
	s_addc_u32 s5, s5, 0
	s_add_i32 s16, s16, -1
	v_sub_u32_e32 v11, v0, v11
	s_cmp_lg_u32 s16, 0
	v_mov_b32_e32 v0, v9
	v_mad_u64_u32 v[10:11], s[18:19], v11, s20, v[10:11]
	s_cbranch_scc1 .LBB35_30
.LBB35_31:                              ;   in Loop: Header=BB35_9 Depth=1
	s_cbranch_execnz .LBB35_34
.LBB35_32:                              ;   in Loop: Header=BB35_9 Depth=1
	v_mul_hi_u32 v0, v16, s10
	v_add_u32_e32 v0, v0, v16
	v_lshrrev_b32_e32 v0, s11, v0
	v_mul_lo_u32 v9, v0, s9
	v_sub_u32_e32 v9, v16, v9
	s_andn2_b64 vcc, exec, s[46:47]
	s_waitcnt lgkmcnt(0)
	v_mul_lo_u32 v10, v9, s50
	s_cbranch_vccnz .LBB35_34
; %bb.33:                               ;   in Loop: Header=BB35_9 Depth=1
	v_mul_hi_u32 v9, s8, v0
	v_add_u32_e32 v9, v0, v9
	v_lshrrev_b32_e32 v9, s14, v9
	v_mul_lo_u32 v9, v9, s12
	v_sub_u32_e32 v0, v0, v9
	v_mad_u64_u32 v[10:11], s[4:5], v0, s51, v[10:11]
.LBB35_34:                              ;   in Loop: Header=BB35_9 Depth=1
	v_mov_b32_e32 v0, v2
	s_waitcnt lgkmcnt(0)
	v_cmp_le_u64_e32 vcc, s[30:31], v[0:1]
	s_and_saveexec_b64 s[4:5], vcc
	s_cbranch_execz .LBB35_36
; %bb.35:                               ;   in Loop: Header=BB35_9 Depth=1
	v_cvt_f32_u32_e32 v2, s30
	s_sub_i32 s6, 0, s30
	v_rcp_iflag_f32_e32 v2, v2
	v_mul_f32_e32 v2, 0x4f7ffffe, v2
	v_cvt_u32_f32_e32 v2, v2
	v_mul_lo_u32 v9, s6, v2
	v_mul_hi_u32 v9, v2, v9
	v_add_u32_e32 v2, v2, v9
	v_mul_hi_u32 v2, v0, v2
	v_mul_lo_u32 v2, v2, s30
	v_sub_u32_e32 v0, v0, v2
	v_subrev_u32_e32 v2, s30, v0
	v_cmp_le_u32_e32 vcc, s30, v0
	v_cndmask_b32_e32 v0, v0, v2, vcc
	v_subrev_u32_e32 v2, s30, v0
	v_cmp_le_u32_e32 vcc, s30, v0
	v_cndmask_b32_e32 v0, v0, v2, vcc
.LBB35_36:                              ;   in Loop: Header=BB35_9 Depth=1
	s_or_b64 exec, exec, s[4:5]
	v_mov_b32_e32 v2, s49
	v_add_co_u32_e32 v12, vcc, s48, v0
	v_addc_co_u32_e32 v13, vcc, v1, v2, vcc
	v_xor_b32_e32 v0, v12, v13
	v_ashrrev_i32_e32 v0, 31, v0
	v_ffbh_i32_e32 v2, v13
	v_add_u32_e32 v0, 32, v0
	v_add_u32_e32 v2, -1, v2
	v_min_u32_e32 v0, v2, v0
	v_lshlrev_b64 v[12:13], v0, v[12:13]
	v_min_u32_e32 v2, 1, v12
	v_or_b32_e32 v2, v13, v2
	v_cvt_f32_i32_e32 v2, v2
	v_sub_u32_e32 v0, 32, v0
	v_ldexp_f32 v0, v2, v0
	v_cvt_f16_f32_e32 v0, v0
	global_store_short v10, v0, s[28:29]
.LBB35_37:                              ;   in Loop: Header=BB35_9 Depth=1
	s_or_b64 exec, exec, s[2:3]
	v_mov_b32_e32 v0, s63
	v_add_co_u32_e32 v12, vcc, s33, v16
	v_addc_co_u32_e32 v13, vcc, v17, v0, vcc
	v_cmp_gt_i64_e32 vcc, s[24:25], v[12:13]
	s_and_saveexec_b64 s[2:3], vcc
	s_cbranch_execz .LBB35_55
; %bb.38:                               ;   in Loop: Header=BB35_9 Depth=1
	s_and_b64 vcc, exec, s[0:1]
	s_cbranch_vccnz .LBB35_44
; %bb.39:                               ;   in Loop: Header=BB35_9 Depth=1
	s_andn2_b64 vcc, exec, s[42:43]
	s_cbranch_vccnz .LBB35_45
; %bb.40:                               ;   in Loop: Header=BB35_9 Depth=1
	s_mov_b32 s6, 0
	s_andn2_b64 vcc, exec, s[52:53]
	v_mov_b32_e32 v10, 0
	s_cbranch_vccnz .LBB35_46
; %bb.41:                               ;   in Loop: Header=BB35_9 Depth=1
	s_mov_b32 s70, 0
	v_mov_b32_e32 v10, 0
	s_mov_b64 s[58:59], s[34:35]
	s_mov_b64 s[60:61], s[44:45]
	v_mov_b32_e32 v0, v12
.LBB35_42:                              ;   Parent Loop BB35_9 Depth=1
                                        ; =>  This Inner Loop Header: Depth=2
	s_load_dwordx8 s[16:23], s[58:59], 0x4
	s_load_dwordx4 s[4:7], s[58:59], 0x24
	s_load_dwordx4 s[36:39], s[60:61], 0x0
	s_add_u32 s58, s58, 48
	s_addc_u32 s59, s59, 0
	s_waitcnt lgkmcnt(0)
	v_mul_hi_u32 v2, s17, v0
	v_add_u32_e32 v2, v0, v2
	v_lshrrev_b32_e32 v2, s18, v2
	v_mul_lo_u32 v9, v2, s16
	v_mul_hi_u32 v11, s20, v2
	v_sub_u32_e32 v0, v0, v9
	v_add_u32_e32 v9, v2, v11
	v_lshrrev_b32_e32 v9, s21, v9
	v_mul_lo_u32 v11, v9, s19
	v_mul_hi_u32 v13, s23, v9
	v_sub_u32_e32 v2, v2, v11
	v_add_u32_e32 v11, v9, v13
	v_mul_lo_u32 v0, v0, s36
	v_mul_lo_u32 v2, v2, s37
	v_lshrrev_b32_e32 v11, s4, v11
	v_add3_u32 v2, v0, v10, v2
	v_mul_lo_u32 v0, v11, s22
	v_mul_hi_u32 v10, s6, v11
	v_sub_u32_e32 v0, v9, v0
	v_add_u32_e32 v9, v11, v10
	v_mul_lo_u32 v10, v0, s38
	v_lshrrev_b32_e32 v0, s7, v9
	s_add_i32 s70, s70, 4
	v_mul_lo_u32 v9, v0, s5
	s_add_u32 s60, s60, 16
	v_sub_u32_e32 v9, v11, v9
	s_addc_u32 s61, s61, 0
	v_mul_lo_u32 v9, v9, s39
	s_cmp_eq_u32 s69, s70
	v_add3_u32 v10, v10, v2, v9
	s_cbranch_scc0 .LBB35_42
; %bb.43:                               ;   in Loop: Header=BB35_9 Depth=1
	s_mov_b32 s6, s69
	s_andn2_b64 vcc, exec, s[56:57]
	s_cbranch_vccz .LBB35_47
	s_branch .LBB35_49
.LBB35_44:                              ;   in Loop: Header=BB35_9 Depth=1
                                        ; implicit-def: $vgpr10
	s_branch .LBB35_50
.LBB35_45:                              ;   in Loop: Header=BB35_9 Depth=1
	v_mov_b32_e32 v10, 0
	s_branch .LBB35_49
.LBB35_46:                              ;   in Loop: Header=BB35_9 Depth=1
	v_mov_b32_e32 v0, v12
	s_andn2_b64 vcc, exec, s[56:57]
	s_cbranch_vccnz .LBB35_49
.LBB35_47:                              ;   in Loop: Header=BB35_9 Depth=1
	s_lshl_b32 s4, s6, 2
	s_add_u32 s4, s44, s4
	s_addc_u32 s5, s45, 0
	s_mul_i32 s6, s6, 12
	s_add_u32 s6, s34, s6
	s_addc_u32 s7, s35, 0
	s_mov_b32 s16, s68
.LBB35_48:                              ;   Parent Loop BB35_9 Depth=1
                                        ; =>  This Inner Loop Header: Depth=2
	s_load_dwordx2 s[18:19], s[6:7], 0x4
	s_load_dword s17, s[6:7], 0xc
	s_load_dword s20, s[4:5], 0x0
	s_add_u32 s6, s6, 12
	s_addc_u32 s7, s7, 0
	s_waitcnt lgkmcnt(0)
	v_mul_hi_u32 v2, s19, v0
	v_add_u32_e32 v2, v0, v2
	v_lshrrev_b32_e32 v2, s17, v2
	s_add_u32 s4, s4, 4
	v_mul_lo_u32 v9, v2, s18
	s_addc_u32 s5, s5, 0
	s_add_i32 s16, s16, -1
	v_sub_u32_e32 v9, v0, v9
	s_cmp_lg_u32 s16, 0
	v_mov_b32_e32 v0, v2
	v_mad_u64_u32 v[10:11], s[18:19], v9, s20, v[10:11]
	s_cbranch_scc1 .LBB35_48
.LBB35_49:                              ;   in Loop: Header=BB35_9 Depth=1
	s_cbranch_execnz .LBB35_52
.LBB35_50:                              ;   in Loop: Header=BB35_9 Depth=1
	v_mul_hi_u32 v0, v12, s10
	v_add_u32_e32 v0, v0, v12
	v_lshrrev_b32_e32 v0, s11, v0
	v_mul_lo_u32 v2, v0, s9
	v_sub_u32_e32 v2, v12, v2
	s_andn2_b64 vcc, exec, s[46:47]
	s_waitcnt lgkmcnt(0)
	v_mul_lo_u32 v10, v2, s50
	s_cbranch_vccnz .LBB35_52
; %bb.51:                               ;   in Loop: Header=BB35_9 Depth=1
	v_mul_hi_u32 v2, s8, v0
	v_add_u32_e32 v2, v0, v2
	v_lshrrev_b32_e32 v2, s14, v2
	v_mul_lo_u32 v2, v2, s12
	v_sub_u32_e32 v0, v0, v2
	v_mad_u64_u32 v[10:11], s[4:5], v0, s51, v[10:11]
.LBB35_52:                              ;   in Loop: Header=BB35_9 Depth=1
	v_mov_b32_e32 v0, v3
	s_waitcnt lgkmcnt(0)
	v_cmp_le_u64_e32 vcc, s[30:31], v[0:1]
	s_and_saveexec_b64 s[4:5], vcc
	s_cbranch_execz .LBB35_54
; %bb.53:                               ;   in Loop: Header=BB35_9 Depth=1
	v_cvt_f32_u32_e32 v2, s30
	s_sub_i32 s6, 0, s30
	v_rcp_iflag_f32_e32 v2, v2
	v_mul_f32_e32 v2, 0x4f7ffffe, v2
	v_cvt_u32_f32_e32 v2, v2
	v_mul_lo_u32 v3, s6, v2
	v_mul_hi_u32 v3, v2, v3
	v_add_u32_e32 v2, v2, v3
	v_mul_hi_u32 v2, v0, v2
	v_mul_lo_u32 v2, v2, s30
	v_sub_u32_e32 v0, v0, v2
	v_subrev_u32_e32 v2, s30, v0
	v_cmp_le_u32_e32 vcc, s30, v0
	v_cndmask_b32_e32 v0, v0, v2, vcc
	v_subrev_u32_e32 v2, s30, v0
	v_cmp_le_u32_e32 vcc, s30, v0
	v_cndmask_b32_e32 v0, v0, v2, vcc
.LBB35_54:                              ;   in Loop: Header=BB35_9 Depth=1
	s_or_b64 exec, exec, s[4:5]
	v_mov_b32_e32 v3, s49
	v_add_co_u32_e32 v2, vcc, s48, v0
	v_addc_co_u32_e32 v3, vcc, v1, v3, vcc
	v_xor_b32_e32 v0, v2, v3
	v_ashrrev_i32_e32 v0, 31, v0
	v_ffbh_i32_e32 v9, v3
	v_add_u32_e32 v0, 32, v0
	v_add_u32_e32 v9, -1, v9
	v_min_u32_e32 v0, v9, v0
	v_lshlrev_b64 v[2:3], v0, v[2:3]
	v_min_u32_e32 v2, 1, v2
	v_or_b32_e32 v2, v3, v2
	v_cvt_f32_i32_e32 v2, v2
	v_sub_u32_e32 v0, 32, v0
	v_ldexp_f32 v0, v2, v0
	v_cvt_f16_f32_e32 v0, v0
	global_store_short v10, v0, s[28:29]
.LBB35_55:                              ;   in Loop: Header=BB35_9 Depth=1
	s_or_b64 exec, exec, s[2:3]
	v_mov_b32_e32 v0, s15
	v_add_co_u32_e32 v10, vcc, s13, v16
	v_addc_co_u32_e32 v11, vcc, v17, v0, vcc
	v_cmp_gt_i64_e32 vcc, s[24:25], v[10:11]
	s_and_saveexec_b64 s[2:3], vcc
	s_cbranch_execz .LBB35_73
; %bb.56:                               ;   in Loop: Header=BB35_9 Depth=1
	s_and_b64 vcc, exec, s[0:1]
	s_cbranch_vccnz .LBB35_62
; %bb.57:                               ;   in Loop: Header=BB35_9 Depth=1
	s_andn2_b64 vcc, exec, s[42:43]
	s_cbranch_vccnz .LBB35_63
; %bb.58:                               ;   in Loop: Header=BB35_9 Depth=1
	s_mov_b32 s6, 0
	s_andn2_b64 vcc, exec, s[52:53]
	v_mov_b32_e32 v2, 0
	s_cbranch_vccnz .LBB35_64
; %bb.59:                               ;   in Loop: Header=BB35_9 Depth=1
	s_mov_b32 s70, 0
	v_mov_b32_e32 v2, 0
	s_mov_b64 s[58:59], s[34:35]
	s_mov_b64 s[60:61], s[44:45]
	v_mov_b32_e32 v0, v10
.LBB35_60:                              ;   Parent Loop BB35_9 Depth=1
                                        ; =>  This Inner Loop Header: Depth=2
	s_load_dwordx8 s[16:23], s[58:59], 0x4
	s_load_dwordx4 s[4:7], s[58:59], 0x24
	s_load_dwordx4 s[36:39], s[60:61], 0x0
	s_add_u32 s58, s58, 48
	s_addc_u32 s59, s59, 0
	s_waitcnt lgkmcnt(0)
	v_mul_hi_u32 v3, s17, v0
	v_add_u32_e32 v3, v0, v3
	v_lshrrev_b32_e32 v3, s18, v3
	v_mul_lo_u32 v9, v3, s16
	v_mul_hi_u32 v11, s20, v3
	v_sub_u32_e32 v0, v0, v9
	v_add_u32_e32 v9, v3, v11
	v_lshrrev_b32_e32 v9, s21, v9
	v_mul_lo_u32 v11, v9, s19
	v_mul_hi_u32 v12, s23, v9
	v_sub_u32_e32 v3, v3, v11
	v_add_u32_e32 v11, v9, v12
	v_mul_lo_u32 v0, v0, s36
	v_mul_lo_u32 v3, v3, s37
	v_lshrrev_b32_e32 v11, s4, v11
	v_add3_u32 v2, v0, v2, v3
	v_mul_lo_u32 v0, v11, s22
	v_mul_hi_u32 v3, s6, v11
	v_sub_u32_e32 v0, v9, v0
	v_add_u32_e32 v3, v11, v3
	v_mul_lo_u32 v9, v0, s38
	v_lshrrev_b32_e32 v0, s7, v3
	s_add_i32 s70, s70, 4
	v_mul_lo_u32 v3, v0, s5
	s_add_u32 s60, s60, 16
	v_sub_u32_e32 v3, v11, v3
	s_addc_u32 s61, s61, 0
	v_mul_lo_u32 v3, v3, s39
	s_cmp_eq_u32 s69, s70
	v_add3_u32 v2, v9, v2, v3
	s_cbranch_scc0 .LBB35_60
; %bb.61:                               ;   in Loop: Header=BB35_9 Depth=1
	s_mov_b32 s6, s69
	s_andn2_b64 vcc, exec, s[56:57]
	s_cbranch_vccz .LBB35_65
	s_branch .LBB35_67
.LBB35_62:                              ;   in Loop: Header=BB35_9 Depth=1
                                        ; implicit-def: $vgpr2
	s_branch .LBB35_68
.LBB35_63:                              ;   in Loop: Header=BB35_9 Depth=1
	v_mov_b32_e32 v2, 0
	s_branch .LBB35_67
.LBB35_64:                              ;   in Loop: Header=BB35_9 Depth=1
	v_mov_b32_e32 v0, v10
	s_andn2_b64 vcc, exec, s[56:57]
	s_cbranch_vccnz .LBB35_67
.LBB35_65:                              ;   in Loop: Header=BB35_9 Depth=1
	s_lshl_b32 s4, s6, 2
	s_add_u32 s4, s44, s4
	s_addc_u32 s5, s45, 0
	s_mul_i32 s6, s6, 12
	s_add_u32 s6, s34, s6
	s_addc_u32 s7, s35, 0
	s_mov_b32 s16, s68
.LBB35_66:                              ;   Parent Loop BB35_9 Depth=1
                                        ; =>  This Inner Loop Header: Depth=2
	s_load_dwordx2 s[18:19], s[6:7], 0x4
	s_load_dword s17, s[6:7], 0xc
	s_load_dword s20, s[4:5], 0x0
	s_add_u32 s6, s6, 12
	s_addc_u32 s7, s7, 0
	s_waitcnt lgkmcnt(0)
	v_mul_hi_u32 v3, s19, v0
	v_add_u32_e32 v3, v0, v3
	v_lshrrev_b32_e32 v3, s17, v3
	s_add_u32 s4, s4, 4
	v_mul_lo_u32 v9, v3, s18
	s_addc_u32 s5, s5, 0
	s_add_i32 s16, s16, -1
	v_sub_u32_e32 v9, v0, v9
	s_cmp_lg_u32 s16, 0
	v_mov_b32_e32 v0, v3
	v_mad_u64_u32 v[2:3], s[18:19], v9, s20, v[2:3]
	s_cbranch_scc1 .LBB35_66
.LBB35_67:                              ;   in Loop: Header=BB35_9 Depth=1
	s_cbranch_execnz .LBB35_70
.LBB35_68:                              ;   in Loop: Header=BB35_9 Depth=1
	v_mul_hi_u32 v0, v10, s10
	v_add_u32_e32 v0, v0, v10
	v_lshrrev_b32_e32 v0, s11, v0
	v_mul_lo_u32 v2, v0, s9
	v_sub_u32_e32 v2, v10, v2
	s_andn2_b64 vcc, exec, s[46:47]
	s_waitcnt lgkmcnt(0)
	v_mul_lo_u32 v2, v2, s50
	s_cbranch_vccnz .LBB35_70
; %bb.69:                               ;   in Loop: Header=BB35_9 Depth=1
	v_mul_hi_u32 v3, s8, v0
	v_add_u32_e32 v3, v0, v3
	v_lshrrev_b32_e32 v3, s14, v3
	v_mul_lo_u32 v3, v3, s12
	v_sub_u32_e32 v0, v0, v3
	v_mad_u64_u32 v[2:3], s[4:5], v0, s51, v[2:3]
.LBB35_70:                              ;   in Loop: Header=BB35_9 Depth=1
	v_mov_b32_e32 v0, v4
	s_waitcnt lgkmcnt(0)
	v_cmp_le_u64_e32 vcc, s[30:31], v[0:1]
	s_and_saveexec_b64 s[4:5], vcc
	s_cbranch_execz .LBB35_72
; %bb.71:                               ;   in Loop: Header=BB35_9 Depth=1
	v_cvt_f32_u32_e32 v3, s30
	s_sub_i32 s6, 0, s30
	v_rcp_iflag_f32_e32 v3, v3
	v_mul_f32_e32 v3, 0x4f7ffffe, v3
	v_cvt_u32_f32_e32 v3, v3
	v_mul_lo_u32 v4, s6, v3
	v_mul_hi_u32 v4, v3, v4
	v_add_u32_e32 v3, v3, v4
	v_mul_hi_u32 v3, v0, v3
	v_mul_lo_u32 v3, v3, s30
	v_sub_u32_e32 v0, v0, v3
	v_subrev_u32_e32 v3, s30, v0
	v_cmp_le_u32_e32 vcc, s30, v0
	v_cndmask_b32_e32 v0, v0, v3, vcc
	v_subrev_u32_e32 v3, s30, v0
	v_cmp_le_u32_e32 vcc, s30, v0
	v_cndmask_b32_e32 v0, v0, v3, vcc
.LBB35_72:                              ;   in Loop: Header=BB35_9 Depth=1
	s_or_b64 exec, exec, s[4:5]
	v_mov_b32_e32 v3, s49
	v_add_co_u32_e32 v10, vcc, s48, v0
	v_addc_co_u32_e32 v11, vcc, v1, v3, vcc
	v_xor_b32_e32 v0, v10, v11
	v_ashrrev_i32_e32 v0, 31, v0
	v_ffbh_i32_e32 v3, v11
	v_add_u32_e32 v0, 32, v0
	v_add_u32_e32 v3, -1, v3
	v_min_u32_e32 v0, v3, v0
	v_lshlrev_b64 v[10:11], v0, v[10:11]
	v_min_u32_e32 v3, 1, v10
	v_or_b32_e32 v3, v11, v3
	v_cvt_f32_i32_e32 v3, v3
	v_sub_u32_e32 v0, 32, v0
	v_ldexp_f32 v0, v3, v0
	v_cvt_f16_f32_e32 v0, v0
	global_store_short v2, v0, s[28:29]
.LBB35_73:                              ;   in Loop: Header=BB35_9 Depth=1
	s_or_b64 exec, exec, s[2:3]
	v_mov_b32_e32 v0, s67
	v_add_co_u32_e32 v10, vcc, s66, v16
	v_addc_co_u32_e32 v11, vcc, v17, v0, vcc
	v_cmp_gt_i64_e32 vcc, s[24:25], v[10:11]
	s_and_saveexec_b64 s[36:37], vcc
	s_cbranch_execz .LBB35_8
; %bb.74:                               ;   in Loop: Header=BB35_9 Depth=1
	s_and_b64 vcc, exec, s[0:1]
	s_cbranch_vccnz .LBB35_80
; %bb.75:                               ;   in Loop: Header=BB35_9 Depth=1
	s_andn2_b64 vcc, exec, s[42:43]
	s_cbranch_vccnz .LBB35_81
; %bb.76:                               ;   in Loop: Header=BB35_9 Depth=1
	s_mov_b32 s2, 0
	s_andn2_b64 vcc, exec, s[52:53]
	v_mov_b32_e32 v2, 0
	s_cbranch_vccnz .LBB35_82
; %bb.77:                               ;   in Loop: Header=BB35_9 Depth=1
	s_mov_b32 s60, 0
	v_mov_b32_e32 v2, 0
	s_mov_b64 s[38:39], s[34:35]
	s_mov_b64 s[58:59], s[44:45]
	v_mov_b32_e32 v0, v10
.LBB35_78:                              ;   Parent Loop BB35_9 Depth=1
                                        ; =>  This Inner Loop Header: Depth=2
	s_load_dwordx8 s[0:7], s[38:39], 0x4
	s_load_dwordx4 s[16:19], s[38:39], 0x24
	s_load_dwordx4 s[20:23], s[58:59], 0x0
	s_add_u32 s38, s38, 48
	s_addc_u32 s39, s39, 0
	s_waitcnt lgkmcnt(0)
	v_mul_hi_u32 v3, s1, v0
	v_add_u32_e32 v3, v0, v3
	v_lshrrev_b32_e32 v3, s2, v3
	v_mul_lo_u32 v4, v3, s0
	v_mul_hi_u32 v9, s4, v3
	v_sub_u32_e32 v0, v0, v4
	v_add_u32_e32 v4, v3, v9
	v_lshrrev_b32_e32 v4, s5, v4
	v_mul_lo_u32 v9, v4, s3
	v_mul_hi_u32 v11, s7, v4
	v_sub_u32_e32 v3, v3, v9
	v_add_u32_e32 v9, v4, v11
	v_mul_lo_u32 v0, v0, s20
	v_mul_lo_u32 v3, v3, s21
	v_lshrrev_b32_e32 v9, s16, v9
	v_add3_u32 v2, v0, v2, v3
	v_mul_lo_u32 v0, v9, s6
	v_mul_hi_u32 v3, s18, v9
	v_sub_u32_e32 v0, v4, v0
	v_add_u32_e32 v3, v9, v3
	v_mul_lo_u32 v4, v0, s22
	v_lshrrev_b32_e32 v0, s19, v3
	s_add_i32 s60, s60, 4
	v_mul_lo_u32 v3, v0, s17
	s_add_u32 s58, s58, 16
	v_sub_u32_e32 v3, v9, v3
	s_addc_u32 s59, s59, 0
	v_mul_lo_u32 v3, v3, s23
	s_cmp_eq_u32 s69, s60
	v_add3_u32 v2, v4, v2, v3
	s_cbranch_scc0 .LBB35_78
; %bb.79:                               ;   in Loop: Header=BB35_9 Depth=1
	s_mov_b32 s2, s69
	s_andn2_b64 vcc, exec, s[56:57]
	s_cbranch_vccz .LBB35_83
	s_branch .LBB35_85
.LBB35_80:                              ;   in Loop: Header=BB35_9 Depth=1
                                        ; implicit-def: $vgpr2
	s_branch .LBB35_86
.LBB35_81:                              ;   in Loop: Header=BB35_9 Depth=1
	v_mov_b32_e32 v2, 0
	s_branch .LBB35_85
.LBB35_82:                              ;   in Loop: Header=BB35_9 Depth=1
	v_mov_b32_e32 v0, v10
	s_andn2_b64 vcc, exec, s[56:57]
	s_cbranch_vccnz .LBB35_85
.LBB35_83:                              ;   in Loop: Header=BB35_9 Depth=1
	s_lshl_b32 s0, s2, 2
	s_add_u32 s0, s44, s0
	s_addc_u32 s1, s45, 0
	s_mul_i32 s2, s2, 12
	s_add_u32 s2, s34, s2
	s_addc_u32 s3, s35, 0
	s_mov_b32 s4, s68
.LBB35_84:                              ;   Parent Loop BB35_9 Depth=1
                                        ; =>  This Inner Loop Header: Depth=2
	s_load_dwordx2 s[6:7], s[2:3], 0x4
	s_load_dword s5, s[2:3], 0xc
	s_load_dword s16, s[0:1], 0x0
	s_add_u32 s2, s2, 12
	s_addc_u32 s3, s3, 0
	s_waitcnt lgkmcnt(0)
	v_mul_hi_u32 v3, s7, v0
	v_add_u32_e32 v3, v0, v3
	v_lshrrev_b32_e32 v3, s5, v3
	s_add_u32 s0, s0, 4
	v_mul_lo_u32 v4, v3, s6
	s_addc_u32 s1, s1, 0
	s_add_i32 s4, s4, -1
	v_sub_u32_e32 v4, v0, v4
	s_cmp_lg_u32 s4, 0
	v_mov_b32_e32 v0, v3
	v_mad_u64_u32 v[2:3], s[6:7], v4, s16, v[2:3]
	s_cbranch_scc1 .LBB35_84
.LBB35_85:                              ;   in Loop: Header=BB35_9 Depth=1
	s_cbranch_execnz .LBB35_88
.LBB35_86:                              ;   in Loop: Header=BB35_9 Depth=1
	v_mul_hi_u32 v0, v10, s10
	v_add_u32_e32 v0, v0, v10
	v_lshrrev_b32_e32 v0, s11, v0
	v_mul_lo_u32 v2, v0, s9
	v_sub_u32_e32 v2, v10, v2
	s_andn2_b64 vcc, exec, s[46:47]
	s_waitcnt lgkmcnt(0)
	v_mul_lo_u32 v2, v2, s50
	s_cbranch_vccnz .LBB35_88
; %bb.87:                               ;   in Loop: Header=BB35_9 Depth=1
	v_mul_hi_u32 v3, s8, v0
	v_add_u32_e32 v3, v0, v3
	v_lshrrev_b32_e32 v3, s14, v3
	v_mul_lo_u32 v3, v3, s12
	v_sub_u32_e32 v0, v0, v3
	v_mad_u64_u32 v[2:3], s[0:1], v0, s51, v[2:3]
.LBB35_88:                              ;   in Loop: Header=BB35_9 Depth=1
	v_mov_b32_e32 v0, v5
	s_waitcnt lgkmcnt(0)
	v_cmp_le_u64_e32 vcc, s[30:31], v[0:1]
	s_and_saveexec_b64 s[0:1], vcc
	s_cbranch_execz .LBB35_7
; %bb.89:                               ;   in Loop: Header=BB35_9 Depth=1
	v_cvt_f32_u32_e32 v3, s30
	s_sub_i32 s2, 0, s30
	v_rcp_iflag_f32_e32 v3, v3
	v_mul_f32_e32 v3, 0x4f7ffffe, v3
	v_cvt_u32_f32_e32 v3, v3
	v_mul_lo_u32 v4, s2, v3
	v_mul_hi_u32 v4, v3, v4
	v_add_u32_e32 v3, v3, v4
	v_mul_hi_u32 v3, v0, v3
	v_mul_lo_u32 v3, v3, s30
	v_sub_u32_e32 v0, v0, v3
	v_subrev_u32_e32 v3, s30, v0
	v_cmp_le_u32_e32 vcc, s30, v0
	v_cndmask_b32_e32 v0, v0, v3, vcc
	v_subrev_u32_e32 v3, s30, v0
	v_cmp_le_u32_e32 vcc, s30, v0
	v_cndmask_b32_e32 v0, v0, v3, vcc
	s_branch .LBB35_7
.LBB35_90:
	s_endpgm
.LBB35_91:
                                        ; implicit-def: $sgpr2_sgpr3
	s_andn2_b64 vcc, exec, s[0:1]
	s_cbranch_vccz .LBB35_4
	s_branch .LBB35_5
	.section	.rodata,"a",@progbits
	.p2align	6, 0x0
	.amdhsa_kernel _ZN2at6native12_GLOBAL__N_143distribution_elementwise_grid_stride_kernelIjLi4EZZZNS0_9templates4cuda21random_from_to_kernelIPNS_17CUDAGeneratorImplEEEvRNS_18TensorIteratorBaseEmlT_ENKUlvE_clEvENKUlvE7_clEvEUlP25hiprandStatePhilox4_32_10E0_ZNS1_27distribution_nullary_kernelIN3c104HalfEj15HIP_vector_typeIjLj4EES7_SF_ZZZNS5_IS7_EEvS9_mlSA_ENKSB_clEvENKSC_clEvEUljE_EEvS9_T2_RKT3_T4_EUlijE0_EEvlNS_15PhiloxCudaStateET1_SM_
		.amdhsa_group_segment_fixed_size 0
		.amdhsa_private_segment_fixed_size 0
		.amdhsa_kernarg_size 592
		.amdhsa_user_sgpr_count 6
		.amdhsa_user_sgpr_private_segment_buffer 1
		.amdhsa_user_sgpr_dispatch_ptr 0
		.amdhsa_user_sgpr_queue_ptr 0
		.amdhsa_user_sgpr_kernarg_segment_ptr 1
		.amdhsa_user_sgpr_dispatch_id 0
		.amdhsa_user_sgpr_flat_scratch_init 0
		.amdhsa_user_sgpr_kernarg_preload_length 0
		.amdhsa_user_sgpr_kernarg_preload_offset 0
		.amdhsa_user_sgpr_private_segment_size 0
		.amdhsa_uses_dynamic_stack 0
		.amdhsa_system_sgpr_private_segment_wavefront_offset 0
		.amdhsa_system_sgpr_workgroup_id_x 1
		.amdhsa_system_sgpr_workgroup_id_y 0
		.amdhsa_system_sgpr_workgroup_id_z 0
		.amdhsa_system_sgpr_workgroup_info 0
		.amdhsa_system_vgpr_workitem_id 0
		.amdhsa_next_free_vgpr 43
		.amdhsa_next_free_sgpr 71
		.amdhsa_accum_offset 44
		.amdhsa_reserve_vcc 1
		.amdhsa_reserve_flat_scratch 0
		.amdhsa_float_round_mode_32 0
		.amdhsa_float_round_mode_16_64 0
		.amdhsa_float_denorm_mode_32 3
		.amdhsa_float_denorm_mode_16_64 3
		.amdhsa_dx10_clamp 1
		.amdhsa_ieee_mode 1
		.amdhsa_fp16_overflow 0
		.amdhsa_tg_split 0
		.amdhsa_exception_fp_ieee_invalid_op 0
		.amdhsa_exception_fp_denorm_src 0
		.amdhsa_exception_fp_ieee_div_zero 0
		.amdhsa_exception_fp_ieee_overflow 0
		.amdhsa_exception_fp_ieee_underflow 0
		.amdhsa_exception_fp_ieee_inexact 0
		.amdhsa_exception_int_div_zero 0
	.end_amdhsa_kernel
	.section	.text._ZN2at6native12_GLOBAL__N_143distribution_elementwise_grid_stride_kernelIjLi4EZZZNS0_9templates4cuda21random_from_to_kernelIPNS_17CUDAGeneratorImplEEEvRNS_18TensorIteratorBaseEmlT_ENKUlvE_clEvENKUlvE7_clEvEUlP25hiprandStatePhilox4_32_10E0_ZNS1_27distribution_nullary_kernelIN3c104HalfEj15HIP_vector_typeIjLj4EES7_SF_ZZZNS5_IS7_EEvS9_mlSA_ENKSB_clEvENKSC_clEvEUljE_EEvS9_T2_RKT3_T4_EUlijE0_EEvlNS_15PhiloxCudaStateET1_SM_,"axG",@progbits,_ZN2at6native12_GLOBAL__N_143distribution_elementwise_grid_stride_kernelIjLi4EZZZNS0_9templates4cuda21random_from_to_kernelIPNS_17CUDAGeneratorImplEEEvRNS_18TensorIteratorBaseEmlT_ENKUlvE_clEvENKUlvE7_clEvEUlP25hiprandStatePhilox4_32_10E0_ZNS1_27distribution_nullary_kernelIN3c104HalfEj15HIP_vector_typeIjLj4EES7_SF_ZZZNS5_IS7_EEvS9_mlSA_ENKSB_clEvENKSC_clEvEUljE_EEvS9_T2_RKT3_T4_EUlijE0_EEvlNS_15PhiloxCudaStateET1_SM_,comdat
.Lfunc_end35:
	.size	_ZN2at6native12_GLOBAL__N_143distribution_elementwise_grid_stride_kernelIjLi4EZZZNS0_9templates4cuda21random_from_to_kernelIPNS_17CUDAGeneratorImplEEEvRNS_18TensorIteratorBaseEmlT_ENKUlvE_clEvENKUlvE7_clEvEUlP25hiprandStatePhilox4_32_10E0_ZNS1_27distribution_nullary_kernelIN3c104HalfEj15HIP_vector_typeIjLj4EES7_SF_ZZZNS5_IS7_EEvS9_mlSA_ENKSB_clEvENKSC_clEvEUljE_EEvS9_T2_RKT3_T4_EUlijE0_EEvlNS_15PhiloxCudaStateET1_SM_, .Lfunc_end35-_ZN2at6native12_GLOBAL__N_143distribution_elementwise_grid_stride_kernelIjLi4EZZZNS0_9templates4cuda21random_from_to_kernelIPNS_17CUDAGeneratorImplEEEvRNS_18TensorIteratorBaseEmlT_ENKUlvE_clEvENKUlvE7_clEvEUlP25hiprandStatePhilox4_32_10E0_ZNS1_27distribution_nullary_kernelIN3c104HalfEj15HIP_vector_typeIjLj4EES7_SF_ZZZNS5_IS7_EEvS9_mlSA_ENKSB_clEvENKSC_clEvEUljE_EEvS9_T2_RKT3_T4_EUlijE0_EEvlNS_15PhiloxCudaStateET1_SM_
                                        ; -- End function
	.section	.AMDGPU.csdata,"",@progbits
; Kernel info:
; codeLenInByte = 5060
; NumSgprs: 75
; NumVgprs: 43
; NumAgprs: 0
; TotalNumVgprs: 43
; ScratchSize: 0
; MemoryBound: 0
; FloatMode: 240
; IeeeMode: 1
; LDSByteSize: 0 bytes/workgroup (compile time only)
; SGPRBlocks: 9
; VGPRBlocks: 5
; NumSGPRsForWavesPerEU: 75
; NumVGPRsForWavesPerEU: 43
; AccumOffset: 44
; Occupancy: 8
; WaveLimiterHint : 1
; COMPUTE_PGM_RSRC2:SCRATCH_EN: 0
; COMPUTE_PGM_RSRC2:USER_SGPR: 6
; COMPUTE_PGM_RSRC2:TRAP_HANDLER: 0
; COMPUTE_PGM_RSRC2:TGID_X_EN: 1
; COMPUTE_PGM_RSRC2:TGID_Y_EN: 0
; COMPUTE_PGM_RSRC2:TGID_Z_EN: 0
; COMPUTE_PGM_RSRC2:TIDIG_COMP_CNT: 0
; COMPUTE_PGM_RSRC3_GFX90A:ACCUM_OFFSET: 10
; COMPUTE_PGM_RSRC3_GFX90A:TG_SPLIT: 0
	.section	.text._ZN2at6native12_GLOBAL__N_143distribution_elementwise_grid_stride_kernelImLi2EZZZNS0_9templates4cuda21random_from_to_kernelIPNS_17CUDAGeneratorImplEEEvRNS_18TensorIteratorBaseEmlT_ENKUlvE_clEvENKUlvE8_clEvEUlP25hiprandStatePhilox4_32_10E_ZNS1_27distribution_nullary_kernelIN3c108BFloat16Em15HIP_vector_typeIyLj2EES7_SF_ZZZNS5_IS7_EEvS9_mlSA_ENKSB_clEvENKSC_clEvEUlmE_EEvS9_T2_RKT3_T4_EUlimE_EEvlNS_15PhiloxCudaStateET1_SM_,"axG",@progbits,_ZN2at6native12_GLOBAL__N_143distribution_elementwise_grid_stride_kernelImLi2EZZZNS0_9templates4cuda21random_from_to_kernelIPNS_17CUDAGeneratorImplEEEvRNS_18TensorIteratorBaseEmlT_ENKUlvE_clEvENKUlvE8_clEvEUlP25hiprandStatePhilox4_32_10E_ZNS1_27distribution_nullary_kernelIN3c108BFloat16Em15HIP_vector_typeIyLj2EES7_SF_ZZZNS5_IS7_EEvS9_mlSA_ENKSB_clEvENKSC_clEvEUlmE_EEvS9_T2_RKT3_T4_EUlimE_EEvlNS_15PhiloxCudaStateET1_SM_,comdat
	.globl	_ZN2at6native12_GLOBAL__N_143distribution_elementwise_grid_stride_kernelImLi2EZZZNS0_9templates4cuda21random_from_to_kernelIPNS_17CUDAGeneratorImplEEEvRNS_18TensorIteratorBaseEmlT_ENKUlvE_clEvENKUlvE8_clEvEUlP25hiprandStatePhilox4_32_10E_ZNS1_27distribution_nullary_kernelIN3c108BFloat16Em15HIP_vector_typeIyLj2EES7_SF_ZZZNS5_IS7_EEvS9_mlSA_ENKSB_clEvENKSC_clEvEUlmE_EEvS9_T2_RKT3_T4_EUlimE_EEvlNS_15PhiloxCudaStateET1_SM_ ; -- Begin function _ZN2at6native12_GLOBAL__N_143distribution_elementwise_grid_stride_kernelImLi2EZZZNS0_9templates4cuda21random_from_to_kernelIPNS_17CUDAGeneratorImplEEEvRNS_18TensorIteratorBaseEmlT_ENKUlvE_clEvENKUlvE8_clEvEUlP25hiprandStatePhilox4_32_10E_ZNS1_27distribution_nullary_kernelIN3c108BFloat16Em15HIP_vector_typeIyLj2EES7_SF_ZZZNS5_IS7_EEvS9_mlSA_ENKSB_clEvENKSC_clEvEUlmE_EEvS9_T2_RKT3_T4_EUlimE_EEvlNS_15PhiloxCudaStateET1_SM_
	.p2align	8
	.type	_ZN2at6native12_GLOBAL__N_143distribution_elementwise_grid_stride_kernelImLi2EZZZNS0_9templates4cuda21random_from_to_kernelIPNS_17CUDAGeneratorImplEEEvRNS_18TensorIteratorBaseEmlT_ENKUlvE_clEvENKUlvE8_clEvEUlP25hiprandStatePhilox4_32_10E_ZNS1_27distribution_nullary_kernelIN3c108BFloat16Em15HIP_vector_typeIyLj2EES7_SF_ZZZNS5_IS7_EEvS9_mlSA_ENKSB_clEvENKSC_clEvEUlmE_EEvS9_T2_RKT3_T4_EUlimE_EEvlNS_15PhiloxCudaStateET1_SM_,@function
_ZN2at6native12_GLOBAL__N_143distribution_elementwise_grid_stride_kernelImLi2EZZZNS0_9templates4cuda21random_from_to_kernelIPNS_17CUDAGeneratorImplEEEvRNS_18TensorIteratorBaseEmlT_ENKUlvE_clEvENKUlvE8_clEvEUlP25hiprandStatePhilox4_32_10E_ZNS1_27distribution_nullary_kernelIN3c108BFloat16Em15HIP_vector_typeIyLj2EES7_SF_ZZZNS5_IS7_EEvS9_mlSA_ENKSB_clEvENKSC_clEvEUlmE_EEvS9_T2_RKT3_T4_EUlimE_EEvlNS_15PhiloxCudaStateET1_SM_: ; @_ZN2at6native12_GLOBAL__N_143distribution_elementwise_grid_stride_kernelImLi2EZZZNS0_9templates4cuda21random_from_to_kernelIPNS_17CUDAGeneratorImplEEEvRNS_18TensorIteratorBaseEmlT_ENKUlvE_clEvENKUlvE8_clEvEUlP25hiprandStatePhilox4_32_10E_ZNS1_27distribution_nullary_kernelIN3c108BFloat16Em15HIP_vector_typeIyLj2EES7_SF_ZZZNS5_IS7_EEvS9_mlSA_ENKSB_clEvENKSC_clEvEUlmE_EEvS9_T2_RKT3_T4_EUlimE_EEvlNS_15PhiloxCudaStateET1_SM_
; %bb.0:
	s_load_dword s2, s[4:5], 0x20
	s_load_dwordx2 s[0:1], s[4:5], 0x10
	s_load_dwordx4 s[8:11], s[4:5], 0x0
	s_waitcnt lgkmcnt(0)
	s_bitcmp0_b32 s2, 0
	s_mov_b32 s2, 0
	v_pk_mov_b32 v[2:3], s[0:1], s[0:1] op_sel:[0,1]
	v_pk_mov_b32 v[14:15], s[10:11], s[10:11] op_sel:[0,1]
	s_cbranch_scc1 .LBB36_2
; %bb.1:
	v_pk_mov_b32 v[2:3], s[0:1], s[0:1] op_sel:[0,1]
	flat_load_dwordx2 v[2:3], v[2:3]
	v_pk_mov_b32 v[4:5], s[10:11], s[10:11] op_sel:[0,1]
	flat_load_dwordx2 v[14:15], v[4:5]
	s_load_dwordx2 s[0:1], s[4:5], 0x18
	s_waitcnt lgkmcnt(0)
	v_mov_b32_e32 v1, s1
	s_waitcnt vmcnt(0)
	v_add_co_u32_e32 v2, vcc, s0, v2
	v_addc_co_u32_e32 v3, vcc, v3, v1, vcc
.LBB36_2:
	s_load_dword s0, s[4:5], 0x5c
	s_load_dword s18, s[4:5], 0x50
	s_waitcnt lgkmcnt(0)
	s_and_b32 s7, s0, 0xffff
	s_add_u32 s10, s8, -1
	s_mul_i32 s20, s18, s7
	s_addc_u32 s3, s9, -1
	s_lshl_b32 s21, s20, 1
	s_cmp_lg_u64 s[2:3], 0
	s_mov_b64 s[0:1], -1
	s_cbranch_scc0 .LBB36_31
; %bb.3:
	v_cvt_f32_u32_e32 v1, s21
	v_cvt_f32_ubyte0_e32 v4, 0
	s_sub_u32 s2, 0, s21
	s_subb_u32 s11, 0, 0
	v_madmk_f32 v1, v4, 0x4f800000, v1
	v_rcp_f32_e32 v1, v1
	v_mul_f32_e32 v1, 0x5f7ffffc, v1
	v_mul_f32_e32 v4, 0x2f800000, v1
	v_trunc_f32_e32 v4, v4
	v_madmk_f32 v1, v4, 0xcf800000, v1
	v_cvt_u32_f32_e32 v4, v4
	v_cvt_u32_f32_e32 v1, v1
	v_readfirstlane_b32 s12, v4
	v_readfirstlane_b32 s13, v1
	s_mul_i32 s14, s2, s12
	s_mul_hi_u32 s16, s2, s13
	s_mul_i32 s15, s11, s13
	s_add_i32 s14, s16, s14
	s_add_i32 s14, s14, s15
	s_mul_i32 s17, s2, s13
	s_mul_hi_u32 s15, s13, s14
	s_mul_i32 s16, s13, s14
	s_mul_hi_u32 s13, s13, s17
	s_add_u32 s13, s13, s16
	s_addc_u32 s15, 0, s15
	s_mul_hi_u32 s19, s12, s17
	s_mul_i32 s17, s12, s17
	s_add_u32 s13, s13, s17
	s_mul_hi_u32 s16, s12, s14
	s_addc_u32 s13, s15, s19
	s_addc_u32 s15, s16, 0
	s_mul_i32 s14, s12, s14
	s_add_u32 s13, s13, s14
	s_addc_u32 s14, 0, s15
	v_add_co_u32_e32 v1, vcc, s13, v1
	s_cmp_lg_u64 vcc, 0
	s_addc_u32 s12, s12, s14
	v_readfirstlane_b32 s14, v1
	s_mul_i32 s13, s2, s12
	s_mul_hi_u32 s15, s2, s14
	s_add_i32 s13, s15, s13
	s_mul_i32 s11, s11, s14
	s_add_i32 s13, s13, s11
	s_mul_i32 s2, s2, s14
	s_mul_hi_u32 s15, s12, s2
	s_mul_i32 s16, s12, s2
	s_mul_i32 s19, s14, s13
	s_mul_hi_u32 s2, s14, s2
	s_mul_hi_u32 s17, s14, s13
	s_add_u32 s2, s2, s19
	s_addc_u32 s14, 0, s17
	s_add_u32 s2, s2, s16
	s_mul_hi_u32 s11, s12, s13
	s_addc_u32 s2, s14, s15
	s_addc_u32 s11, s11, 0
	s_mul_i32 s13, s12, s13
	s_add_u32 s2, s2, s13
	s_addc_u32 s11, 0, s11
	v_add_co_u32_e32 v1, vcc, s2, v1
	s_cmp_lg_u64 vcc, 0
	s_addc_u32 s11, s12, s11
	s_ashr_i32 s12, s3, 31
	s_add_u32 s2, s10, s12
	s_mov_b32 s13, s12
	s_addc_u32 s3, s3, s12
	s_xor_b64 s[2:3], s[2:3], s[12:13]
	v_readfirstlane_b32 s16, v1
	s_mul_i32 s15, s2, s11
	s_mul_hi_u32 s17, s2, s16
	s_mul_hi_u32 s14, s2, s11
	s_add_u32 s15, s17, s15
	s_addc_u32 s14, 0, s14
	s_mul_hi_u32 s19, s3, s16
	s_mul_i32 s16, s3, s16
	s_add_u32 s15, s15, s16
	s_mul_hi_u32 s17, s3, s11
	s_addc_u32 s14, s14, s19
	s_addc_u32 s15, s17, 0
	s_mul_i32 s11, s3, s11
	s_add_u32 s11, s14, s11
	s_addc_u32 s14, 0, s15
	s_add_u32 s15, s11, 1
	s_addc_u32 s16, s14, 0
	s_add_u32 s17, s11, 2
	s_mul_i32 s22, s21, s14
	s_mul_hi_u32 s23, s21, s11
	s_addc_u32 s19, s14, 0
	s_add_i32 s23, s23, s22
	s_mul_i32 s22, s21, s11
	v_mov_b32_e32 v1, s22
	v_sub_co_u32_e32 v1, vcc, s2, v1
	s_cmp_lg_u64 vcc, 0
	s_subb_u32 s2, s3, s23
	v_subrev_co_u32_e32 v4, vcc, s21, v1
	s_cmp_lg_u64 vcc, 0
	s_subb_u32 s3, s2, 0
	v_readfirstlane_b32 s22, v4
	s_cmp_ge_u32 s22, s21
	s_cselect_b32 s22, -1, 0
	s_cmp_eq_u32 s3, 0
	s_cselect_b32 s3, s22, -1
	s_cmp_lg_u32 s3, 0
	s_cselect_b32 s3, s19, s16
	v_readfirstlane_b32 s16, v1
	s_cselect_b32 s15, s17, s15
	s_cmp_ge_u32 s16, s21
	s_cselect_b32 s16, -1, 0
	s_cmp_eq_u32 s2, 0
	s_cselect_b32 s2, s16, -1
	s_cmp_lg_u32 s2, 0
	s_cselect_b32 s3, s3, s14
	s_cselect_b32 s2, s15, s11
	s_xor_b64 s[2:3], s[2:3], s[12:13]
	s_sub_u32 s2, s2, s12
	s_subb_u32 s3, s3, s12
	s_cbranch_execnz .LBB36_5
.LBB36_4:
	v_cvt_f32_u32_e32 v1, s21
	s_sub_i32 s0, 0, s21
	s_mov_b32 s3, 0
	v_rcp_iflag_f32_e32 v1, v1
	v_mul_f32_e32 v1, 0x4f7ffffe, v1
	v_cvt_u32_f32_e32 v1, v1
	v_readfirstlane_b32 s1, v1
	s_mul_i32 s0, s0, s1
	s_mul_hi_u32 s0, s1, s0
	s_add_i32 s1, s1, s0
	s_mul_hi_u32 s0, s10, s1
	s_mul_i32 s2, s0, s21
	s_sub_i32 s2, s10, s2
	s_add_i32 s1, s0, 1
	s_sub_i32 s10, s2, s21
	s_cmp_ge_u32 s2, s21
	s_cselect_b32 s0, s1, s0
	s_cselect_b32 s2, s10, s2
	s_add_i32 s1, s0, 1
	s_cmp_ge_u32 s2, s21
	s_cselect_b32 s2, s1, s0
.LBB36_5:
	v_mov_b32_e32 v16, 0
	v_mov_b32_e32 v1, v16
	;; [unrolled: 1-line block ×3, first 2 shown]
	v_mad_u64_u32 v[18:19], s[0:1], s7, v4, v[0:1]
	s_add_u32 s0, s2, 1
	s_addc_u32 s1, s3, 0
	s_mul_hi_u32 s2, s18, s7
	s_mul_i32 s1, s20, s1
	s_mul_hi_u32 s3, s20, s0
	s_add_i32 s1, s3, s1
	s_mul_i32 s2, s2, s0
	s_add_i32 s1, s1, s2
	s_mul_i32 s0, s20, s0
	s_lshl_b64 s[10:11], s[0:1], 1
	v_cmp_gt_i64_e32 vcc, s[10:11], v[18:19]
	s_and_saveexec_b64 s[0:1], vcc
	s_cbranch_execz .LBB36_30
; %bb.6:
	v_mov_b32_e32 v4, v15
	s_mov_b32 s0, 0xdb3d7428
	v_add_co_u32_e32 v23, vcc, s0, v4
	s_mov_b32 s0, 0x5384540f
	v_add_co_u32_e32 v24, vcc, s0, v14
	;; [unrolled: 2-line block ×7, first 2 shown]
	s_mov_b32 s0, 0x9e3779b9
	v_alignbit_b32 v31, v3, v2, 2
	s_mov_b32 s23, 0xd2511f53
	v_add_co_u32_e32 v30, vcc, s0, v14
	v_mad_u64_u32 v[6:7], s[0:1], v31, s23, 0
	v_xor_b32_e32 v1, v7, v15
	v_xor_b32_e32 v1, v1, v19
	s_mov_b32 s24, 0xcd9e8d57
	v_mad_u64_u32 v[8:9], s[0:1], v1, s24, 0
	v_xor_b32_e32 v1, v30, v9
	v_mad_u64_u32 v[10:11], s[0:1], v18, s24, 0
	v_and_b32_e32 v20, 3, v2
	v_xor_b32_e32 v1, v1, v10
	v_xor_b32_e32 v2, v14, v11
	v_lshrrev_b32_e32 v32, 2, v3
	v_mad_u64_u32 v[12:13], s[0:1], v1, s23, 0
	v_xor_b32_e32 v2, v2, v32
	v_xor_b32_e32 v1, v29, v13
	v_mad_u64_u32 v[2:3], s[0:1], v2, s23, 0
	v_xor_b32_e32 v1, v1, v2
	v_mad_u64_u32 v[10:11], s[0:1], v1, s24, 0
	s_mov_b32 s0, 0xbb67ae85
	v_add_co_u32_e32 v33, vcc, s0, v4
	v_xor_b32_e32 v2, v33, v3
	v_xor_b32_e32 v2, v2, v6
	v_xor_b32_e32 v1, v28, v11
	v_mad_u64_u32 v[2:3], s[0:1], v2, s24, 0
	v_xor_b32_e32 v1, v1, v2
	v_mad_u64_u32 v[6:7], s[0:1], v1, s23, 0
	s_mov_b32 s0, 0x3c6ef372
	v_add_co_u32_e32 v34, vcc, s0, v14
	v_xor_b32_e32 v2, v34, v3
	;; [unrolled: 8-line block ×7, first 2 shown]
	v_xor_b32_e32 v1, v1, v12
	v_mad_u64_u32 v[2:3], s[0:1], v1, s24, 0
	s_mov_b32 s0, 0xf1bbcdc8
	v_add_u32_e32 v21, 0x8ff34781, v14
	v_xor_b32_e32 v1, v9, v2
	v_add_co_u32_e32 v40, vcc, s0, v14
	s_load_dwordx2 s[16:17], s[4:5], 0x30
	s_load_dword s2, s[4:5], 0x38
	s_load_dwordx4 s[12:15], s[4:5], 0x40
	v_xor_b32_e32 v2, v21, v1
	v_xor_b32_e32 v1, v40, v3
	;; [unrolled: 1-line block ×3, first 2 shown]
	v_mad_u64_u32 v[10:11], s[0:1], v1, s23, 0
	v_add_u32_e32 v22, 0x96a522ad, v15
	v_xor_b32_e32 v1, v11, v6
	s_mul_i32 s0, s6, s7
	v_xor_b32_e32 v4, v22, v1
	v_add_u32_e32 v1, s0, v0
	s_waitcnt lgkmcnt(0)
	s_mul_i32 s0, s18, s2
	s_mul_i32 s0, s0, s7
	s_lshl_b32 s25, s0, 1
	s_add_i32 s0, s6, s18
	s_mul_i32 s0, s0, s7
	s_mov_b32 s22, 0
	v_add_u32_e32 v0, s0, v0
	v_mov_b32_e32 v3, v8
	v_mov_b32_e32 v5, v10
	v_mul_lo_u32 v41, s2, v1
	v_mul_lo_u32 v42, s2, v0
	s_mov_b64 s[4:5], 0
	s_movk_i32 s26, 0x7fff
	s_mov_b32 s27, s22
	v_mov_b32_e32 v43, v18
	v_mov_b32_e32 v44, v19
	s_branch .LBB36_9
.LBB36_7:                               ;   in Loop: Header=BB36_9 Depth=1
	s_or_b64 exec, exec, s[0:1]
	v_mov_b32_e32 v3, s15
	v_add_co_u32_e32 v2, vcc, s14, v10
	v_addc_co_u32_e32 v3, vcc, v11, v3, vcc
	v_xor_b32_e32 v9, v2, v3
	v_ashrrev_i32_e32 v9, 31, v9
	v_ffbh_i32_e32 v10, v3
	v_add_u32_e32 v9, 32, v9
	v_add_u32_e32 v10, -1, v10
	v_min_u32_e32 v9, v10, v9
	v_lshlrev_b64 v[2:3], v9, v[2:3]
	v_min_u32_e32 v2, 1, v2
	v_or_b32_e32 v2, v3, v2
	v_cvt_f32_i32_e32 v10, v2
	v_add_u32_e32 v1, s27, v42
	v_ashrrev_i32_e32 v4, 31, v1
	v_add_co_u32_e32 v2, vcc, s16, v1
	v_sub_u32_e32 v1, 32, v9
	v_mov_b32_e32 v5, s17
	v_ldexp_f32 v1, v10, v1
	v_addc_co_u32_e32 v3, vcc, v5, v4, vcc
	v_bfe_u32 v4, v1, 16, 1
	v_add3_u32 v1, v1, v4, s26
	global_store_short_d16_hi v[2:3], v1, off
.LBB36_8:                               ;   in Loop: Header=BB36_9 Depth=1
	s_or_b64 exec, exec, s[6:7]
	v_add_co_u32_e32 v18, vcc, s21, v18
	v_addc_co_u32_e32 v19, vcc, 0, v19, vcc
	v_mov_b32_e32 v9, v0
	s_add_i32 s27, s27, s25
	v_cmp_le_i64_e32 vcc, s[10:11], v[18:19]
	v_pk_mov_b32 v[2:3], v[6:7], v[6:7] op_sel:[0,1]
	s_or_b64 s[4:5], vcc, s[4:5]
	v_pk_mov_b32 v[4:5], v[8:9], v[8:9] op_sel:[0,1]
	s_barrier
	s_andn2_b64 exec, exec, s[4:5]
	s_cbranch_execz .LBB36_30
.LBB36_9:                               ; =>This Inner Loop Header: Depth=1
	v_add_co_u32_e32 v31, vcc, 1, v31
	v_cndmask_b32_e64 v0, 0, 1, vcc
	v_addc_co_u32_e32 v32, vcc, 0, v32, vcc
	v_cmp_eq_u32_e32 vcc, 0, v32
	v_cndmask_b32_e32 v0, 0, v0, vcc
	v_add_u32_e32 v43, v0, v43
	v_cmp_eq_u32_e32 vcc, 0, v43
	v_cndmask_b32_e32 v0, 0, v0, vcc
	v_add_u32_e32 v44, v0, v44
	v_mad_u64_u32 v[0:1], s[0:1], v31, s23, 0
	v_mad_u64_u32 v[6:7], s[0:1], v43, s24, 0
	v_xor_b32_e32 v1, v1, v15
	v_xor_b32_e32 v7, v7, v14
	v_xor_b32_e32 v1, v44, v1
	v_xor_b32_e32 v7, v32, v7
	v_mad_u64_u32 v[10:11], s[0:1], v1, s24, 0
	v_mad_u64_u32 v[8:9], s[0:1], v7, s23, 0
	v_xor_b32_e32 v1, v30, v11
	v_xor_b32_e32 v1, v1, v6
	v_xor_b32_e32 v6, v33, v9
	v_xor_b32_e32 v6, v6, v0
	;; [unrolled: 6-line block ×10, first 2 shown]
	v_mov_b32_e32 v7, v12
	v_mov_b32_e32 v8, v13
	v_cmp_lt_i32_e32 vcc, 1, v20
	s_and_saveexec_b64 s[0:1], vcc
	s_xor_b64 s[0:1], exec, s[0:1]
	s_cbranch_execnz .LBB36_12
; %bb.10:                               ;   in Loop: Header=BB36_9 Depth=1
	s_andn2_saveexec_b64 s[0:1], s[0:1]
	s_cbranch_execnz .LBB36_17
.LBB36_11:                              ;   in Loop: Header=BB36_9 Depth=1
	s_or_b64 exec, exec, s[0:1]
	v_cmp_gt_i64_e32 vcc, s[8:9], v[18:19]
	s_and_saveexec_b64 s[6:7], vcc
	s_cbranch_execnz .LBB36_20
	s_branch .LBB36_25
.LBB36_12:                              ;   in Loop: Header=BB36_9 Depth=1
	v_cmp_lt_i32_e32 vcc, 2, v20
	s_and_saveexec_b64 s[2:3], vcc
	s_xor_b64 s[2:3], exec, s[2:3]
; %bb.13:                               ;   in Loop: Header=BB36_9 Depth=1
	v_mov_b32_e32 v10, v5
	v_mov_b32_e32 v11, v6
	v_pk_mov_b32 v[2:3], v[10:11], v[10:11] op_sel:[0,1]
	v_pk_mov_b32 v[4:5], v[12:13], v[12:13] op_sel:[0,1]
                                        ; implicit-def: $vgpr12_vgpr13
; %bb.14:                               ;   in Loop: Header=BB36_9 Depth=1
	s_andn2_saveexec_b64 s[2:3], s[2:3]
; %bb.15:                               ;   in Loop: Header=BB36_9 Depth=1
	v_mov_b32_e32 v2, v4
	v_mov_b32_e32 v3, v5
	;; [unrolled: 1-line block ×4, first 2 shown]
; %bb.16:                               ;   in Loop: Header=BB36_9 Depth=1
	s_or_b64 exec, exec, s[2:3]
	s_andn2_saveexec_b64 s[0:1], s[0:1]
	s_cbranch_execz .LBB36_11
.LBB36_17:                              ;   in Loop: Header=BB36_9 Depth=1
	v_cmp_eq_u32_e32 vcc, 1, v20
	s_and_saveexec_b64 s[2:3], vcc
; %bb.18:                               ;   in Loop: Header=BB36_9 Depth=1
	v_mov_b32_e32 v2, v3
	v_mov_b32_e32 v3, v4
	;; [unrolled: 1-line block ×4, first 2 shown]
; %bb.19:                               ;   in Loop: Header=BB36_9 Depth=1
	s_or_b64 exec, exec, s[2:3]
	s_or_b64 exec, exec, s[0:1]
	v_cmp_gt_i64_e32 vcc, s[8:9], v[18:19]
	s_and_saveexec_b64 s[6:7], vcc
	s_cbranch_execz .LBB36_25
.LBB36_20:                              ;   in Loop: Header=BB36_9 Depth=1
	v_or_b32_e32 v17, s13, v2
	v_cmp_ne_u64_e32 vcc, 0, v[16:17]
                                        ; implicit-def: $vgpr10_vgpr11
	s_and_saveexec_b64 s[0:1], vcc
	s_xor_b64 s[18:19], exec, s[0:1]
	s_cbranch_execz .LBB36_22
; %bb.21:                               ;   in Loop: Header=BB36_9 Depth=1
	v_cvt_f32_u32_e32 v1, s12
	v_cvt_f32_u32_e32 v9, s13
	s_sub_u32 s0, 0, s12
	s_subb_u32 s1, 0, s13
	v_mac_f32_e32 v1, 0x4f800000, v9
	v_rcp_f32_e32 v1, v1
	v_mul_f32_e32 v1, 0x5f7ffffc, v1
	v_mul_f32_e32 v9, 0x2f800000, v1
	v_trunc_f32_e32 v9, v9
	v_mac_f32_e32 v1, 0xcf800000, v9
	v_cvt_u32_f32_e32 v9, v9
	v_cvt_u32_f32_e32 v1, v1
	v_mul_lo_u32 v10, s0, v9
	v_mul_hi_u32 v12, s0, v1
	v_mul_lo_u32 v11, s1, v1
	v_add_u32_e32 v10, v12, v10
	v_mul_lo_u32 v13, s0, v1
	v_add_u32_e32 v10, v10, v11
	v_mul_hi_u32 v12, v1, v13
	v_mul_lo_u32 v17, v1, v10
	v_mul_hi_u32 v11, v1, v10
	v_add_co_u32_e32 v12, vcc, v12, v17
	v_addc_co_u32_e32 v11, vcc, 0, v11, vcc
	v_mul_hi_u32 v45, v9, v13
	v_mul_lo_u32 v13, v9, v13
	v_add_co_u32_e32 v12, vcc, v12, v13
	v_mul_hi_u32 v17, v9, v10
	v_addc_co_u32_e32 v11, vcc, v11, v45, vcc
	v_addc_co_u32_e32 v12, vcc, 0, v17, vcc
	v_mul_lo_u32 v10, v9, v10
	v_add_co_u32_e32 v10, vcc, v11, v10
	v_addc_co_u32_e32 v11, vcc, 0, v12, vcc
	v_add_co_u32_e32 v1, vcc, v1, v10
	v_addc_co_u32_e32 v9, vcc, v9, v11, vcc
	v_mul_lo_u32 v10, s0, v9
	v_mul_hi_u32 v11, s0, v1
	v_add_u32_e32 v10, v11, v10
	v_mul_lo_u32 v11, s1, v1
	v_add_u32_e32 v10, v10, v11
	v_mul_lo_u32 v12, s0, v1
	v_mul_hi_u32 v13, v9, v12
	v_mul_lo_u32 v17, v9, v12
	v_mul_lo_u32 v46, v1, v10
	v_mul_hi_u32 v12, v1, v12
	v_mul_hi_u32 v45, v1, v10
	v_add_co_u32_e32 v12, vcc, v12, v46
	v_addc_co_u32_e32 v45, vcc, 0, v45, vcc
	v_add_co_u32_e32 v12, vcc, v12, v17
	v_mul_hi_u32 v11, v9, v10
	v_addc_co_u32_e32 v12, vcc, v45, v13, vcc
	v_addc_co_u32_e32 v11, vcc, 0, v11, vcc
	v_mul_lo_u32 v10, v9, v10
	v_add_co_u32_e32 v10, vcc, v12, v10
	v_addc_co_u32_e32 v11, vcc, 0, v11, vcc
	v_add_co_u32_e32 v1, vcc, v1, v10
	v_addc_co_u32_e32 v9, vcc, v9, v11, vcc
	v_mad_u64_u32 v[10:11], s[0:1], v3, v9, 0
	v_mul_hi_u32 v12, v3, v1
	v_add_co_u32_e32 v17, vcc, v12, v10
	v_addc_co_u32_e32 v45, vcc, 0, v11, vcc
	v_mad_u64_u32 v[12:13], s[0:1], v2, v1, 0
	v_add_co_u32_e32 v1, vcc, v17, v12
	v_mad_u64_u32 v[10:11], s[0:1], v2, v9, 0
	v_addc_co_u32_e32 v1, vcc, v45, v13, vcc
	v_addc_co_u32_e32 v9, vcc, 0, v11, vcc
	v_add_co_u32_e32 v1, vcc, v1, v10
	v_addc_co_u32_e32 v9, vcc, 0, v9, vcc
	v_mul_lo_u32 v12, s13, v1
	v_mul_lo_u32 v9, s12, v9
	v_mad_u64_u32 v[10:11], s[0:1], s12, v1, 0
	v_add3_u32 v1, v11, v9, v12
	v_sub_u32_e32 v9, v2, v1
	v_mov_b32_e32 v11, s13
	v_sub_co_u32_e32 v10, vcc, v3, v10
	v_subb_co_u32_e64 v9, s[0:1], v9, v11, vcc
	v_subrev_co_u32_e64 v12, s[0:1], s12, v10
	v_subbrev_co_u32_e64 v13, s[2:3], 0, v9, s[0:1]
	v_cmp_le_u32_e64 s[2:3], s13, v13
	v_cndmask_b32_e64 v17, 0, -1, s[2:3]
	v_cmp_le_u32_e64 s[2:3], s12, v12
	v_subb_co_u32_e32 v1, vcc, v2, v1, vcc
	v_cndmask_b32_e64 v45, 0, -1, s[2:3]
	v_cmp_eq_u32_e64 s[2:3], s13, v13
	v_subb_co_u32_e64 v9, s[0:1], v9, v11, s[0:1]
	v_cmp_le_u32_e32 vcc, s13, v1
	v_cndmask_b32_e64 v17, v17, v45, s[2:3]
	v_subrev_co_u32_e64 v45, s[0:1], s12, v12
	v_cndmask_b32_e64 v2, 0, -1, vcc
	v_cmp_le_u32_e32 vcc, s12, v10
	v_subbrev_co_u32_e64 v9, s[0:1], 0, v9, s[0:1]
	v_cndmask_b32_e64 v11, 0, -1, vcc
	v_cmp_eq_u32_e32 vcc, s13, v1
	v_cmp_ne_u32_e64 s[0:1], 0, v17
	v_cndmask_b32_e32 v2, v2, v11, vcc
	v_cndmask_b32_e64 v9, v13, v9, s[0:1]
	v_cmp_ne_u32_e32 vcc, 0, v2
	v_cndmask_b32_e32 v11, v1, v9, vcc
	v_cndmask_b32_e64 v1, v12, v45, s[0:1]
	v_cndmask_b32_e32 v10, v10, v1, vcc
.LBB36_22:                              ;   in Loop: Header=BB36_9 Depth=1
	s_andn2_saveexec_b64 s[0:1], s[18:19]
	s_cbranch_execz .LBB36_24
; %bb.23:                               ;   in Loop: Header=BB36_9 Depth=1
	v_cvt_f32_u32_e32 v1, s12
	s_sub_i32 s2, 0, s12
	v_mov_b32_e32 v11, v16
	v_rcp_iflag_f32_e32 v1, v1
	v_mul_f32_e32 v1, 0x4f7ffffe, v1
	v_cvt_u32_f32_e32 v1, v1
	v_mul_lo_u32 v2, s2, v1
	v_mul_hi_u32 v2, v1, v2
	v_add_u32_e32 v1, v1, v2
	v_mul_hi_u32 v1, v3, v1
	v_mul_lo_u32 v1, v1, s12
	v_sub_u32_e32 v1, v3, v1
	v_subrev_u32_e32 v2, s12, v1
	v_cmp_le_u32_e32 vcc, s12, v1
	v_cndmask_b32_e32 v1, v1, v2, vcc
	v_subrev_u32_e32 v2, s12, v1
	v_cmp_le_u32_e32 vcc, s12, v1
	v_cndmask_b32_e32 v10, v1, v2, vcc
.LBB36_24:                              ;   in Loop: Header=BB36_9 Depth=1
	s_or_b64 exec, exec, s[0:1]
	v_mov_b32_e32 v3, s15
	v_add_co_u32_e32 v2, vcc, s14, v10
	v_addc_co_u32_e32 v3, vcc, v11, v3, vcc
	v_xor_b32_e32 v10, v2, v3
	v_ashrrev_i32_e32 v10, 31, v10
	v_ffbh_i32_e32 v11, v3
	v_add_u32_e32 v10, 32, v10
	v_add_u32_e32 v11, -1, v11
	v_min_u32_e32 v10, v11, v10
	v_lshlrev_b64 v[2:3], v10, v[2:3]
	v_min_u32_e32 v2, 1, v2
	v_or_b32_e32 v2, v3, v2
	v_cvt_f32_i32_e32 v11, v2
	v_add_u32_e32 v1, s27, v41
	v_ashrrev_i32_e32 v9, 31, v1
	v_add_co_u32_e32 v2, vcc, s16, v1
	v_sub_u32_e32 v1, 32, v10
	v_mov_b32_e32 v12, s17
	v_ldexp_f32 v1, v11, v1
	v_addc_co_u32_e32 v3, vcc, v12, v9, vcc
	v_bfe_u32 v9, v1, 16, 1
	v_add3_u32 v1, v1, v9, s26
	global_store_short_d16_hi v[2:3], v1, off
.LBB36_25:                              ;   in Loop: Header=BB36_9 Depth=1
	s_or_b64 exec, exec, s[6:7]
	v_mov_b32_e32 v1, s22
	v_add_co_u32_e32 v2, vcc, s20, v18
	v_addc_co_u32_e32 v3, vcc, v1, v19, vcc
	v_cmp_gt_i64_e32 vcc, s[8:9], v[2:3]
	s_and_saveexec_b64 s[6:7], vcc
	s_cbranch_execz .LBB36_8
; %bb.26:                               ;   in Loop: Header=BB36_9 Depth=1
	v_or_b32_e32 v17, s13, v4
	v_cmp_ne_u64_e32 vcc, 0, v[16:17]
                                        ; implicit-def: $vgpr10_vgpr11
	s_and_saveexec_b64 s[0:1], vcc
	s_xor_b64 s[18:19], exec, s[0:1]
	s_cbranch_execz .LBB36_28
; %bb.27:                               ;   in Loop: Header=BB36_9 Depth=1
	v_cvt_f32_u32_e32 v1, s12
	v_cvt_f32_u32_e32 v2, s13
	s_sub_u32 s0, 0, s12
	s_subb_u32 s1, 0, s13
	v_mac_f32_e32 v1, 0x4f800000, v2
	v_rcp_f32_e32 v1, v1
	v_mul_f32_e32 v1, 0x5f7ffffc, v1
	v_mul_f32_e32 v2, 0x2f800000, v1
	v_trunc_f32_e32 v2, v2
	v_mac_f32_e32 v1, 0xcf800000, v2
	v_cvt_u32_f32_e32 v2, v2
	v_cvt_u32_f32_e32 v1, v1
	v_mul_lo_u32 v3, s0, v2
	v_mul_hi_u32 v10, s0, v1
	v_mul_lo_u32 v9, s1, v1
	v_add_u32_e32 v3, v10, v3
	v_mul_lo_u32 v11, s0, v1
	v_add_u32_e32 v3, v3, v9
	v_mul_hi_u32 v10, v1, v11
	v_mul_lo_u32 v12, v1, v3
	v_mul_hi_u32 v9, v1, v3
	v_add_co_u32_e32 v10, vcc, v10, v12
	v_addc_co_u32_e32 v9, vcc, 0, v9, vcc
	v_mul_hi_u32 v13, v2, v11
	v_mul_lo_u32 v11, v2, v11
	v_add_co_u32_e32 v10, vcc, v10, v11
	v_mul_hi_u32 v12, v2, v3
	v_addc_co_u32_e32 v9, vcc, v9, v13, vcc
	v_addc_co_u32_e32 v10, vcc, 0, v12, vcc
	v_mul_lo_u32 v3, v2, v3
	v_add_co_u32_e32 v3, vcc, v9, v3
	v_addc_co_u32_e32 v9, vcc, 0, v10, vcc
	v_add_co_u32_e32 v1, vcc, v1, v3
	v_addc_co_u32_e32 v2, vcc, v2, v9, vcc
	v_mul_lo_u32 v3, s0, v2
	v_mul_hi_u32 v9, s0, v1
	v_add_u32_e32 v3, v9, v3
	v_mul_lo_u32 v9, s1, v1
	v_add_u32_e32 v3, v3, v9
	v_mul_lo_u32 v10, s0, v1
	v_mul_hi_u32 v11, v2, v10
	v_mul_lo_u32 v12, v2, v10
	v_mul_lo_u32 v17, v1, v3
	v_mul_hi_u32 v10, v1, v10
	v_mul_hi_u32 v13, v1, v3
	v_add_co_u32_e32 v10, vcc, v10, v17
	v_addc_co_u32_e32 v13, vcc, 0, v13, vcc
	v_add_co_u32_e32 v10, vcc, v10, v12
	v_mul_hi_u32 v9, v2, v3
	v_addc_co_u32_e32 v10, vcc, v13, v11, vcc
	v_addc_co_u32_e32 v9, vcc, 0, v9, vcc
	v_mul_lo_u32 v3, v2, v3
	v_add_co_u32_e32 v3, vcc, v10, v3
	v_addc_co_u32_e32 v9, vcc, 0, v9, vcc
	v_add_co_u32_e32 v1, vcc, v1, v3
	v_addc_co_u32_e32 v9, vcc, v2, v9, vcc
	v_mad_u64_u32 v[2:3], s[0:1], v5, v9, 0
	v_mul_hi_u32 v10, v5, v1
	v_add_co_u32_e32 v12, vcc, v10, v2
	v_addc_co_u32_e32 v13, vcc, 0, v3, vcc
	v_mad_u64_u32 v[10:11], s[0:1], v4, v1, 0
	v_add_co_u32_e32 v1, vcc, v12, v10
	v_mad_u64_u32 v[2:3], s[0:1], v4, v9, 0
	v_addc_co_u32_e32 v1, vcc, v13, v11, vcc
	v_addc_co_u32_e32 v3, vcc, 0, v3, vcc
	v_add_co_u32_e32 v1, vcc, v1, v2
	v_addc_co_u32_e32 v2, vcc, 0, v3, vcc
	v_mul_lo_u32 v9, s13, v1
	v_mul_lo_u32 v10, s12, v2
	v_mad_u64_u32 v[2:3], s[0:1], s12, v1, 0
	v_add3_u32 v1, v3, v10, v9
	v_sub_u32_e32 v3, v4, v1
	v_mov_b32_e32 v9, s13
	v_sub_co_u32_e32 v2, vcc, v5, v2
	v_subb_co_u32_e64 v3, s[0:1], v3, v9, vcc
	v_subrev_co_u32_e64 v5, s[0:1], s12, v2
	v_subbrev_co_u32_e64 v10, s[2:3], 0, v3, s[0:1]
	v_cmp_le_u32_e64 s[2:3], s13, v10
	v_cndmask_b32_e64 v11, 0, -1, s[2:3]
	v_cmp_le_u32_e64 s[2:3], s12, v5
	v_subb_co_u32_e64 v3, s[0:1], v3, v9, s[0:1]
	v_cndmask_b32_e64 v12, 0, -1, s[2:3]
	v_cmp_eq_u32_e64 s[2:3], s13, v10
	v_subrev_co_u32_e64 v9, s[0:1], s12, v5
	v_subb_co_u32_e32 v1, vcc, v4, v1, vcc
	v_cndmask_b32_e64 v11, v11, v12, s[2:3]
	v_subbrev_co_u32_e64 v3, s[0:1], 0, v3, s[0:1]
	v_cmp_le_u32_e32 vcc, s13, v1
	v_cmp_ne_u32_e64 s[0:1], 0, v11
	v_cndmask_b32_e64 v4, 0, -1, vcc
	v_cmp_le_u32_e32 vcc, s12, v2
	v_cndmask_b32_e64 v3, v10, v3, s[0:1]
	v_cndmask_b32_e64 v10, 0, -1, vcc
	v_cmp_eq_u32_e32 vcc, s13, v1
	v_cndmask_b32_e32 v4, v4, v10, vcc
	v_cmp_ne_u32_e32 vcc, 0, v4
	v_cndmask_b32_e32 v11, v1, v3, vcc
	v_cndmask_b32_e64 v1, v5, v9, s[0:1]
	v_cndmask_b32_e32 v10, v2, v1, vcc
                                        ; implicit-def: $vgpr2_vgpr3_vgpr4_vgpr5
.LBB36_28:                              ;   in Loop: Header=BB36_9 Depth=1
	s_andn2_saveexec_b64 s[0:1], s[18:19]
	s_cbranch_execz .LBB36_7
; %bb.29:                               ;   in Loop: Header=BB36_9 Depth=1
	v_cvt_f32_u32_e32 v1, s12
	s_sub_i32 s2, 0, s12
	v_mov_b32_e32 v11, v16
	v_rcp_iflag_f32_e32 v1, v1
	v_mul_f32_e32 v1, 0x4f7ffffe, v1
	v_cvt_u32_f32_e32 v1, v1
	v_mul_lo_u32 v2, s2, v1
	v_mul_hi_u32 v2, v1, v2
	v_add_u32_e32 v1, v1, v2
	v_mul_hi_u32 v1, v5, v1
	v_mul_lo_u32 v1, v1, s12
	v_sub_u32_e32 v1, v5, v1
	v_subrev_u32_e32 v2, s12, v1
	v_cmp_le_u32_e32 vcc, s12, v1
	v_cndmask_b32_e32 v1, v1, v2, vcc
	v_subrev_u32_e32 v2, s12, v1
	v_cmp_le_u32_e32 vcc, s12, v1
	v_cndmask_b32_e32 v10, v1, v2, vcc
	s_branch .LBB36_7
.LBB36_30:
	s_endpgm
.LBB36_31:
                                        ; implicit-def: $sgpr2_sgpr3
	s_andn2_b64 vcc, exec, s[0:1]
	s_cbranch_vccz .LBB36_4
	s_branch .LBB36_5
	.section	.rodata,"a",@progbits
	.p2align	6, 0x0
	.amdhsa_kernel _ZN2at6native12_GLOBAL__N_143distribution_elementwise_grid_stride_kernelImLi2EZZZNS0_9templates4cuda21random_from_to_kernelIPNS_17CUDAGeneratorImplEEEvRNS_18TensorIteratorBaseEmlT_ENKUlvE_clEvENKUlvE8_clEvEUlP25hiprandStatePhilox4_32_10E_ZNS1_27distribution_nullary_kernelIN3c108BFloat16Em15HIP_vector_typeIyLj2EES7_SF_ZZZNS5_IS7_EEvS9_mlSA_ENKSB_clEvENKSC_clEvEUlmE_EEvS9_T2_RKT3_T4_EUlimE_EEvlNS_15PhiloxCudaStateET1_SM_
		.amdhsa_group_segment_fixed_size 0
		.amdhsa_private_segment_fixed_size 0
		.amdhsa_kernarg_size 336
		.amdhsa_user_sgpr_count 6
		.amdhsa_user_sgpr_private_segment_buffer 1
		.amdhsa_user_sgpr_dispatch_ptr 0
		.amdhsa_user_sgpr_queue_ptr 0
		.amdhsa_user_sgpr_kernarg_segment_ptr 1
		.amdhsa_user_sgpr_dispatch_id 0
		.amdhsa_user_sgpr_flat_scratch_init 0
		.amdhsa_user_sgpr_kernarg_preload_length 0
		.amdhsa_user_sgpr_kernarg_preload_offset 0
		.amdhsa_user_sgpr_private_segment_size 0
		.amdhsa_uses_dynamic_stack 0
		.amdhsa_system_sgpr_private_segment_wavefront_offset 0
		.amdhsa_system_sgpr_workgroup_id_x 1
		.amdhsa_system_sgpr_workgroup_id_y 0
		.amdhsa_system_sgpr_workgroup_id_z 0
		.amdhsa_system_sgpr_workgroup_info 0
		.amdhsa_system_vgpr_workitem_id 0
		.amdhsa_next_free_vgpr 48
		.amdhsa_next_free_sgpr 28
		.amdhsa_accum_offset 48
		.amdhsa_reserve_vcc 1
		.amdhsa_reserve_flat_scratch 0
		.amdhsa_float_round_mode_32 0
		.amdhsa_float_round_mode_16_64 0
		.amdhsa_float_denorm_mode_32 3
		.amdhsa_float_denorm_mode_16_64 3
		.amdhsa_dx10_clamp 1
		.amdhsa_ieee_mode 1
		.amdhsa_fp16_overflow 0
		.amdhsa_tg_split 0
		.amdhsa_exception_fp_ieee_invalid_op 0
		.amdhsa_exception_fp_denorm_src 0
		.amdhsa_exception_fp_ieee_div_zero 0
		.amdhsa_exception_fp_ieee_overflow 0
		.amdhsa_exception_fp_ieee_underflow 0
		.amdhsa_exception_fp_ieee_inexact 0
		.amdhsa_exception_int_div_zero 0
	.end_amdhsa_kernel
	.section	.text._ZN2at6native12_GLOBAL__N_143distribution_elementwise_grid_stride_kernelImLi2EZZZNS0_9templates4cuda21random_from_to_kernelIPNS_17CUDAGeneratorImplEEEvRNS_18TensorIteratorBaseEmlT_ENKUlvE_clEvENKUlvE8_clEvEUlP25hiprandStatePhilox4_32_10E_ZNS1_27distribution_nullary_kernelIN3c108BFloat16Em15HIP_vector_typeIyLj2EES7_SF_ZZZNS5_IS7_EEvS9_mlSA_ENKSB_clEvENKSC_clEvEUlmE_EEvS9_T2_RKT3_T4_EUlimE_EEvlNS_15PhiloxCudaStateET1_SM_,"axG",@progbits,_ZN2at6native12_GLOBAL__N_143distribution_elementwise_grid_stride_kernelImLi2EZZZNS0_9templates4cuda21random_from_to_kernelIPNS_17CUDAGeneratorImplEEEvRNS_18TensorIteratorBaseEmlT_ENKUlvE_clEvENKUlvE8_clEvEUlP25hiprandStatePhilox4_32_10E_ZNS1_27distribution_nullary_kernelIN3c108BFloat16Em15HIP_vector_typeIyLj2EES7_SF_ZZZNS5_IS7_EEvS9_mlSA_ENKSB_clEvENKSC_clEvEUlmE_EEvS9_T2_RKT3_T4_EUlimE_EEvlNS_15PhiloxCudaStateET1_SM_,comdat
.Lfunc_end36:
	.size	_ZN2at6native12_GLOBAL__N_143distribution_elementwise_grid_stride_kernelImLi2EZZZNS0_9templates4cuda21random_from_to_kernelIPNS_17CUDAGeneratorImplEEEvRNS_18TensorIteratorBaseEmlT_ENKUlvE_clEvENKUlvE8_clEvEUlP25hiprandStatePhilox4_32_10E_ZNS1_27distribution_nullary_kernelIN3c108BFloat16Em15HIP_vector_typeIyLj2EES7_SF_ZZZNS5_IS7_EEvS9_mlSA_ENKSB_clEvENKSC_clEvEUlmE_EEvS9_T2_RKT3_T4_EUlimE_EEvlNS_15PhiloxCudaStateET1_SM_, .Lfunc_end36-_ZN2at6native12_GLOBAL__N_143distribution_elementwise_grid_stride_kernelImLi2EZZZNS0_9templates4cuda21random_from_to_kernelIPNS_17CUDAGeneratorImplEEEvRNS_18TensorIteratorBaseEmlT_ENKUlvE_clEvENKUlvE8_clEvEUlP25hiprandStatePhilox4_32_10E_ZNS1_27distribution_nullary_kernelIN3c108BFloat16Em15HIP_vector_typeIyLj2EES7_SF_ZZZNS5_IS7_EEvS9_mlSA_ENKSB_clEvENKSC_clEvEUlmE_EEvS9_T2_RKT3_T4_EUlimE_EEvlNS_15PhiloxCudaStateET1_SM_
                                        ; -- End function
	.section	.AMDGPU.csdata,"",@progbits
; Kernel info:
; codeLenInByte = 3796
; NumSgprs: 32
; NumVgprs: 48
; NumAgprs: 0
; TotalNumVgprs: 48
; ScratchSize: 0
; MemoryBound: 0
; FloatMode: 240
; IeeeMode: 1
; LDSByteSize: 0 bytes/workgroup (compile time only)
; SGPRBlocks: 3
; VGPRBlocks: 5
; NumSGPRsForWavesPerEU: 32
; NumVGPRsForWavesPerEU: 48
; AccumOffset: 48
; Occupancy: 8
; WaveLimiterHint : 0
; COMPUTE_PGM_RSRC2:SCRATCH_EN: 0
; COMPUTE_PGM_RSRC2:USER_SGPR: 6
; COMPUTE_PGM_RSRC2:TRAP_HANDLER: 0
; COMPUTE_PGM_RSRC2:TGID_X_EN: 1
; COMPUTE_PGM_RSRC2:TGID_Y_EN: 0
; COMPUTE_PGM_RSRC2:TGID_Z_EN: 0
; COMPUTE_PGM_RSRC2:TIDIG_COMP_CNT: 0
; COMPUTE_PGM_RSRC3_GFX90A:ACCUM_OFFSET: 11
; COMPUTE_PGM_RSRC3_GFX90A:TG_SPLIT: 0
	.section	.text._ZN2at6native12_GLOBAL__N_143distribution_elementwise_grid_stride_kernelImLi2EZZZNS0_9templates4cuda21random_from_to_kernelIPNS_17CUDAGeneratorImplEEEvRNS_18TensorIteratorBaseEmlT_ENKUlvE_clEvENKUlvE8_clEvEUlP25hiprandStatePhilox4_32_10E_ZNS1_27distribution_nullary_kernelIN3c108BFloat16Em15HIP_vector_typeIyLj2EES7_SF_ZZZNS5_IS7_EEvS9_mlSA_ENKSB_clEvENKSC_clEvEUlmE_EEvS9_T2_RKT3_T4_EUlimE0_EEvlNS_15PhiloxCudaStateET1_SM_,"axG",@progbits,_ZN2at6native12_GLOBAL__N_143distribution_elementwise_grid_stride_kernelImLi2EZZZNS0_9templates4cuda21random_from_to_kernelIPNS_17CUDAGeneratorImplEEEvRNS_18TensorIteratorBaseEmlT_ENKUlvE_clEvENKUlvE8_clEvEUlP25hiprandStatePhilox4_32_10E_ZNS1_27distribution_nullary_kernelIN3c108BFloat16Em15HIP_vector_typeIyLj2EES7_SF_ZZZNS5_IS7_EEvS9_mlSA_ENKSB_clEvENKSC_clEvEUlmE_EEvS9_T2_RKT3_T4_EUlimE0_EEvlNS_15PhiloxCudaStateET1_SM_,comdat
	.globl	_ZN2at6native12_GLOBAL__N_143distribution_elementwise_grid_stride_kernelImLi2EZZZNS0_9templates4cuda21random_from_to_kernelIPNS_17CUDAGeneratorImplEEEvRNS_18TensorIteratorBaseEmlT_ENKUlvE_clEvENKUlvE8_clEvEUlP25hiprandStatePhilox4_32_10E_ZNS1_27distribution_nullary_kernelIN3c108BFloat16Em15HIP_vector_typeIyLj2EES7_SF_ZZZNS5_IS7_EEvS9_mlSA_ENKSB_clEvENKSC_clEvEUlmE_EEvS9_T2_RKT3_T4_EUlimE0_EEvlNS_15PhiloxCudaStateET1_SM_ ; -- Begin function _ZN2at6native12_GLOBAL__N_143distribution_elementwise_grid_stride_kernelImLi2EZZZNS0_9templates4cuda21random_from_to_kernelIPNS_17CUDAGeneratorImplEEEvRNS_18TensorIteratorBaseEmlT_ENKUlvE_clEvENKUlvE8_clEvEUlP25hiprandStatePhilox4_32_10E_ZNS1_27distribution_nullary_kernelIN3c108BFloat16Em15HIP_vector_typeIyLj2EES7_SF_ZZZNS5_IS7_EEvS9_mlSA_ENKSB_clEvENKSC_clEvEUlmE_EEvS9_T2_RKT3_T4_EUlimE0_EEvlNS_15PhiloxCudaStateET1_SM_
	.p2align	8
	.type	_ZN2at6native12_GLOBAL__N_143distribution_elementwise_grid_stride_kernelImLi2EZZZNS0_9templates4cuda21random_from_to_kernelIPNS_17CUDAGeneratorImplEEEvRNS_18TensorIteratorBaseEmlT_ENKUlvE_clEvENKUlvE8_clEvEUlP25hiprandStatePhilox4_32_10E_ZNS1_27distribution_nullary_kernelIN3c108BFloat16Em15HIP_vector_typeIyLj2EES7_SF_ZZZNS5_IS7_EEvS9_mlSA_ENKSB_clEvENKSC_clEvEUlmE_EEvS9_T2_RKT3_T4_EUlimE0_EEvlNS_15PhiloxCudaStateET1_SM_,@function
_ZN2at6native12_GLOBAL__N_143distribution_elementwise_grid_stride_kernelImLi2EZZZNS0_9templates4cuda21random_from_to_kernelIPNS_17CUDAGeneratorImplEEEvRNS_18TensorIteratorBaseEmlT_ENKUlvE_clEvENKUlvE8_clEvEUlP25hiprandStatePhilox4_32_10E_ZNS1_27distribution_nullary_kernelIN3c108BFloat16Em15HIP_vector_typeIyLj2EES7_SF_ZZZNS5_IS7_EEvS9_mlSA_ENKSB_clEvENKSC_clEvEUlmE_EEvS9_T2_RKT3_T4_EUlimE0_EEvlNS_15PhiloxCudaStateET1_SM_: ; @_ZN2at6native12_GLOBAL__N_143distribution_elementwise_grid_stride_kernelImLi2EZZZNS0_9templates4cuda21random_from_to_kernelIPNS_17CUDAGeneratorImplEEEvRNS_18TensorIteratorBaseEmlT_ENKUlvE_clEvENKUlvE8_clEvEUlP25hiprandStatePhilox4_32_10E_ZNS1_27distribution_nullary_kernelIN3c108BFloat16Em15HIP_vector_typeIyLj2EES7_SF_ZZZNS5_IS7_EEvS9_mlSA_ENKSB_clEvENKSC_clEvEUlmE_EEvS9_T2_RKT3_T4_EUlimE0_EEvlNS_15PhiloxCudaStateET1_SM_
; %bb.0:
	s_load_dword s2, s[4:5], 0x20
	s_load_dwordx2 s[0:1], s[4:5], 0x10
	s_load_dwordx4 s[24:27], s[4:5], 0x0
	s_waitcnt lgkmcnt(0)
	s_bitcmp0_b32 s2, 0
	s_mov_b32 s2, 0
	v_pk_mov_b32 v[2:3], s[0:1], s[0:1] op_sel:[0,1]
	v_pk_mov_b32 v[12:13], s[26:27], s[26:27] op_sel:[0,1]
	s_cbranch_scc1 .LBB37_2
; %bb.1:
	v_pk_mov_b32 v[2:3], s[0:1], s[0:1] op_sel:[0,1]
	flat_load_dwordx2 v[2:3], v[2:3]
	v_pk_mov_b32 v[4:5], s[26:27], s[26:27] op_sel:[0,1]
	flat_load_dwordx2 v[12:13], v[4:5]
	s_load_dwordx2 s[0:1], s[4:5], 0x18
	s_waitcnt lgkmcnt(0)
	v_mov_b32_e32 v1, s1
	s_waitcnt vmcnt(0)
	v_add_co_u32_e32 v2, vcc, s0, v2
	v_addc_co_u32_e32 v3, vcc, v3, v1, vcc
.LBB37_2:
	s_load_dword s0, s[4:5], 0x15c
	s_load_dword s7, s[4:5], 0x150
	s_waitcnt lgkmcnt(0)
	s_and_b32 s8, s0, 0xffff
	s_add_u32 s9, s24, -1
	s_mul_i32 s33, s7, s8
	s_addc_u32 s3, s25, -1
	s_lshl_b32 s62, s33, 1
	s_cmp_lg_u64 s[2:3], 0
	s_mov_b64 s[0:1], -1
	s_cbranch_scc0 .LBB37_59
; %bb.3:
	v_cvt_f32_u32_e32 v1, s62
	v_cvt_f32_ubyte0_e32 v4, 0
	s_sub_u32 s2, 0, s62
	s_subb_u32 s10, 0, 0
	v_madmk_f32 v1, v4, 0x4f800000, v1
	v_rcp_f32_e32 v1, v1
	v_mul_f32_e32 v1, 0x5f7ffffc, v1
	v_mul_f32_e32 v4, 0x2f800000, v1
	v_trunc_f32_e32 v4, v4
	v_madmk_f32 v1, v4, 0xcf800000, v1
	v_cvt_u32_f32_e32 v4, v4
	v_cvt_u32_f32_e32 v1, v1
	v_readfirstlane_b32 s11, v4
	v_readfirstlane_b32 s12, v1
	s_mul_i32 s13, s2, s11
	s_mul_hi_u32 s15, s2, s12
	s_mul_i32 s14, s10, s12
	s_add_i32 s13, s15, s13
	s_add_i32 s13, s13, s14
	s_mul_i32 s16, s2, s12
	s_mul_hi_u32 s14, s12, s13
	s_mul_i32 s15, s12, s13
	s_mul_hi_u32 s12, s12, s16
	s_add_u32 s12, s12, s15
	s_addc_u32 s14, 0, s14
	s_mul_hi_u32 s17, s11, s16
	s_mul_i32 s16, s11, s16
	s_add_u32 s12, s12, s16
	s_mul_hi_u32 s15, s11, s13
	s_addc_u32 s12, s14, s17
	s_addc_u32 s14, s15, 0
	s_mul_i32 s13, s11, s13
	s_add_u32 s12, s12, s13
	s_addc_u32 s13, 0, s14
	v_add_co_u32_e32 v1, vcc, s12, v1
	s_cmp_lg_u64 vcc, 0
	s_addc_u32 s11, s11, s13
	v_readfirstlane_b32 s13, v1
	s_mul_i32 s12, s2, s11
	s_mul_hi_u32 s14, s2, s13
	s_add_i32 s12, s14, s12
	s_mul_i32 s10, s10, s13
	s_add_i32 s12, s12, s10
	s_mul_i32 s2, s2, s13
	s_mul_hi_u32 s14, s11, s2
	s_mul_i32 s15, s11, s2
	s_mul_i32 s17, s13, s12
	s_mul_hi_u32 s2, s13, s2
	s_mul_hi_u32 s16, s13, s12
	s_add_u32 s2, s2, s17
	s_addc_u32 s13, 0, s16
	s_add_u32 s2, s2, s15
	s_mul_hi_u32 s10, s11, s12
	s_addc_u32 s2, s13, s14
	s_addc_u32 s10, s10, 0
	s_mul_i32 s12, s11, s12
	s_add_u32 s2, s2, s12
	s_addc_u32 s10, 0, s10
	v_add_co_u32_e32 v1, vcc, s2, v1
	s_cmp_lg_u64 vcc, 0
	s_addc_u32 s12, s11, s10
	s_ashr_i32 s10, s3, 31
	s_add_u32 s2, s9, s10
	s_mov_b32 s11, s10
	s_addc_u32 s3, s3, s10
	s_xor_b64 s[2:3], s[2:3], s[10:11]
	v_readfirstlane_b32 s15, v1
	s_mul_i32 s14, s2, s12
	s_mul_hi_u32 s16, s2, s15
	s_mul_hi_u32 s13, s2, s12
	s_add_u32 s14, s16, s14
	s_addc_u32 s13, 0, s13
	s_mul_hi_u32 s17, s3, s15
	s_mul_i32 s15, s3, s15
	s_add_u32 s14, s14, s15
	s_mul_hi_u32 s16, s3, s12
	s_addc_u32 s13, s13, s17
	s_addc_u32 s14, s16, 0
	s_mul_i32 s12, s3, s12
	s_add_u32 s12, s13, s12
	s_addc_u32 s13, 0, s14
	s_add_u32 s14, s12, 1
	s_addc_u32 s15, s13, 0
	s_add_u32 s16, s12, 2
	s_mul_i32 s18, s62, s13
	s_mul_hi_u32 s19, s62, s12
	s_addc_u32 s17, s13, 0
	s_add_i32 s19, s19, s18
	s_mul_i32 s18, s62, s12
	v_mov_b32_e32 v1, s18
	v_sub_co_u32_e32 v1, vcc, s2, v1
	s_cmp_lg_u64 vcc, 0
	s_subb_u32 s2, s3, s19
	v_subrev_co_u32_e32 v4, vcc, s62, v1
	s_cmp_lg_u64 vcc, 0
	s_subb_u32 s3, s2, 0
	v_readfirstlane_b32 s18, v4
	s_cmp_ge_u32 s18, s62
	s_cselect_b32 s18, -1, 0
	s_cmp_eq_u32 s3, 0
	s_cselect_b32 s3, s18, -1
	s_cmp_lg_u32 s3, 0
	s_cselect_b32 s3, s17, s15
	v_readfirstlane_b32 s15, v1
	s_cselect_b32 s14, s16, s14
	s_cmp_ge_u32 s15, s62
	s_cselect_b32 s15, -1, 0
	s_cmp_eq_u32 s2, 0
	s_cselect_b32 s2, s15, -1
	s_cmp_lg_u32 s2, 0
	s_cselect_b32 s3, s3, s13
	s_cselect_b32 s2, s14, s12
	s_xor_b64 s[2:3], s[2:3], s[10:11]
	s_sub_u32 s2, s2, s10
	s_subb_u32 s3, s3, s10
	s_cbranch_execnz .LBB37_5
.LBB37_4:
	v_cvt_f32_u32_e32 v1, s62
	s_sub_i32 s0, 0, s62
	s_mov_b32 s3, 0
	v_rcp_iflag_f32_e32 v1, v1
	v_mul_f32_e32 v1, 0x4f7ffffe, v1
	v_cvt_u32_f32_e32 v1, v1
	v_readfirstlane_b32 s1, v1
	s_mul_i32 s0, s0, s1
	s_mul_hi_u32 s0, s1, s0
	s_add_i32 s1, s1, s0
	s_mul_hi_u32 s0, s9, s1
	s_mul_i32 s2, s0, s62
	s_sub_i32 s2, s9, s2
	s_add_i32 s1, s0, 1
	s_sub_i32 s9, s2, s62
	s_cmp_ge_u32 s2, s62
	s_cselect_b32 s0, s1, s0
	s_cselect_b32 s2, s9, s2
	s_add_i32 s1, s0, 1
	s_cmp_ge_u32 s2, s62
	s_cselect_b32 s2, s1, s0
.LBB37_5:
	v_mov_b32_e32 v14, 0
	v_mov_b32_e32 v1, v14
	;; [unrolled: 1-line block ×3, first 2 shown]
	v_mad_u64_u32 v[16:17], s[0:1], s8, v4, v[0:1]
	s_add_u32 s0, s2, 1
	s_addc_u32 s1, s3, 0
	s_mul_hi_u32 s2, s7, s8
	s_mul_i32 s1, s33, s1
	s_mul_hi_u32 s3, s33, s0
	s_add_i32 s1, s3, s1
	s_mul_i32 s2, s2, s0
	s_add_i32 s1, s1, s2
	s_mul_i32 s0, s33, s0
	s_lshl_b64 s[26:27], s[0:1], 1
	v_cmp_gt_i64_e32 vcc, s[26:27], v[16:17]
	s_and_saveexec_b64 s[0:1], vcc
	s_cbranch_execz .LBB37_58
; %bb.6:
	s_mov_b32 s0, 0x5384540f
	v_mov_b32_e32 v0, v13
	v_add_co_u32_e32 v24, vcc, s0, v12
	s_mov_b32 s0, 0x646e171e
	v_add_co_u32_e32 v25, vcc, s0, v0
	s_mov_b32 s0, 0x1715609d
	;; [unrolled: 2-line block ×6, first 2 shown]
	v_alignbit_b32 v31, v3, v2, 2
	s_mov_b32 s64, 0xd2511f53
	v_add_co_u32_e32 v30, vcc, s0, v12
	v_mad_u64_u32 v[4:5], s[0:1], v31, s64, 0
	v_xor_b32_e32 v1, v5, v13
	v_xor_b32_e32 v1, v1, v17
	s_mov_b32 s65, 0xcd9e8d57
	v_mad_u64_u32 v[6:7], s[0:1], v1, s65, 0
	v_xor_b32_e32 v1, v30, v7
	v_mad_u64_u32 v[8:9], s[0:1], v16, s65, 0
	v_and_b32_e32 v20, 3, v2
	v_xor_b32_e32 v1, v1, v8
	v_xor_b32_e32 v2, v12, v9
	v_lshrrev_b32_e32 v32, 2, v3
	v_mad_u64_u32 v[10:11], s[0:1], v1, s64, 0
	v_xor_b32_e32 v2, v2, v32
	v_xor_b32_e32 v1, v29, v11
	v_mad_u64_u32 v[2:3], s[0:1], v2, s64, 0
	v_xor_b32_e32 v1, v1, v2
	v_mad_u64_u32 v[8:9], s[0:1], v1, s65, 0
	s_mov_b32 s0, 0xbb67ae85
	v_add_co_u32_e32 v33, vcc, s0, v0
	v_xor_b32_e32 v2, v33, v3
	v_xor_b32_e32 v2, v2, v4
	v_xor_b32_e32 v1, v28, v9
	v_mad_u64_u32 v[2:3], s[0:1], v2, s65, 0
	v_xor_b32_e32 v1, v1, v2
	v_mad_u64_u32 v[4:5], s[0:1], v1, s64, 0
	s_mov_b32 s0, 0x3c6ef372
	v_add_co_u32_e32 v34, vcc, s0, v12
	v_xor_b32_e32 v2, v34, v3
	;; [unrolled: 8-line block ×6, first 2 shown]
	v_add_co_u32_e32 v23, vcc, 0xdb3d7428, v0
	v_xor_b32_e32 v2, v2, v6
	v_xor_b32_e32 v1, v23, v5
	v_mad_u64_u32 v[2:3], s[0:1], v2, s64, 0
	v_xor_b32_e32 v1, v1, v2
	v_mad_u64_u32 v[6:7], s[0:1], v1, s65, 0
	s_mov_b32 s0, 0x1fd5c5a3
	v_add_co_u32_e32 v39, vcc, s0, v0
	v_xor_b32_e32 v0, v39, v3
	v_xor_b32_e32 v0, v0, v10
	v_mad_u64_u32 v[0:1], s[0:1], v0, s65, 0
	s_mov_b32 s0, 0xf1bbcdc8
	s_load_dwordx8 s[8:15], s[4:5], 0x30
	v_add_co_u32_e32 v40, vcc, s0, v12
	v_xor_b32_e32 v1, v40, v1
	v_xor_b32_e32 v1, v1, v8
	s_add_u32 s34, s4, 48
	v_mad_u64_u32 v[8:9], s[0:1], v1, s64, 0
	s_addc_u32 s35, s5, 0
	s_waitcnt lgkmcnt(0)
	s_add_i32 s0, s8, -1
	s_cmp_gt_u32 s0, 1
	s_cselect_b64 s[40:41], -1, 0
	s_cmp_lg_u32 s8, 0
	s_cselect_b64 s[42:43], -1, 0
	s_add_u32 s44, s4, 0xf4
	s_addc_u32 s45, s5, 0
	s_min_u32 s1, s0, 15
	s_cmp_gt_u32 s8, 1
	s_cselect_b64 s[46:47], -1, 0
	s_load_dwordx2 s[48:49], s[4:5], 0x148
	s_load_dwordx2 s[50:51], s[4:5], 0xf4
	s_load_dwordx4 s[28:31], s[4:5], 0x138
	s_add_i32 s1, s1, 1
	s_mov_b32 s8, s13
	s_and_b32 s13, s1, 3
	s_cmp_lg_u32 s0, 2
	s_cselect_b64 s[52:53], -1, 0
	s_and_b32 s15, s1, 28
	v_add_u32_e32 v21, 0x8ff34781, v12
	v_add_u32_e32 v22, 0x96a522ad, v13
	v_xor_b32_e32 v0, v7, v0
	v_xor_b32_e32 v1, v9, v4
	s_cmp_lg_u32 s13, 0
	s_mov_b32 s63, 0
	v_xor_b32_e32 v0, v21, v0
	v_xor_b32_e32 v2, v22, v1
	v_mov_b32_e32 v1, v6
	v_mov_b32_e32 v3, v8
	s_mov_b64 s[54:55], 0
	s_cselect_b64 s[56:57], -1, 0
	s_movk_i32 s66, 0x7fff
	v_mov_b32_e32 v41, v16
	v_mov_b32_e32 v42, v17
	s_branch .LBB37_9
.LBB37_7:                               ;   in Loop: Header=BB37_9 Depth=1
	s_or_b64 exec, exec, s[0:1]
	v_mov_b32_e32 v1, s49
	v_add_co_u32_e32 v0, vcc, s48, v10
	v_addc_co_u32_e32 v1, vcc, v11, v1, vcc
	v_xor_b32_e32 v2, v0, v1
	v_ashrrev_i32_e32 v2, 31, v2
	v_ffbh_i32_e32 v3, v1
	v_add_u32_e32 v2, 32, v2
	v_add_u32_e32 v3, -1, v3
	v_min_u32_e32 v2, v3, v2
	v_lshlrev_b64 v[0:1], v2, v[0:1]
	v_min_u32_e32 v0, 1, v0
	v_or_b32_e32 v0, v1, v0
	v_cvt_f32_i32_e32 v0, v0
	v_sub_u32_e32 v1, 32, v2
	v_ldexp_f32 v0, v0, v1
	v_bfe_u32 v1, v0, 16, 1
	v_add3_u32 v0, v0, v1, s66
	global_store_short_d16_hi v8, v0, s[28:29]
.LBB37_8:                               ;   in Loop: Header=BB37_9 Depth=1
	s_or_b64 exec, exec, s[36:37]
	v_add_co_u32_e32 v16, vcc, s62, v16
	v_addc_co_u32_e32 v17, vcc, 0, v17, vcc
	v_mov_b32_e32 v7, v18
	v_cmp_le_i64_e32 vcc, s[26:27], v[16:17]
	v_pk_mov_b32 v[0:1], v[4:5], v[4:5] op_sel:[0,1]
	s_or_b64 s[54:55], vcc, s[54:55]
	v_pk_mov_b32 v[2:3], v[6:7], v[6:7] op_sel:[0,1]
	s_waitcnt lgkmcnt(0)
	s_barrier
	s_andn2_b64 exec, exec, s[54:55]
	s_cbranch_execz .LBB37_58
.LBB37_9:                               ; =>This Loop Header: Depth=1
                                        ;     Child Loop BB37_24 Depth 2
                                        ;     Child Loop BB37_30 Depth 2
	;; [unrolled: 1-line block ×4, first 2 shown]
	v_add_co_u32_e32 v31, vcc, 1, v31
	v_cndmask_b32_e64 v4, 0, 1, vcc
	v_addc_co_u32_e32 v32, vcc, 0, v32, vcc
	v_cmp_eq_u32_e32 vcc, 0, v32
	v_cndmask_b32_e32 v4, 0, v4, vcc
	v_add_u32_e32 v41, v4, v41
	v_cmp_eq_u32_e32 vcc, 0, v41
	v_cndmask_b32_e32 v4, 0, v4, vcc
	v_add_u32_e32 v42, v4, v42
	v_mad_u64_u32 v[4:5], s[0:1], v31, s64, 0
	v_mad_u64_u32 v[6:7], s[0:1], v41, s65, 0
	v_xor_b32_e32 v5, v5, v13
	v_xor_b32_e32 v7, v7, v12
	v_xor_b32_e32 v5, v42, v5
	v_xor_b32_e32 v7, v32, v7
	v_mad_u64_u32 v[10:11], s[0:1], v5, s65, 0
	v_mad_u64_u32 v[8:9], s[0:1], v7, s64, 0
	v_xor_b32_e32 v5, v30, v11
	v_xor_b32_e32 v5, v5, v6
	v_xor_b32_e32 v6, v33, v9
	v_xor_b32_e32 v6, v6, v4
	;; [unrolled: 6-line block ×10, first 2 shown]
	v_mov_b32_e32 v5, v10
	v_mov_b32_e32 v6, v11
	v_cmp_lt_i32_e32 vcc, 1, v20
	s_and_saveexec_b64 s[0:1], vcc
	s_xor_b64 s[0:1], exec, s[0:1]
	s_cbranch_execz .LBB37_15
; %bb.10:                               ;   in Loop: Header=BB37_9 Depth=1
	v_cmp_lt_i32_e32 vcc, 2, v20
	s_and_saveexec_b64 s[2:3], vcc
	s_xor_b64 s[2:3], exec, s[2:3]
; %bb.11:                               ;   in Loop: Header=BB37_9 Depth=1
	v_mov_b32_e32 v8, v3
	v_mov_b32_e32 v9, v4
	v_pk_mov_b32 v[0:1], v[8:9], v[8:9] op_sel:[0,1]
	v_pk_mov_b32 v[2:3], v[10:11], v[10:11] op_sel:[0,1]
                                        ; implicit-def: $vgpr10_vgpr11
; %bb.12:                               ;   in Loop: Header=BB37_9 Depth=1
	s_andn2_saveexec_b64 s[2:3], s[2:3]
; %bb.13:                               ;   in Loop: Header=BB37_9 Depth=1
	v_mov_b32_e32 v0, v2
	v_mov_b32_e32 v1, v3
	;; [unrolled: 1-line block ×4, first 2 shown]
; %bb.14:                               ;   in Loop: Header=BB37_9 Depth=1
	s_or_b64 exec, exec, s[2:3]
.LBB37_15:                              ;   in Loop: Header=BB37_9 Depth=1
	s_andn2_saveexec_b64 s[0:1], s[0:1]
	s_cbranch_execz .LBB37_19
; %bb.16:                               ;   in Loop: Header=BB37_9 Depth=1
	v_cmp_eq_u32_e32 vcc, 1, v20
	s_and_saveexec_b64 s[2:3], vcc
; %bb.17:                               ;   in Loop: Header=BB37_9 Depth=1
	v_mov_b32_e32 v0, v1
	v_mov_b32_e32 v1, v2
	;; [unrolled: 1-line block ×4, first 2 shown]
; %bb.18:                               ;   in Loop: Header=BB37_9 Depth=1
	s_or_b64 exec, exec, s[2:3]
.LBB37_19:                              ;   in Loop: Header=BB37_9 Depth=1
	s_or_b64 exec, exec, s[0:1]
	v_cndmask_b32_e64 v7, 0, 1, s[40:41]
	v_cmp_gt_i64_e32 vcc, s[24:25], v[16:17]
	v_cmp_ne_u32_e64 s[0:1], 1, v7
	s_and_saveexec_b64 s[58:59], vcc
	s_cbranch_execz .LBB37_39
; %bb.20:                               ;   in Loop: Header=BB37_9 Depth=1
	s_and_b64 vcc, exec, s[0:1]
	s_cbranch_vccnz .LBB37_26
; %bb.21:                               ;   in Loop: Header=BB37_9 Depth=1
	s_andn2_b64 vcc, exec, s[42:43]
	s_cbranch_vccnz .LBB37_27
; %bb.22:                               ;   in Loop: Header=BB37_9 Depth=1
	s_mov_b32 s4, 0
	s_andn2_b64 vcc, exec, s[52:53]
	v_mov_b32_e32 v8, 0
	s_cbranch_vccnz .LBB37_28
; %bb.23:                               ;   in Loop: Header=BB37_9 Depth=1
	s_mov_b32 s67, 0
	v_mov_b32_e32 v8, 0
	s_mov_b64 s[2:3], s[34:35]
	s_mov_b64 s[60:61], s[44:45]
	v_mov_b32_e32 v7, v16
.LBB37_24:                              ;   Parent Loop BB37_9 Depth=1
                                        ; =>  This Inner Loop Header: Depth=2
	s_load_dwordx8 s[16:23], s[2:3], 0x4
	s_load_dwordx4 s[4:7], s[2:3], 0x24
	s_load_dwordx4 s[36:39], s[60:61], 0x0
	s_add_u32 s2, s2, 48
	s_addc_u32 s3, s3, 0
	s_waitcnt lgkmcnt(0)
	v_mul_hi_u32 v9, s17, v7
	v_add_u32_e32 v9, v7, v9
	v_lshrrev_b32_e32 v9, s18, v9
	v_mul_lo_u32 v10, v9, s16
	v_mul_hi_u32 v11, s20, v9
	v_sub_u32_e32 v7, v7, v10
	v_add_u32_e32 v10, v9, v11
	v_lshrrev_b32_e32 v10, s21, v10
	v_mul_lo_u32 v11, v10, s19
	v_mul_hi_u32 v15, s23, v10
	v_sub_u32_e32 v9, v9, v11
	v_add_u32_e32 v11, v10, v15
	v_mul_lo_u32 v7, v7, s36
	v_mul_lo_u32 v9, v9, s37
	v_lshrrev_b32_e32 v11, s4, v11
	v_add3_u32 v8, v7, v8, v9
	v_mul_lo_u32 v7, v11, s22
	v_mul_hi_u32 v9, s6, v11
	v_sub_u32_e32 v7, v10, v7
	v_add_u32_e32 v9, v11, v9
	v_mul_lo_u32 v10, v7, s38
	v_lshrrev_b32_e32 v7, s7, v9
	s_add_i32 s67, s67, 4
	v_mul_lo_u32 v9, v7, s5
	s_add_u32 s60, s60, 16
	v_sub_u32_e32 v9, v11, v9
	s_addc_u32 s61, s61, 0
	v_mul_lo_u32 v9, v9, s39
	s_cmp_lg_u32 s15, s67
	v_add3_u32 v8, v10, v8, v9
	s_cbranch_scc1 .LBB37_24
; %bb.25:                               ;   in Loop: Header=BB37_9 Depth=1
	s_mov_b32 s4, s15
	s_andn2_b64 vcc, exec, s[56:57]
	s_cbranch_vccz .LBB37_29
	s_branch .LBB37_31
.LBB37_26:                              ;   in Loop: Header=BB37_9 Depth=1
                                        ; implicit-def: $vgpr8
	s_branch .LBB37_32
.LBB37_27:                              ;   in Loop: Header=BB37_9 Depth=1
	v_mov_b32_e32 v8, 0
	s_branch .LBB37_31
.LBB37_28:                              ;   in Loop: Header=BB37_9 Depth=1
	v_mov_b32_e32 v7, v16
	s_andn2_b64 vcc, exec, s[56:57]
	s_cbranch_vccnz .LBB37_31
.LBB37_29:                              ;   in Loop: Header=BB37_9 Depth=1
	s_lshl_b32 s2, s4, 2
	s_add_u32 s2, s44, s2
	s_addc_u32 s3, s45, 0
	s_mul_i32 s4, s4, 12
	s_add_u32 s4, s34, s4
	s_addc_u32 s5, s35, 0
	s_mov_b32 s6, s13
.LBB37_30:                              ;   Parent Loop BB37_9 Depth=1
                                        ; =>  This Inner Loop Header: Depth=2
	s_load_dwordx2 s[16:17], s[4:5], 0x4
	s_load_dword s7, s[4:5], 0xc
	s_load_dword s18, s[2:3], 0x0
	s_add_u32 s4, s4, 12
	s_addc_u32 s5, s5, 0
	s_waitcnt lgkmcnt(0)
	v_mul_hi_u32 v9, s17, v7
	v_add_u32_e32 v9, v7, v9
	v_lshrrev_b32_e32 v9, s7, v9
	s_add_u32 s2, s2, 4
	v_mul_lo_u32 v10, v9, s16
	s_addc_u32 s3, s3, 0
	s_add_i32 s6, s6, -1
	v_sub_u32_e32 v10, v7, v10
	s_cmp_lg_u32 s6, 0
	v_mov_b32_e32 v7, v9
	v_mad_u64_u32 v[8:9], s[16:17], v10, s18, v[8:9]
	s_cbranch_scc1 .LBB37_30
.LBB37_31:                              ;   in Loop: Header=BB37_9 Depth=1
	s_cbranch_execnz .LBB37_34
.LBB37_32:                              ;   in Loop: Header=BB37_9 Depth=1
	v_mul_hi_u32 v7, v16, s10
	v_add_u32_e32 v7, v7, v16
	v_lshrrev_b32_e32 v7, s11, v7
	v_mul_lo_u32 v8, v7, s9
	v_sub_u32_e32 v8, v16, v8
	s_andn2_b64 vcc, exec, s[46:47]
	s_waitcnt lgkmcnt(0)
	v_mul_lo_u32 v8, v8, s50
	s_cbranch_vccnz .LBB37_34
; %bb.33:                               ;   in Loop: Header=BB37_9 Depth=1
	v_mul_hi_u32 v9, s8, v7
	v_add_u32_e32 v9, v7, v9
	v_lshrrev_b32_e32 v9, s14, v9
	v_mul_lo_u32 v9, v9, s12
	v_sub_u32_e32 v7, v7, v9
	v_mad_u64_u32 v[8:9], s[2:3], v7, s51, v[8:9]
.LBB37_34:                              ;   in Loop: Header=BB37_9 Depth=1
	s_waitcnt lgkmcnt(0)
	v_or_b32_e32 v15, s31, v0
	v_cmp_ne_u64_e32 vcc, 0, v[14:15]
                                        ; implicit-def: $vgpr10_vgpr11
	s_and_saveexec_b64 s[2:3], vcc
	s_xor_b64 s[6:7], exec, s[2:3]
	s_cbranch_execz .LBB37_36
; %bb.35:                               ;   in Loop: Header=BB37_9 Depth=1
	v_cvt_f32_u32_e32 v7, s30
	v_cvt_f32_u32_e32 v9, s31
	s_sub_u32 s2, 0, s30
	s_subb_u32 s3, 0, s31
	v_mac_f32_e32 v7, 0x4f800000, v9
	v_rcp_f32_e32 v7, v7
	v_mul_f32_e32 v7, 0x5f7ffffc, v7
	v_mul_f32_e32 v9, 0x2f800000, v7
	v_trunc_f32_e32 v9, v9
	v_mac_f32_e32 v7, 0xcf800000, v9
	v_cvt_u32_f32_e32 v9, v9
	v_cvt_u32_f32_e32 v7, v7
	v_mul_lo_u32 v10, s2, v9
	v_mul_hi_u32 v15, s2, v7
	v_mul_lo_u32 v11, s3, v7
	v_add_u32_e32 v10, v15, v10
	v_mul_lo_u32 v19, s2, v7
	v_add_u32_e32 v10, v10, v11
	v_mul_hi_u32 v15, v7, v19
	v_mul_lo_u32 v43, v7, v10
	v_mul_hi_u32 v11, v7, v10
	v_add_co_u32_e32 v15, vcc, v15, v43
	v_addc_co_u32_e32 v11, vcc, 0, v11, vcc
	v_mul_hi_u32 v44, v9, v19
	v_mul_lo_u32 v19, v9, v19
	v_add_co_u32_e32 v15, vcc, v15, v19
	v_mul_hi_u32 v43, v9, v10
	v_addc_co_u32_e32 v11, vcc, v11, v44, vcc
	v_addc_co_u32_e32 v15, vcc, 0, v43, vcc
	v_mul_lo_u32 v10, v9, v10
	v_add_co_u32_e32 v10, vcc, v11, v10
	v_addc_co_u32_e32 v11, vcc, 0, v15, vcc
	v_add_co_u32_e32 v7, vcc, v7, v10
	v_addc_co_u32_e32 v9, vcc, v9, v11, vcc
	v_mul_lo_u32 v10, s2, v9
	v_mul_hi_u32 v11, s2, v7
	v_add_u32_e32 v10, v11, v10
	v_mul_lo_u32 v11, s3, v7
	v_add_u32_e32 v10, v10, v11
	v_mul_lo_u32 v15, s2, v7
	v_mul_hi_u32 v19, v9, v15
	v_mul_lo_u32 v43, v9, v15
	v_mul_lo_u32 v45, v7, v10
	v_mul_hi_u32 v15, v7, v15
	v_mul_hi_u32 v44, v7, v10
	v_add_co_u32_e32 v15, vcc, v15, v45
	v_addc_co_u32_e32 v44, vcc, 0, v44, vcc
	v_add_co_u32_e32 v15, vcc, v15, v43
	v_mul_hi_u32 v11, v9, v10
	v_addc_co_u32_e32 v15, vcc, v44, v19, vcc
	v_addc_co_u32_e32 v11, vcc, 0, v11, vcc
	v_mul_lo_u32 v10, v9, v10
	v_add_co_u32_e32 v10, vcc, v15, v10
	v_addc_co_u32_e32 v11, vcc, 0, v11, vcc
	v_add_co_u32_e32 v7, vcc, v7, v10
	v_addc_co_u32_e32 v9, vcc, v9, v11, vcc
	v_mad_u64_u32 v[10:11], s[2:3], v1, v9, 0
	v_mul_hi_u32 v15, v1, v7
	v_add_co_u32_e32 v15, vcc, v15, v10
	v_addc_co_u32_e32 v19, vcc, 0, v11, vcc
	v_mad_u64_u32 v[44:45], s[2:3], v0, v7, 0
	v_add_co_u32_e32 v7, vcc, v15, v44
	v_mad_u64_u32 v[10:11], s[2:3], v0, v9, 0
	v_addc_co_u32_e32 v7, vcc, v19, v45, vcc
	v_addc_co_u32_e32 v9, vcc, 0, v11, vcc
	v_add_co_u32_e32 v7, vcc, v7, v10
	v_addc_co_u32_e32 v9, vcc, 0, v9, vcc
	v_mul_lo_u32 v15, s31, v7
	v_mul_lo_u32 v9, s30, v9
	v_mad_u64_u32 v[10:11], s[2:3], s30, v7, 0
	v_add3_u32 v7, v11, v9, v15
	v_sub_u32_e32 v9, v0, v7
	v_mov_b32_e32 v11, s31
	v_sub_co_u32_e32 v10, vcc, v1, v10
	v_subb_co_u32_e64 v9, s[2:3], v9, v11, vcc
	v_subrev_co_u32_e64 v15, s[2:3], s30, v10
	v_subbrev_co_u32_e64 v19, s[4:5], 0, v9, s[2:3]
	v_cmp_le_u32_e64 s[4:5], s31, v19
	v_cndmask_b32_e64 v43, 0, -1, s[4:5]
	v_cmp_le_u32_e64 s[4:5], s30, v15
	v_subb_co_u32_e32 v0, vcc, v0, v7, vcc
	v_cndmask_b32_e64 v44, 0, -1, s[4:5]
	v_cmp_eq_u32_e64 s[4:5], s31, v19
	v_subb_co_u32_e64 v9, s[2:3], v9, v11, s[2:3]
	v_cmp_le_u32_e32 vcc, s31, v0
	v_cndmask_b32_e64 v43, v43, v44, s[4:5]
	v_subrev_co_u32_e64 v44, s[2:3], s30, v15
	v_cndmask_b32_e64 v7, 0, -1, vcc
	v_cmp_le_u32_e32 vcc, s30, v10
	v_subbrev_co_u32_e64 v9, s[2:3], 0, v9, s[2:3]
	v_cndmask_b32_e64 v11, 0, -1, vcc
	v_cmp_eq_u32_e32 vcc, s31, v0
	v_cmp_ne_u32_e64 s[2:3], 0, v43
	v_cndmask_b32_e32 v7, v7, v11, vcc
	v_cndmask_b32_e64 v9, v19, v9, s[2:3]
	v_cmp_ne_u32_e32 vcc, 0, v7
	v_cndmask_b32_e32 v11, v0, v9, vcc
	v_cndmask_b32_e64 v0, v15, v44, s[2:3]
	v_cndmask_b32_e32 v10, v10, v0, vcc
.LBB37_36:                              ;   in Loop: Header=BB37_9 Depth=1
	s_andn2_saveexec_b64 s[2:3], s[6:7]
	s_cbranch_execz .LBB37_38
; %bb.37:                               ;   in Loop: Header=BB37_9 Depth=1
	v_cvt_f32_u32_e32 v0, s30
	s_sub_i32 s4, 0, s30
	v_mov_b32_e32 v11, v14
	v_rcp_iflag_f32_e32 v0, v0
	v_mul_f32_e32 v0, 0x4f7ffffe, v0
	v_cvt_u32_f32_e32 v0, v0
	v_mul_lo_u32 v7, s4, v0
	v_mul_hi_u32 v7, v0, v7
	v_add_u32_e32 v0, v0, v7
	v_mul_hi_u32 v0, v1, v0
	v_mul_lo_u32 v0, v0, s30
	v_sub_u32_e32 v0, v1, v0
	v_subrev_u32_e32 v1, s30, v0
	v_cmp_le_u32_e32 vcc, s30, v0
	v_cndmask_b32_e32 v0, v0, v1, vcc
	v_subrev_u32_e32 v1, s30, v0
	v_cmp_le_u32_e32 vcc, s30, v0
	v_cndmask_b32_e32 v10, v0, v1, vcc
.LBB37_38:                              ;   in Loop: Header=BB37_9 Depth=1
	s_or_b64 exec, exec, s[2:3]
	v_mov_b32_e32 v1, s49
	v_add_co_u32_e32 v0, vcc, s48, v10
	v_addc_co_u32_e32 v1, vcc, v11, v1, vcc
	v_xor_b32_e32 v7, v0, v1
	v_ashrrev_i32_e32 v7, 31, v7
	v_ffbh_i32_e32 v9, v1
	v_add_u32_e32 v7, 32, v7
	v_add_u32_e32 v9, -1, v9
	v_min_u32_e32 v7, v9, v7
	v_lshlrev_b64 v[0:1], v7, v[0:1]
	v_min_u32_e32 v0, 1, v0
	v_or_b32_e32 v0, v1, v0
	v_cvt_f32_i32_e32 v0, v0
	v_sub_u32_e32 v1, 32, v7
	v_ldexp_f32 v0, v0, v1
	v_bfe_u32 v1, v0, 16, 1
	v_add3_u32 v0, v0, v1, s66
	global_store_short_d16_hi v8, v0, s[28:29]
.LBB37_39:                              ;   in Loop: Header=BB37_9 Depth=1
	s_or_b64 exec, exec, s[58:59]
	v_mov_b32_e32 v1, s63
	v_add_co_u32_e32 v0, vcc, s33, v16
	v_addc_co_u32_e32 v1, vcc, v17, v1, vcc
	v_cmp_gt_i64_e32 vcc, s[24:25], v[0:1]
	s_and_saveexec_b64 s[36:37], vcc
	s_cbranch_execz .LBB37_8
; %bb.40:                               ;   in Loop: Header=BB37_9 Depth=1
	s_and_b64 vcc, exec, s[0:1]
	s_cbranch_vccnz .LBB37_46
; %bb.41:                               ;   in Loop: Header=BB37_9 Depth=1
	s_andn2_b64 vcc, exec, s[42:43]
	s_cbranch_vccnz .LBB37_47
; %bb.42:                               ;   in Loop: Header=BB37_9 Depth=1
	s_mov_b32 s2, 0
	s_andn2_b64 vcc, exec, s[52:53]
	v_mov_b32_e32 v8, 0
	s_cbranch_vccnz .LBB37_48
; %bb.43:                               ;   in Loop: Header=BB37_9 Depth=1
	s_mov_b32 s60, 0
	v_mov_b32_e32 v8, 0
	s_mov_b64 s[38:39], s[34:35]
	s_mov_b64 s[58:59], s[44:45]
	v_mov_b32_e32 v1, v0
.LBB37_44:                              ;   Parent Loop BB37_9 Depth=1
                                        ; =>  This Inner Loop Header: Depth=2
	s_load_dwordx8 s[0:7], s[38:39], 0x4
	s_load_dwordx4 s[16:19], s[38:39], 0x24
	s_load_dwordx4 s[20:23], s[58:59], 0x0
	s_add_u32 s38, s38, 48
	s_addc_u32 s39, s39, 0
	s_waitcnt lgkmcnt(0)
	v_mul_hi_u32 v7, s1, v1
	v_add_u32_e32 v7, v1, v7
	v_lshrrev_b32_e32 v7, s2, v7
	v_mul_lo_u32 v9, v7, s0
	v_mul_hi_u32 v10, s4, v7
	v_sub_u32_e32 v1, v1, v9
	v_add_u32_e32 v9, v7, v10
	v_lshrrev_b32_e32 v9, s5, v9
	v_mul_lo_u32 v10, v9, s3
	v_mul_hi_u32 v11, s7, v9
	v_sub_u32_e32 v7, v7, v10
	v_add_u32_e32 v10, v9, v11
	v_mul_lo_u32 v1, v1, s20
	v_mul_lo_u32 v7, v7, s21
	v_lshrrev_b32_e32 v10, s16, v10
	v_add3_u32 v7, v1, v8, v7
	v_mul_lo_u32 v1, v10, s6
	v_mul_hi_u32 v8, s18, v10
	v_sub_u32_e32 v1, v9, v1
	v_add_u32_e32 v8, v10, v8
	v_mul_lo_u32 v9, v1, s22
	v_lshrrev_b32_e32 v1, s19, v8
	s_add_i32 s60, s60, 4
	v_mul_lo_u32 v8, v1, s17
	s_add_u32 s58, s58, 16
	v_sub_u32_e32 v8, v10, v8
	s_addc_u32 s59, s59, 0
	v_mul_lo_u32 v8, v8, s23
	s_cmp_eq_u32 s15, s60
	v_add3_u32 v8, v9, v7, v8
	s_cbranch_scc0 .LBB37_44
; %bb.45:                               ;   in Loop: Header=BB37_9 Depth=1
	s_mov_b32 s2, s15
	s_andn2_b64 vcc, exec, s[56:57]
	s_cbranch_vccz .LBB37_49
	s_branch .LBB37_51
.LBB37_46:                              ;   in Loop: Header=BB37_9 Depth=1
                                        ; implicit-def: $vgpr8
	s_branch .LBB37_52
.LBB37_47:                              ;   in Loop: Header=BB37_9 Depth=1
	v_mov_b32_e32 v8, 0
	s_branch .LBB37_51
.LBB37_48:                              ;   in Loop: Header=BB37_9 Depth=1
	v_mov_b32_e32 v1, v0
	s_andn2_b64 vcc, exec, s[56:57]
	s_cbranch_vccnz .LBB37_51
.LBB37_49:                              ;   in Loop: Header=BB37_9 Depth=1
	s_lshl_b32 s0, s2, 2
	s_add_u32 s0, s44, s0
	s_addc_u32 s1, s45, 0
	s_mul_i32 s2, s2, 12
	s_add_u32 s2, s34, s2
	s_addc_u32 s3, s35, 0
	s_mov_b32 s4, s13
.LBB37_50:                              ;   Parent Loop BB37_9 Depth=1
                                        ; =>  This Inner Loop Header: Depth=2
	s_load_dwordx2 s[6:7], s[2:3], 0x4
	s_load_dword s5, s[2:3], 0xc
	s_load_dword s16, s[0:1], 0x0
	s_add_u32 s2, s2, 12
	s_addc_u32 s3, s3, 0
	s_waitcnt lgkmcnt(0)
	v_mul_hi_u32 v7, s7, v1
	v_add_u32_e32 v7, v1, v7
	v_lshrrev_b32_e32 v7, s5, v7
	s_add_u32 s0, s0, 4
	v_mul_lo_u32 v9, v7, s6
	s_addc_u32 s1, s1, 0
	s_add_i32 s4, s4, -1
	v_sub_u32_e32 v9, v1, v9
	s_cmp_lg_u32 s4, 0
	v_mov_b32_e32 v1, v7
	v_mad_u64_u32 v[8:9], s[6:7], v9, s16, v[8:9]
	s_cbranch_scc1 .LBB37_50
.LBB37_51:                              ;   in Loop: Header=BB37_9 Depth=1
	s_cbranch_execnz .LBB37_54
.LBB37_52:                              ;   in Loop: Header=BB37_9 Depth=1
	v_mul_hi_u32 v1, v0, s10
	v_add_u32_e32 v1, v1, v0
	v_lshrrev_b32_e32 v1, s11, v1
	v_mul_lo_u32 v7, v1, s9
	v_sub_u32_e32 v0, v0, v7
	s_andn2_b64 vcc, exec, s[46:47]
	s_waitcnt lgkmcnt(0)
	v_mul_lo_u32 v8, v0, s50
	s_cbranch_vccnz .LBB37_54
; %bb.53:                               ;   in Loop: Header=BB37_9 Depth=1
	v_mul_hi_u32 v0, s8, v1
	v_add_u32_e32 v0, v1, v0
	v_lshrrev_b32_e32 v0, s14, v0
	v_mul_lo_u32 v0, v0, s12
	v_sub_u32_e32 v0, v1, v0
	v_mad_u64_u32 v[8:9], s[0:1], v0, s51, v[8:9]
.LBB37_54:                              ;   in Loop: Header=BB37_9 Depth=1
	s_waitcnt lgkmcnt(0)
	v_or_b32_e32 v15, s31, v2
	v_cmp_ne_u64_e32 vcc, 0, v[14:15]
                                        ; implicit-def: $vgpr10_vgpr11
	s_and_saveexec_b64 s[0:1], vcc
	s_xor_b64 s[4:5], exec, s[0:1]
	s_cbranch_execz .LBB37_56
; %bb.55:                               ;   in Loop: Header=BB37_9 Depth=1
	v_cvt_f32_u32_e32 v0, s30
	v_cvt_f32_u32_e32 v1, s31
	s_sub_u32 s0, 0, s30
	s_subb_u32 s1, 0, s31
	v_mac_f32_e32 v0, 0x4f800000, v1
	v_rcp_f32_e32 v0, v0
	v_mul_f32_e32 v0, 0x5f7ffffc, v0
	v_mul_f32_e32 v1, 0x2f800000, v0
	v_trunc_f32_e32 v1, v1
	v_mac_f32_e32 v0, 0xcf800000, v1
	v_cvt_u32_f32_e32 v1, v1
	v_cvt_u32_f32_e32 v0, v0
	v_mul_lo_u32 v7, s0, v1
	v_mul_hi_u32 v10, s0, v0
	v_mul_lo_u32 v9, s1, v0
	v_add_u32_e32 v7, v10, v7
	v_mul_lo_u32 v11, s0, v0
	v_add_u32_e32 v7, v7, v9
	v_mul_hi_u32 v10, v0, v11
	v_mul_lo_u32 v15, v0, v7
	v_mul_hi_u32 v9, v0, v7
	v_add_co_u32_e32 v10, vcc, v10, v15
	v_addc_co_u32_e32 v9, vcc, 0, v9, vcc
	v_mul_hi_u32 v19, v1, v11
	v_mul_lo_u32 v11, v1, v11
	v_add_co_u32_e32 v10, vcc, v10, v11
	v_mul_hi_u32 v15, v1, v7
	v_addc_co_u32_e32 v9, vcc, v9, v19, vcc
	v_addc_co_u32_e32 v10, vcc, 0, v15, vcc
	v_mul_lo_u32 v7, v1, v7
	v_add_co_u32_e32 v7, vcc, v9, v7
	v_addc_co_u32_e32 v9, vcc, 0, v10, vcc
	v_add_co_u32_e32 v0, vcc, v0, v7
	v_addc_co_u32_e32 v1, vcc, v1, v9, vcc
	v_mul_lo_u32 v7, s0, v1
	v_mul_hi_u32 v9, s0, v0
	v_add_u32_e32 v7, v9, v7
	v_mul_lo_u32 v9, s1, v0
	v_add_u32_e32 v7, v7, v9
	v_mul_lo_u32 v10, s0, v0
	v_mul_hi_u32 v11, v1, v10
	v_mul_lo_u32 v15, v1, v10
	v_mul_lo_u32 v43, v0, v7
	v_mul_hi_u32 v10, v0, v10
	v_mul_hi_u32 v19, v0, v7
	v_add_co_u32_e32 v10, vcc, v10, v43
	v_addc_co_u32_e32 v19, vcc, 0, v19, vcc
	v_add_co_u32_e32 v10, vcc, v10, v15
	v_mul_hi_u32 v9, v1, v7
	v_addc_co_u32_e32 v10, vcc, v19, v11, vcc
	v_addc_co_u32_e32 v9, vcc, 0, v9, vcc
	v_mul_lo_u32 v7, v1, v7
	v_add_co_u32_e32 v7, vcc, v10, v7
	v_addc_co_u32_e32 v9, vcc, 0, v9, vcc
	v_add_co_u32_e32 v7, vcc, v0, v7
	v_addc_co_u32_e32 v9, vcc, v1, v9, vcc
	v_mad_u64_u32 v[0:1], s[0:1], v3, v9, 0
	v_mul_hi_u32 v10, v3, v7
	v_add_co_u32_e32 v15, vcc, v10, v0
	v_addc_co_u32_e32 v19, vcc, 0, v1, vcc
	v_mad_u64_u32 v[10:11], s[0:1], v2, v7, 0
	v_add_co_u32_e32 v7, vcc, v15, v10
	v_mad_u64_u32 v[0:1], s[0:1], v2, v9, 0
	v_addc_co_u32_e32 v7, vcc, v19, v11, vcc
	v_addc_co_u32_e32 v1, vcc, 0, v1, vcc
	v_add_co_u32_e32 v0, vcc, v7, v0
	v_addc_co_u32_e32 v1, vcc, 0, v1, vcc
	v_mul_lo_u32 v7, s31, v0
	v_mul_lo_u32 v9, s30, v1
	v_mad_u64_u32 v[0:1], s[0:1], s30, v0, 0
	v_add3_u32 v1, v1, v9, v7
	v_sub_u32_e32 v7, v2, v1
	v_mov_b32_e32 v9, s31
	v_sub_co_u32_e32 v0, vcc, v3, v0
	v_subb_co_u32_e64 v3, s[0:1], v7, v9, vcc
	v_subrev_co_u32_e64 v7, s[0:1], s30, v0
	v_subbrev_co_u32_e64 v10, s[2:3], 0, v3, s[0:1]
	v_cmp_le_u32_e64 s[2:3], s31, v10
	v_cndmask_b32_e64 v11, 0, -1, s[2:3]
	v_cmp_le_u32_e64 s[2:3], s30, v7
	v_subb_co_u32_e64 v3, s[0:1], v3, v9, s[0:1]
	v_cndmask_b32_e64 v15, 0, -1, s[2:3]
	v_cmp_eq_u32_e64 s[2:3], s31, v10
	v_subrev_co_u32_e64 v9, s[0:1], s30, v7
	v_subb_co_u32_e32 v1, vcc, v2, v1, vcc
	v_cndmask_b32_e64 v11, v11, v15, s[2:3]
	v_subbrev_co_u32_e64 v3, s[0:1], 0, v3, s[0:1]
	v_cmp_le_u32_e32 vcc, s31, v1
	v_cmp_ne_u32_e64 s[0:1], 0, v11
	v_cndmask_b32_e64 v2, 0, -1, vcc
	v_cmp_le_u32_e32 vcc, s30, v0
	v_cndmask_b32_e64 v3, v10, v3, s[0:1]
	v_cndmask_b32_e64 v10, 0, -1, vcc
	v_cmp_eq_u32_e32 vcc, s31, v1
	v_cndmask_b32_e32 v2, v2, v10, vcc
	v_cmp_ne_u32_e32 vcc, 0, v2
	v_cndmask_b32_e32 v11, v1, v3, vcc
	v_cndmask_b32_e64 v1, v7, v9, s[0:1]
	v_cndmask_b32_e32 v10, v0, v1, vcc
                                        ; implicit-def: $vgpr0_vgpr1_vgpr2_vgpr3
.LBB37_56:                              ;   in Loop: Header=BB37_9 Depth=1
	s_andn2_saveexec_b64 s[0:1], s[4:5]
	s_cbranch_execz .LBB37_7
; %bb.57:                               ;   in Loop: Header=BB37_9 Depth=1
	v_cvt_f32_u32_e32 v0, s30
	s_sub_i32 s2, 0, s30
	v_mov_b32_e32 v11, v14
	v_rcp_iflag_f32_e32 v0, v0
	v_mul_f32_e32 v0, 0x4f7ffffe, v0
	v_cvt_u32_f32_e32 v0, v0
	v_mul_lo_u32 v1, s2, v0
	v_mul_hi_u32 v1, v0, v1
	v_add_u32_e32 v0, v0, v1
	v_mul_hi_u32 v0, v3, v0
	v_mul_lo_u32 v0, v0, s30
	v_sub_u32_e32 v0, v3, v0
	v_subrev_u32_e32 v1, s30, v0
	v_cmp_le_u32_e32 vcc, s30, v0
	v_cndmask_b32_e32 v0, v0, v1, vcc
	v_subrev_u32_e32 v1, s30, v0
	v_cmp_le_u32_e32 vcc, s30, v0
	v_cndmask_b32_e32 v10, v0, v1, vcc
	s_branch .LBB37_7
.LBB37_58:
	s_endpgm
.LBB37_59:
                                        ; implicit-def: $sgpr2_sgpr3
	s_andn2_b64 vcc, exec, s[0:1]
	s_cbranch_vccz .LBB37_4
	s_branch .LBB37_5
	.section	.rodata,"a",@progbits
	.p2align	6, 0x0
	.amdhsa_kernel _ZN2at6native12_GLOBAL__N_143distribution_elementwise_grid_stride_kernelImLi2EZZZNS0_9templates4cuda21random_from_to_kernelIPNS_17CUDAGeneratorImplEEEvRNS_18TensorIteratorBaseEmlT_ENKUlvE_clEvENKUlvE8_clEvEUlP25hiprandStatePhilox4_32_10E_ZNS1_27distribution_nullary_kernelIN3c108BFloat16Em15HIP_vector_typeIyLj2EES7_SF_ZZZNS5_IS7_EEvS9_mlSA_ENKSB_clEvENKSC_clEvEUlmE_EEvS9_T2_RKT3_T4_EUlimE0_EEvlNS_15PhiloxCudaStateET1_SM_
		.amdhsa_group_segment_fixed_size 0
		.amdhsa_private_segment_fixed_size 0
		.amdhsa_kernarg_size 592
		.amdhsa_user_sgpr_count 6
		.amdhsa_user_sgpr_private_segment_buffer 1
		.amdhsa_user_sgpr_dispatch_ptr 0
		.amdhsa_user_sgpr_queue_ptr 0
		.amdhsa_user_sgpr_kernarg_segment_ptr 1
		.amdhsa_user_sgpr_dispatch_id 0
		.amdhsa_user_sgpr_flat_scratch_init 0
		.amdhsa_user_sgpr_kernarg_preload_length 0
		.amdhsa_user_sgpr_kernarg_preload_offset 0
		.amdhsa_user_sgpr_private_segment_size 0
		.amdhsa_uses_dynamic_stack 0
		.amdhsa_system_sgpr_private_segment_wavefront_offset 0
		.amdhsa_system_sgpr_workgroup_id_x 1
		.amdhsa_system_sgpr_workgroup_id_y 0
		.amdhsa_system_sgpr_workgroup_id_z 0
		.amdhsa_system_sgpr_workgroup_info 0
		.amdhsa_system_vgpr_workitem_id 0
		.amdhsa_next_free_vgpr 46
		.amdhsa_next_free_sgpr 68
		.amdhsa_accum_offset 48
		.amdhsa_reserve_vcc 1
		.amdhsa_reserve_flat_scratch 0
		.amdhsa_float_round_mode_32 0
		.amdhsa_float_round_mode_16_64 0
		.amdhsa_float_denorm_mode_32 3
		.amdhsa_float_denorm_mode_16_64 3
		.amdhsa_dx10_clamp 1
		.amdhsa_ieee_mode 1
		.amdhsa_fp16_overflow 0
		.amdhsa_tg_split 0
		.amdhsa_exception_fp_ieee_invalid_op 0
		.amdhsa_exception_fp_denorm_src 0
		.amdhsa_exception_fp_ieee_div_zero 0
		.amdhsa_exception_fp_ieee_overflow 0
		.amdhsa_exception_fp_ieee_underflow 0
		.amdhsa_exception_fp_ieee_inexact 0
		.amdhsa_exception_int_div_zero 0
	.end_amdhsa_kernel
	.section	.text._ZN2at6native12_GLOBAL__N_143distribution_elementwise_grid_stride_kernelImLi2EZZZNS0_9templates4cuda21random_from_to_kernelIPNS_17CUDAGeneratorImplEEEvRNS_18TensorIteratorBaseEmlT_ENKUlvE_clEvENKUlvE8_clEvEUlP25hiprandStatePhilox4_32_10E_ZNS1_27distribution_nullary_kernelIN3c108BFloat16Em15HIP_vector_typeIyLj2EES7_SF_ZZZNS5_IS7_EEvS9_mlSA_ENKSB_clEvENKSC_clEvEUlmE_EEvS9_T2_RKT3_T4_EUlimE0_EEvlNS_15PhiloxCudaStateET1_SM_,"axG",@progbits,_ZN2at6native12_GLOBAL__N_143distribution_elementwise_grid_stride_kernelImLi2EZZZNS0_9templates4cuda21random_from_to_kernelIPNS_17CUDAGeneratorImplEEEvRNS_18TensorIteratorBaseEmlT_ENKUlvE_clEvENKUlvE8_clEvEUlP25hiprandStatePhilox4_32_10E_ZNS1_27distribution_nullary_kernelIN3c108BFloat16Em15HIP_vector_typeIyLj2EES7_SF_ZZZNS5_IS7_EEvS9_mlSA_ENKSB_clEvENKSC_clEvEUlmE_EEvS9_T2_RKT3_T4_EUlimE0_EEvlNS_15PhiloxCudaStateET1_SM_,comdat
.Lfunc_end37:
	.size	_ZN2at6native12_GLOBAL__N_143distribution_elementwise_grid_stride_kernelImLi2EZZZNS0_9templates4cuda21random_from_to_kernelIPNS_17CUDAGeneratorImplEEEvRNS_18TensorIteratorBaseEmlT_ENKUlvE_clEvENKUlvE8_clEvEUlP25hiprandStatePhilox4_32_10E_ZNS1_27distribution_nullary_kernelIN3c108BFloat16Em15HIP_vector_typeIyLj2EES7_SF_ZZZNS5_IS7_EEvS9_mlSA_ENKSB_clEvENKSC_clEvEUlmE_EEvS9_T2_RKT3_T4_EUlimE0_EEvlNS_15PhiloxCudaStateET1_SM_, .Lfunc_end37-_ZN2at6native12_GLOBAL__N_143distribution_elementwise_grid_stride_kernelImLi2EZZZNS0_9templates4cuda21random_from_to_kernelIPNS_17CUDAGeneratorImplEEEvRNS_18TensorIteratorBaseEmlT_ENKUlvE_clEvENKUlvE8_clEvEUlP25hiprandStatePhilox4_32_10E_ZNS1_27distribution_nullary_kernelIN3c108BFloat16Em15HIP_vector_typeIyLj2EES7_SF_ZZZNS5_IS7_EEvS9_mlSA_ENKSB_clEvENKSC_clEvEUlmE_EEvS9_T2_RKT3_T4_EUlimE0_EEvlNS_15PhiloxCudaStateET1_SM_
                                        ; -- End function
	.section	.AMDGPU.csdata,"",@progbits
; Kernel info:
; codeLenInByte = 4828
; NumSgprs: 72
; NumVgprs: 46
; NumAgprs: 0
; TotalNumVgprs: 46
; ScratchSize: 0
; MemoryBound: 0
; FloatMode: 240
; IeeeMode: 1
; LDSByteSize: 0 bytes/workgroup (compile time only)
; SGPRBlocks: 8
; VGPRBlocks: 5
; NumSGPRsForWavesPerEU: 72
; NumVGPRsForWavesPerEU: 46
; AccumOffset: 48
; Occupancy: 8
; WaveLimiterHint : 1
; COMPUTE_PGM_RSRC2:SCRATCH_EN: 0
; COMPUTE_PGM_RSRC2:USER_SGPR: 6
; COMPUTE_PGM_RSRC2:TRAP_HANDLER: 0
; COMPUTE_PGM_RSRC2:TGID_X_EN: 1
; COMPUTE_PGM_RSRC2:TGID_Y_EN: 0
; COMPUTE_PGM_RSRC2:TGID_Z_EN: 0
; COMPUTE_PGM_RSRC2:TIDIG_COMP_CNT: 0
; COMPUTE_PGM_RSRC3_GFX90A:ACCUM_OFFSET: 11
; COMPUTE_PGM_RSRC3_GFX90A:TG_SPLIT: 0
	.section	.text._ZN2at6native12_GLOBAL__N_143distribution_elementwise_grid_stride_kernelIjLi4EZZZNS0_9templates4cuda21random_from_to_kernelIPNS_17CUDAGeneratorImplEEEvRNS_18TensorIteratorBaseEmlT_ENKUlvE_clEvENKUlvE8_clEvEUlP25hiprandStatePhilox4_32_10E0_ZNS1_27distribution_nullary_kernelIN3c108BFloat16Ej15HIP_vector_typeIjLj4EES7_SF_ZZZNS5_IS7_EEvS9_mlSA_ENKSB_clEvENKSC_clEvEUljE_EEvS9_T2_RKT3_T4_EUlijE_EEvlNS_15PhiloxCudaStateET1_SM_,"axG",@progbits,_ZN2at6native12_GLOBAL__N_143distribution_elementwise_grid_stride_kernelIjLi4EZZZNS0_9templates4cuda21random_from_to_kernelIPNS_17CUDAGeneratorImplEEEvRNS_18TensorIteratorBaseEmlT_ENKUlvE_clEvENKUlvE8_clEvEUlP25hiprandStatePhilox4_32_10E0_ZNS1_27distribution_nullary_kernelIN3c108BFloat16Ej15HIP_vector_typeIjLj4EES7_SF_ZZZNS5_IS7_EEvS9_mlSA_ENKSB_clEvENKSC_clEvEUljE_EEvS9_T2_RKT3_T4_EUlijE_EEvlNS_15PhiloxCudaStateET1_SM_,comdat
	.globl	_ZN2at6native12_GLOBAL__N_143distribution_elementwise_grid_stride_kernelIjLi4EZZZNS0_9templates4cuda21random_from_to_kernelIPNS_17CUDAGeneratorImplEEEvRNS_18TensorIteratorBaseEmlT_ENKUlvE_clEvENKUlvE8_clEvEUlP25hiprandStatePhilox4_32_10E0_ZNS1_27distribution_nullary_kernelIN3c108BFloat16Ej15HIP_vector_typeIjLj4EES7_SF_ZZZNS5_IS7_EEvS9_mlSA_ENKSB_clEvENKSC_clEvEUljE_EEvS9_T2_RKT3_T4_EUlijE_EEvlNS_15PhiloxCudaStateET1_SM_ ; -- Begin function _ZN2at6native12_GLOBAL__N_143distribution_elementwise_grid_stride_kernelIjLi4EZZZNS0_9templates4cuda21random_from_to_kernelIPNS_17CUDAGeneratorImplEEEvRNS_18TensorIteratorBaseEmlT_ENKUlvE_clEvENKUlvE8_clEvEUlP25hiprandStatePhilox4_32_10E0_ZNS1_27distribution_nullary_kernelIN3c108BFloat16Ej15HIP_vector_typeIjLj4EES7_SF_ZZZNS5_IS7_EEvS9_mlSA_ENKSB_clEvENKSC_clEvEUljE_EEvS9_T2_RKT3_T4_EUlijE_EEvlNS_15PhiloxCudaStateET1_SM_
	.p2align	8
	.type	_ZN2at6native12_GLOBAL__N_143distribution_elementwise_grid_stride_kernelIjLi4EZZZNS0_9templates4cuda21random_from_to_kernelIPNS_17CUDAGeneratorImplEEEvRNS_18TensorIteratorBaseEmlT_ENKUlvE_clEvENKUlvE8_clEvEUlP25hiprandStatePhilox4_32_10E0_ZNS1_27distribution_nullary_kernelIN3c108BFloat16Ej15HIP_vector_typeIjLj4EES7_SF_ZZZNS5_IS7_EEvS9_mlSA_ENKSB_clEvENKSC_clEvEUljE_EEvS9_T2_RKT3_T4_EUlijE_EEvlNS_15PhiloxCudaStateET1_SM_,@function
_ZN2at6native12_GLOBAL__N_143distribution_elementwise_grid_stride_kernelIjLi4EZZZNS0_9templates4cuda21random_from_to_kernelIPNS_17CUDAGeneratorImplEEEvRNS_18TensorIteratorBaseEmlT_ENKUlvE_clEvENKUlvE8_clEvEUlP25hiprandStatePhilox4_32_10E0_ZNS1_27distribution_nullary_kernelIN3c108BFloat16Ej15HIP_vector_typeIjLj4EES7_SF_ZZZNS5_IS7_EEvS9_mlSA_ENKSB_clEvENKSC_clEvEUljE_EEvS9_T2_RKT3_T4_EUlijE_EEvlNS_15PhiloxCudaStateET1_SM_: ; @_ZN2at6native12_GLOBAL__N_143distribution_elementwise_grid_stride_kernelIjLi4EZZZNS0_9templates4cuda21random_from_to_kernelIPNS_17CUDAGeneratorImplEEEvRNS_18TensorIteratorBaseEmlT_ENKUlvE_clEvENKUlvE8_clEvEUlP25hiprandStatePhilox4_32_10E0_ZNS1_27distribution_nullary_kernelIN3c108BFloat16Ej15HIP_vector_typeIjLj4EES7_SF_ZZZNS5_IS7_EEvS9_mlSA_ENKSB_clEvENKSC_clEvEUljE_EEvS9_T2_RKT3_T4_EUlijE_EEvlNS_15PhiloxCudaStateET1_SM_
; %bb.0:
	s_load_dword s7, s[4:5], 0x20
	s_load_dwordx2 s[10:11], s[4:5], 0x10
	s_load_dwordx4 s[0:3], s[4:5], 0x0
	s_mov_b32 s8, 0
	s_waitcnt lgkmcnt(0)
	s_bitcmp0_b32 s7, 0
	v_pk_mov_b32 v[2:3], s[10:11], s[10:11] op_sel:[0,1]
	v_pk_mov_b32 v[14:15], s[2:3], s[2:3] op_sel:[0,1]
	s_cbranch_scc1 .LBB38_2
; %bb.1:
	v_pk_mov_b32 v[2:3], s[10:11], s[10:11] op_sel:[0,1]
	flat_load_dwordx2 v[2:3], v[2:3]
	v_pk_mov_b32 v[4:5], s[2:3], s[2:3] op_sel:[0,1]
	flat_load_dwordx2 v[14:15], v[4:5]
	s_load_dwordx2 s[2:3], s[4:5], 0x18
	s_waitcnt lgkmcnt(0)
	v_mov_b32_e32 v1, s3
	s_waitcnt vmcnt(0)
	v_add_co_u32_e32 v2, vcc, s2, v2
	v_addc_co_u32_e32 v3, vcc, v3, v1, vcc
.LBB38_2:
	s_load_dword s2, s[4:5], 0x5c
	s_load_dword s14, s[4:5], 0x50
	s_waitcnt lgkmcnt(0)
	s_and_b32 s7, s2, 0xffff
	s_add_u32 s10, s0, -1
	s_mul_i32 s16, s14, s7
	s_addc_u32 s9, s1, -1
	s_lshl_b32 s17, s16, 2
	s_cmp_lg_u64 s[8:9], 0
	s_mov_b64 s[2:3], -1
	s_cbranch_scc0 .LBB38_35
; %bb.3:
	v_cvt_f32_u32_e32 v1, s17
	v_cvt_f32_ubyte0_e32 v4, 0
	s_sub_u32 s8, 0, s17
	s_subb_u32 s11, 0, 0
	v_madmk_f32 v1, v4, 0x4f800000, v1
	v_rcp_f32_e32 v1, v1
	v_mul_f32_e32 v1, 0x5f7ffffc, v1
	v_mul_f32_e32 v4, 0x2f800000, v1
	v_trunc_f32_e32 v4, v4
	v_madmk_f32 v1, v4, 0xcf800000, v1
	v_cvt_u32_f32_e32 v4, v4
	v_cvt_u32_f32_e32 v1, v1
	v_readfirstlane_b32 s12, v4
	v_readfirstlane_b32 s13, v1
	s_mul_i32 s15, s8, s12
	s_mul_hi_u32 s19, s8, s13
	s_mul_i32 s18, s11, s13
	s_add_i32 s15, s19, s15
	s_add_i32 s15, s15, s18
	s_mul_i32 s20, s8, s13
	s_mul_hi_u32 s18, s13, s15
	s_mul_i32 s19, s13, s15
	s_mul_hi_u32 s13, s13, s20
	s_add_u32 s13, s13, s19
	s_addc_u32 s18, 0, s18
	s_mul_hi_u32 s21, s12, s20
	s_mul_i32 s20, s12, s20
	s_add_u32 s13, s13, s20
	s_mul_hi_u32 s19, s12, s15
	s_addc_u32 s13, s18, s21
	s_addc_u32 s18, s19, 0
	s_mul_i32 s15, s12, s15
	s_add_u32 s13, s13, s15
	s_addc_u32 s15, 0, s18
	v_add_co_u32_e32 v1, vcc, s13, v1
	s_cmp_lg_u64 vcc, 0
	s_addc_u32 s12, s12, s15
	v_readfirstlane_b32 s15, v1
	s_mul_i32 s13, s8, s12
	s_mul_hi_u32 s18, s8, s15
	s_add_i32 s13, s18, s13
	s_mul_i32 s11, s11, s15
	s_add_i32 s13, s13, s11
	s_mul_i32 s8, s8, s15
	s_mul_hi_u32 s18, s12, s8
	s_mul_i32 s19, s12, s8
	s_mul_i32 s21, s15, s13
	s_mul_hi_u32 s8, s15, s8
	s_mul_hi_u32 s20, s15, s13
	s_add_u32 s8, s8, s21
	s_addc_u32 s15, 0, s20
	s_add_u32 s8, s8, s19
	s_mul_hi_u32 s11, s12, s13
	s_addc_u32 s8, s15, s18
	s_addc_u32 s11, s11, 0
	s_mul_i32 s13, s12, s13
	s_add_u32 s8, s8, s13
	s_addc_u32 s11, 0, s11
	v_add_co_u32_e32 v1, vcc, s8, v1
	s_cmp_lg_u64 vcc, 0
	s_addc_u32 s11, s12, s11
	s_ashr_i32 s12, s9, 31
	s_add_u32 s8, s10, s12
	s_mov_b32 s13, s12
	s_addc_u32 s9, s9, s12
	s_xor_b64 s[8:9], s[8:9], s[12:13]
	v_readfirstlane_b32 s19, v1
	s_mul_i32 s18, s8, s11
	s_mul_hi_u32 s20, s8, s19
	s_mul_hi_u32 s15, s8, s11
	s_add_u32 s18, s20, s18
	s_addc_u32 s15, 0, s15
	s_mul_hi_u32 s21, s9, s19
	s_mul_i32 s19, s9, s19
	s_add_u32 s18, s18, s19
	s_mul_hi_u32 s20, s9, s11
	s_addc_u32 s15, s15, s21
	s_addc_u32 s18, s20, 0
	s_mul_i32 s11, s9, s11
	s_add_u32 s11, s15, s11
	s_addc_u32 s15, 0, s18
	s_add_u32 s18, s11, 1
	s_addc_u32 s19, s15, 0
	s_add_u32 s20, s11, 2
	s_mul_i32 s22, s17, s15
	s_mul_hi_u32 s23, s17, s11
	s_addc_u32 s21, s15, 0
	s_add_i32 s23, s23, s22
	s_mul_i32 s22, s17, s11
	v_mov_b32_e32 v1, s22
	v_sub_co_u32_e32 v1, vcc, s8, v1
	s_cmp_lg_u64 vcc, 0
	s_subb_u32 s8, s9, s23
	v_subrev_co_u32_e32 v4, vcc, s17, v1
	s_cmp_lg_u64 vcc, 0
	s_subb_u32 s9, s8, 0
	v_readfirstlane_b32 s22, v4
	s_cmp_ge_u32 s22, s17
	s_cselect_b32 s22, -1, 0
	s_cmp_eq_u32 s9, 0
	s_cselect_b32 s9, s22, -1
	s_cmp_lg_u32 s9, 0
	s_cselect_b32 s9, s21, s19
	v_readfirstlane_b32 s19, v1
	s_cselect_b32 s18, s20, s18
	s_cmp_ge_u32 s19, s17
	s_cselect_b32 s19, -1, 0
	s_cmp_eq_u32 s8, 0
	s_cselect_b32 s8, s19, -1
	s_cmp_lg_u32 s8, 0
	s_cselect_b32 s9, s9, s15
	s_cselect_b32 s8, s18, s11
	s_xor_b64 s[8:9], s[8:9], s[12:13]
	s_sub_u32 s8, s8, s12
	s_subb_u32 s9, s9, s12
	s_cbranch_execnz .LBB38_5
.LBB38_4:
	v_cvt_f32_u32_e32 v1, s17
	s_sub_i32 s2, 0, s17
	s_mov_b32 s9, 0
	v_rcp_iflag_f32_e32 v1, v1
	v_mul_f32_e32 v1, 0x4f7ffffe, v1
	v_cvt_u32_f32_e32 v1, v1
	v_readfirstlane_b32 s3, v1
	s_mul_i32 s2, s2, s3
	s_mul_hi_u32 s2, s3, s2
	s_add_i32 s3, s3, s2
	s_mul_hi_u32 s2, s10, s3
	s_mul_i32 s8, s2, s17
	s_sub_i32 s8, s10, s8
	s_add_i32 s3, s2, 1
	s_sub_i32 s10, s8, s17
	s_cmp_ge_u32 s8, s17
	s_cselect_b32 s2, s3, s2
	s_cselect_b32 s8, s10, s8
	s_add_i32 s3, s2, 1
	s_cmp_ge_u32 s8, s17
	s_cselect_b32 s8, s3, s2
.LBB38_5:
	v_mov_b32_e32 v1, 0
	v_mov_b32_e32 v4, s6
	v_mad_u64_u32 v[16:17], s[2:3], s7, v4, v[0:1]
	s_add_u32 s2, s8, 1
	s_addc_u32 s3, s9, 0
	s_mul_hi_u32 s8, s14, s7
	s_mul_i32 s3, s16, s3
	s_mul_hi_u32 s9, s16, s2
	s_add_i32 s3, s9, s3
	s_mul_i32 s8, s8, s2
	s_add_i32 s3, s3, s8
	s_mul_i32 s2, s16, s2
	s_lshl_b64 s[2:3], s[2:3], 2
	v_cmp_gt_i64_e32 vcc, s[2:3], v[16:17]
	s_and_saveexec_b64 s[8:9], vcc
	s_cbranch_execz .LBB38_34
; %bb.6:
	s_load_dwordx2 s[12:13], s[4:5], 0x30
	s_load_dword s15, s[4:5], 0x38
	s_load_dwordx4 s[8:11], s[4:5], 0x40
	v_mov_b32_e32 v4, v15
	s_mov_b32 s4, 0xdb3d7428
	v_add_co_u32_e32 v23, vcc, s4, v4
	s_mov_b32 s4, 0x5384540f
	v_add_co_u32_e32 v24, vcc, s4, v14
	;; [unrolled: 2-line block ×7, first 2 shown]
	s_mov_b32 s4, 0x9e3779b9
	v_alignbit_b32 v31, v3, v2, 2
	s_mov_b32 s19, 0xd2511f53
	v_add_co_u32_e32 v30, vcc, s4, v14
	v_mad_u64_u32 v[6:7], s[4:5], v31, s19, 0
	v_and_b32_e32 v20, 3, v2
	v_xor_b32_e32 v2, v7, v15
	v_xor_b32_e32 v2, v2, v17
	s_mov_b32 s20, 0xcd9e8d57
	v_mad_u64_u32 v[8:9], s[4:5], v2, s20, 0
	v_xor_b32_e32 v2, v30, v9
	v_mad_u64_u32 v[10:11], s[4:5], v16, s20, 0
	v_xor_b32_e32 v2, v2, v10
	;; [unrolled: 2-line block ×3, first 2 shown]
	v_lshrrev_b32_e32 v32, 2, v3
	v_xor_b32_e32 v2, v2, v32
	v_xor_b32_e32 v5, v29, v13
	v_mad_u64_u32 v[2:3], s[4:5], v2, s19, 0
	v_xor_b32_e32 v2, v5, v2
	v_mad_u64_u32 v[10:11], s[4:5], v2, s20, 0
	s_mov_b32 s4, 0xbb67ae85
	v_add_co_u32_e32 v33, vcc, s4, v4
	v_xor_b32_e32 v2, v33, v3
	v_xor_b32_e32 v2, v2, v6
	v_xor_b32_e32 v5, v28, v11
	v_mad_u64_u32 v[2:3], s[4:5], v2, s20, 0
	v_xor_b32_e32 v2, v5, v2
	v_mad_u64_u32 v[6:7], s[4:5], v2, s19, 0
	s_mov_b32 s4, 0x3c6ef372
	v_add_co_u32_e32 v34, vcc, s4, v14
	v_xor_b32_e32 v2, v34, v3
	;; [unrolled: 8-line block ×7, first 2 shown]
	v_xor_b32_e32 v2, v2, v12
	v_mad_u64_u32 v[2:3], s[4:5], v2, s20, 0
	s_mov_b32 s4, 0xf1bbcdc8
	v_add_co_u32_e32 v40, vcc, s4, v14
	v_xor_b32_e32 v3, v40, v3
	v_xor_b32_e32 v3, v3, v10
	v_mad_u64_u32 v[10:11], s[4:5], v3, s19, 0
	s_mul_i32 s4, s6, s7
	v_xor_b32_e32 v3, v11, v6
	v_add_u32_e32 v6, s4, v0
	s_waitcnt lgkmcnt(0)
	s_mul_i32 s4, s14, s15
	s_mul_i32 s4, s4, s7
	s_lshl_b32 s25, s4, 2
	s_mul_i32 s4, s14, 3
	s_add_i32 s4, s6, s4
	s_mul_i32 s4, s4, s7
	v_mul_lo_u32 v41, s15, v6
	v_add_u32_e32 v6, s4, v0
	s_lshl_b32 s4, s14, 1
	s_add_i32 s4, s6, s4
	s_mul_i32 s4, s4, s7
	v_mul_lo_u32 v42, s15, v6
	v_add_u32_e32 v6, s4, v0
	s_add_i32 s4, s6, s14
	s_mul_i32 s4, s4, s7
	s_mov_b32 s18, 0
	v_add_u32_e32 v21, 0x8ff34781, v14
	v_add_u32_e32 v22, 0x96a522ad, v15
	v_xor_b32_e32 v2, v9, v2
	v_add_u32_e32 v0, s4, v0
	v_xor_b32_e32 v2, v21, v2
	v_xor_b32_e32 v4, v22, v3
	v_mov_b32_e32 v3, v8
	v_mov_b32_e32 v5, v10
	s_lshl_b32 s21, s16, 1
	s_mov_b32 s22, s18
	s_mul_i32 s23, s16, 3
	s_mov_b32 s24, s18
	v_mul_lo_u32 v43, s15, v6
	v_mul_lo_u32 v44, s15, v0
	s_mov_b64 s[4:5], 0
	s_movk_i32 s26, 0x7fff
	s_mov_b32 s27, s18
	v_mov_b32_e32 v45, v16
	v_mov_b32_e32 v46, v17
	s_branch .LBB38_9
.LBB38_7:                               ;   in Loop: Header=BB38_9 Depth=1
	s_or_b64 exec, exec, s[14:15]
	v_mov_b32_e32 v3, s11
	v_add_co_u32_e32 v2, vcc, s10, v0
	v_addc_co_u32_e32 v3, vcc, v1, v3, vcc
	v_xor_b32_e32 v0, v2, v3
	v_ashrrev_i32_e32 v0, 31, v0
	v_ffbh_i32_e32 v10, v3
	v_add_u32_e32 v0, 32, v0
	v_add_u32_e32 v10, -1, v10
	v_min_u32_e32 v0, v10, v0
	v_lshlrev_b64 v[2:3], v0, v[2:3]
	v_min_u32_e32 v2, 1, v2
	v_or_b32_e32 v2, v3, v2
	v_cvt_f32_i32_e32 v10, v2
	v_sub_u32_e32 v0, 32, v0
	v_add_u32_e32 v4, s27, v42
	v_ashrrev_i32_e32 v5, 31, v4
	v_ldexp_f32 v0, v10, v0
	v_mov_b32_e32 v9, s13
	v_add_co_u32_e32 v2, vcc, s12, v4
	v_bfe_u32 v4, v0, 16, 1
	v_addc_co_u32_e32 v3, vcc, v9, v5, vcc
	v_add3_u32 v0, v0, v4, s26
	global_store_short_d16_hi v[2:3], v0, off
.LBB38_8:                               ;   in Loop: Header=BB38_9 Depth=1
	s_or_b64 exec, exec, s[6:7]
	v_add_co_u32_e32 v16, vcc, s17, v16
	v_addc_co_u32_e32 v17, vcc, 0, v17, vcc
	v_mov_b32_e32 v9, v18
	s_add_i32 s27, s27, s25
	v_cmp_le_i64_e32 vcc, s[2:3], v[16:17]
	v_pk_mov_b32 v[2:3], v[6:7], v[6:7] op_sel:[0,1]
	s_or_b64 s[4:5], vcc, s[4:5]
	v_pk_mov_b32 v[4:5], v[8:9], v[8:9] op_sel:[0,1]
	s_barrier
	s_andn2_b64 exec, exec, s[4:5]
	s_cbranch_execz .LBB38_34
.LBB38_9:                               ; =>This Inner Loop Header: Depth=1
	v_add_co_u32_e32 v31, vcc, 1, v31
	v_cndmask_b32_e64 v0, 0, 1, vcc
	v_addc_co_u32_e32 v32, vcc, 0, v32, vcc
	v_cmp_eq_u32_e32 vcc, 0, v32
	v_cndmask_b32_e32 v0, 0, v0, vcc
	v_add_u32_e32 v45, v0, v45
	v_cmp_eq_u32_e32 vcc, 0, v45
	v_cndmask_b32_e32 v0, 0, v0, vcc
	v_mad_u64_u32 v[6:7], s[6:7], v31, s19, 0
	v_mad_u64_u32 v[8:9], s[6:7], v45, s20, 0
	v_add_u32_e32 v46, v0, v46
	v_xor_b32_e32 v0, v9, v14
	v_xor_b32_e32 v7, v7, v15
	v_xor_b32_e32 v0, v32, v0
	v_xor_b32_e32 v7, v46, v7
	v_mad_u64_u32 v[10:11], s[6:7], v0, s19, 0
	v_mad_u64_u32 v[12:13], s[6:7], v7, s20, 0
	v_xor_b32_e32 v0, v30, v13
	v_xor_b32_e32 v7, v33, v11
	v_xor_b32_e32 v0, v0, v8
	v_xor_b32_e32 v8, v7, v6
	v_mad_u64_u32 v[6:7], s[6:7], v0, s19, 0
	v_mad_u64_u32 v[8:9], s[6:7], v8, s20, 0
	;; [unrolled: 6-line block ×9, first 2 shown]
	v_xor_b32_e32 v0, v13, v6
	v_xor_b32_e32 v6, v21, v0
	;; [unrolled: 1-line block ×4, first 2 shown]
	v_mov_b32_e32 v7, v12
	v_mov_b32_e32 v8, v13
	v_cmp_lt_i32_e32 vcc, 1, v20
	s_and_saveexec_b64 s[6:7], vcc
	s_xor_b64 s[6:7], exec, s[6:7]
	s_cbranch_execnz .LBB38_12
; %bb.10:                               ;   in Loop: Header=BB38_9 Depth=1
	s_andn2_saveexec_b64 s[6:7], s[6:7]
	s_cbranch_execnz .LBB38_17
.LBB38_11:                              ;   in Loop: Header=BB38_9 Depth=1
	s_or_b64 exec, exec, s[6:7]
	v_cmp_gt_i64_e32 vcc, s[0:1], v[16:17]
	s_and_saveexec_b64 s[6:7], vcc
	s_cbranch_execnz .LBB38_20
	s_branch .LBB38_23
.LBB38_12:                              ;   in Loop: Header=BB38_9 Depth=1
	v_cmp_lt_i32_e32 vcc, 2, v20
	s_and_saveexec_b64 s[14:15], vcc
	s_xor_b64 s[14:15], exec, s[14:15]
; %bb.13:                               ;   in Loop: Header=BB38_9 Depth=1
	v_mov_b32_e32 v10, v5
	v_mov_b32_e32 v11, v6
	v_pk_mov_b32 v[2:3], v[10:11], v[10:11] op_sel:[0,1]
	v_pk_mov_b32 v[4:5], v[12:13], v[12:13] op_sel:[0,1]
                                        ; implicit-def: $vgpr12_vgpr13
; %bb.14:                               ;   in Loop: Header=BB38_9 Depth=1
	s_andn2_saveexec_b64 s[14:15], s[14:15]
; %bb.15:                               ;   in Loop: Header=BB38_9 Depth=1
	v_mov_b32_e32 v2, v4
	v_mov_b32_e32 v3, v5
	;; [unrolled: 1-line block ×4, first 2 shown]
; %bb.16:                               ;   in Loop: Header=BB38_9 Depth=1
	s_or_b64 exec, exec, s[14:15]
	s_andn2_saveexec_b64 s[6:7], s[6:7]
	s_cbranch_execz .LBB38_11
.LBB38_17:                              ;   in Loop: Header=BB38_9 Depth=1
	v_cmp_eq_u32_e32 vcc, 1, v20
	s_and_saveexec_b64 s[14:15], vcc
; %bb.18:                               ;   in Loop: Header=BB38_9 Depth=1
	v_mov_b32_e32 v2, v3
	v_mov_b32_e32 v3, v4
	;; [unrolled: 1-line block ×4, first 2 shown]
; %bb.19:                               ;   in Loop: Header=BB38_9 Depth=1
	s_or_b64 exec, exec, s[14:15]
	s_or_b64 exec, exec, s[6:7]
	v_cmp_gt_i64_e32 vcc, s[0:1], v[16:17]
	s_and_saveexec_b64 s[6:7], vcc
	s_cbranch_execz .LBB38_23
.LBB38_20:                              ;   in Loop: Header=BB38_9 Depth=1
	v_mov_b32_e32 v0, v2
	v_cmp_le_u64_e32 vcc, s[8:9], v[0:1]
	s_and_saveexec_b64 s[14:15], vcc
	s_cbranch_execz .LBB38_22
; %bb.21:                               ;   in Loop: Header=BB38_9 Depth=1
	v_cvt_f32_u32_e32 v2, s8
	s_sub_i32 s28, 0, s8
	v_rcp_iflag_f32_e32 v2, v2
	v_mul_f32_e32 v2, 0x4f7ffffe, v2
	v_cvt_u32_f32_e32 v2, v2
	v_mul_lo_u32 v9, s28, v2
	v_mul_hi_u32 v9, v2, v9
	v_add_u32_e32 v2, v2, v9
	v_mul_hi_u32 v2, v0, v2
	v_mul_lo_u32 v2, v2, s8
	v_sub_u32_e32 v0, v0, v2
	v_subrev_u32_e32 v2, s8, v0
	v_cmp_le_u32_e32 vcc, s8, v0
	v_cndmask_b32_e32 v0, v0, v2, vcc
	v_subrev_u32_e32 v2, s8, v0
	v_cmp_le_u32_e32 vcc, s8, v0
	v_cndmask_b32_e32 v0, v0, v2, vcc
.LBB38_22:                              ;   in Loop: Header=BB38_9 Depth=1
	s_or_b64 exec, exec, s[14:15]
	v_mov_b32_e32 v11, s11
	v_add_co_u32_e32 v10, vcc, s10, v0
	v_addc_co_u32_e32 v11, vcc, v1, v11, vcc
	v_xor_b32_e32 v0, v10, v11
	v_ashrrev_i32_e32 v0, 31, v0
	v_ffbh_i32_e32 v13, v11
	v_add_u32_e32 v0, 32, v0
	v_add_u32_e32 v13, -1, v13
	v_min_u32_e32 v0, v13, v0
	v_lshlrev_b64 v[10:11], v0, v[10:11]
	v_min_u32_e32 v10, 1, v10
	v_or_b32_e32 v10, v11, v10
	v_cvt_f32_i32_e32 v13, v10
	v_sub_u32_e32 v0, 32, v0
	v_add_u32_e32 v2, s27, v41
	v_ashrrev_i32_e32 v9, 31, v2
	v_ldexp_f32 v0, v13, v0
	v_mov_b32_e32 v12, s13
	v_add_co_u32_e32 v10, vcc, s12, v2
	v_bfe_u32 v2, v0, 16, 1
	v_addc_co_u32_e32 v11, vcc, v12, v9, vcc
	v_add3_u32 v0, v0, v2, s26
	global_store_short_d16_hi v[10:11], v0, off
.LBB38_23:                              ;   in Loop: Header=BB38_9 Depth=1
	s_or_b64 exec, exec, s[6:7]
	v_mov_b32_e32 v0, s18
	v_add_co_u32_e32 v10, vcc, s16, v16
	v_addc_co_u32_e32 v11, vcc, v0, v17, vcc
	v_cmp_gt_i64_e32 vcc, s[0:1], v[10:11]
	s_and_saveexec_b64 s[6:7], vcc
	s_cbranch_execz .LBB38_27
; %bb.24:                               ;   in Loop: Header=BB38_9 Depth=1
	v_mov_b32_e32 v0, v3
	v_cmp_le_u64_e32 vcc, s[8:9], v[0:1]
	s_and_saveexec_b64 s[14:15], vcc
	s_cbranch_execz .LBB38_26
; %bb.25:                               ;   in Loop: Header=BB38_9 Depth=1
	v_cvt_f32_u32_e32 v2, s8
	s_sub_i32 s28, 0, s8
	v_rcp_iflag_f32_e32 v2, v2
	v_mul_f32_e32 v2, 0x4f7ffffe, v2
	v_cvt_u32_f32_e32 v2, v2
	v_mul_lo_u32 v3, s28, v2
	v_mul_hi_u32 v3, v2, v3
	v_add_u32_e32 v2, v2, v3
	v_mul_hi_u32 v2, v0, v2
	v_mul_lo_u32 v2, v2, s8
	v_sub_u32_e32 v0, v0, v2
	v_subrev_u32_e32 v2, s8, v0
	v_cmp_le_u32_e32 vcc, s8, v0
	v_cndmask_b32_e32 v0, v0, v2, vcc
	v_subrev_u32_e32 v2, s8, v0
	v_cmp_le_u32_e32 vcc, s8, v0
	v_cndmask_b32_e32 v0, v0, v2, vcc
.LBB38_26:                              ;   in Loop: Header=BB38_9 Depth=1
	s_or_b64 exec, exec, s[14:15]
	v_mov_b32_e32 v3, s11
	v_add_co_u32_e32 v2, vcc, s10, v0
	v_addc_co_u32_e32 v3, vcc, v1, v3, vcc
	v_xor_b32_e32 v0, v2, v3
	v_ashrrev_i32_e32 v0, 31, v0
	v_ffbh_i32_e32 v12, v3
	v_add_u32_e32 v0, 32, v0
	v_add_u32_e32 v12, -1, v12
	v_min_u32_e32 v0, v12, v0
	v_lshlrev_b64 v[2:3], v0, v[2:3]
	v_min_u32_e32 v2, 1, v2
	v_or_b32_e32 v2, v3, v2
	v_cvt_f32_i32_e32 v12, v2
	v_sub_u32_e32 v0, 32, v0
	v_add_u32_e32 v9, s27, v44
	v_ashrrev_i32_e32 v10, 31, v9
	v_ldexp_f32 v0, v12, v0
	v_mov_b32_e32 v11, s13
	v_add_co_u32_e32 v2, vcc, s12, v9
	v_bfe_u32 v9, v0, 16, 1
	v_addc_co_u32_e32 v3, vcc, v11, v10, vcc
	v_add3_u32 v0, v0, v9, s26
	global_store_short_d16_hi v[2:3], v0, off
.LBB38_27:                              ;   in Loop: Header=BB38_9 Depth=1
	s_or_b64 exec, exec, s[6:7]
	v_mov_b32_e32 v0, s22
	v_add_co_u32_e32 v2, vcc, s21, v16
	v_addc_co_u32_e32 v3, vcc, v0, v17, vcc
	v_cmp_gt_i64_e32 vcc, s[0:1], v[2:3]
	s_and_saveexec_b64 s[6:7], vcc
	s_cbranch_execz .LBB38_31
; %bb.28:                               ;   in Loop: Header=BB38_9 Depth=1
	v_mov_b32_e32 v0, v4
	v_cmp_le_u64_e32 vcc, s[8:9], v[0:1]
	s_and_saveexec_b64 s[14:15], vcc
	s_cbranch_execz .LBB38_30
; %bb.29:                               ;   in Loop: Header=BB38_9 Depth=1
	v_cvt_f32_u32_e32 v2, s8
	s_sub_i32 s28, 0, s8
	v_rcp_iflag_f32_e32 v2, v2
	v_mul_f32_e32 v2, 0x4f7ffffe, v2
	v_cvt_u32_f32_e32 v2, v2
	v_mul_lo_u32 v3, s28, v2
	v_mul_hi_u32 v3, v2, v3
	v_add_u32_e32 v2, v2, v3
	v_mul_hi_u32 v2, v0, v2
	v_mul_lo_u32 v2, v2, s8
	v_sub_u32_e32 v0, v0, v2
	v_subrev_u32_e32 v2, s8, v0
	v_cmp_le_u32_e32 vcc, s8, v0
	v_cndmask_b32_e32 v0, v0, v2, vcc
	v_subrev_u32_e32 v2, s8, v0
	v_cmp_le_u32_e32 vcc, s8, v0
	v_cndmask_b32_e32 v0, v0, v2, vcc
.LBB38_30:                              ;   in Loop: Header=BB38_9 Depth=1
	s_or_b64 exec, exec, s[14:15]
	v_mov_b32_e32 v3, s11
	v_add_co_u32_e32 v2, vcc, s10, v0
	v_addc_co_u32_e32 v3, vcc, v1, v3, vcc
	v_xor_b32_e32 v0, v2, v3
	v_ashrrev_i32_e32 v0, 31, v0
	v_ffbh_i32_e32 v11, v3
	v_add_u32_e32 v0, 32, v0
	v_add_u32_e32 v11, -1, v11
	v_min_u32_e32 v0, v11, v0
	v_lshlrev_b64 v[2:3], v0, v[2:3]
	v_min_u32_e32 v2, 1, v2
	v_or_b32_e32 v2, v3, v2
	v_cvt_f32_i32_e32 v11, v2
	v_sub_u32_e32 v0, 32, v0
	v_add_u32_e32 v4, s27, v43
	v_ashrrev_i32_e32 v9, 31, v4
	v_ldexp_f32 v0, v11, v0
	v_mov_b32_e32 v10, s13
	v_add_co_u32_e32 v2, vcc, s12, v4
	v_bfe_u32 v4, v0, 16, 1
	v_addc_co_u32_e32 v3, vcc, v10, v9, vcc
	v_add3_u32 v0, v0, v4, s26
	global_store_short_d16_hi v[2:3], v0, off
.LBB38_31:                              ;   in Loop: Header=BB38_9 Depth=1
	s_or_b64 exec, exec, s[6:7]
	v_mov_b32_e32 v0, s24
	v_add_co_u32_e32 v2, vcc, s23, v16
	v_addc_co_u32_e32 v3, vcc, v0, v17, vcc
	v_cmp_gt_i64_e32 vcc, s[0:1], v[2:3]
	s_and_saveexec_b64 s[6:7], vcc
	s_cbranch_execz .LBB38_8
; %bb.32:                               ;   in Loop: Header=BB38_9 Depth=1
	v_mov_b32_e32 v0, v5
	v_cmp_le_u64_e32 vcc, s[8:9], v[0:1]
	s_and_saveexec_b64 s[14:15], vcc
	s_cbranch_execz .LBB38_7
; %bb.33:                               ;   in Loop: Header=BB38_9 Depth=1
	v_cvt_f32_u32_e32 v2, s8
	s_sub_i32 s28, 0, s8
	v_rcp_iflag_f32_e32 v2, v2
	v_mul_f32_e32 v2, 0x4f7ffffe, v2
	v_cvt_u32_f32_e32 v2, v2
	v_mul_lo_u32 v3, s28, v2
	v_mul_hi_u32 v3, v2, v3
	v_add_u32_e32 v2, v2, v3
	v_mul_hi_u32 v2, v0, v2
	v_mul_lo_u32 v2, v2, s8
	v_sub_u32_e32 v0, v0, v2
	v_subrev_u32_e32 v2, s8, v0
	v_cmp_le_u32_e32 vcc, s8, v0
	v_cndmask_b32_e32 v0, v0, v2, vcc
	v_subrev_u32_e32 v2, s8, v0
	v_cmp_le_u32_e32 vcc, s8, v0
	v_cndmask_b32_e32 v0, v0, v2, vcc
	s_branch .LBB38_7
.LBB38_34:
	s_endpgm
.LBB38_35:
                                        ; implicit-def: $sgpr8_sgpr9
	s_andn2_b64 vcc, exec, s[2:3]
	s_cbranch_vccz .LBB38_4
	s_branch .LBB38_5
	.section	.rodata,"a",@progbits
	.p2align	6, 0x0
	.amdhsa_kernel _ZN2at6native12_GLOBAL__N_143distribution_elementwise_grid_stride_kernelIjLi4EZZZNS0_9templates4cuda21random_from_to_kernelIPNS_17CUDAGeneratorImplEEEvRNS_18TensorIteratorBaseEmlT_ENKUlvE_clEvENKUlvE8_clEvEUlP25hiprandStatePhilox4_32_10E0_ZNS1_27distribution_nullary_kernelIN3c108BFloat16Ej15HIP_vector_typeIjLj4EES7_SF_ZZZNS5_IS7_EEvS9_mlSA_ENKSB_clEvENKSC_clEvEUljE_EEvS9_T2_RKT3_T4_EUlijE_EEvlNS_15PhiloxCudaStateET1_SM_
		.amdhsa_group_segment_fixed_size 0
		.amdhsa_private_segment_fixed_size 0
		.amdhsa_kernarg_size 336
		.amdhsa_user_sgpr_count 6
		.amdhsa_user_sgpr_private_segment_buffer 1
		.amdhsa_user_sgpr_dispatch_ptr 0
		.amdhsa_user_sgpr_queue_ptr 0
		.amdhsa_user_sgpr_kernarg_segment_ptr 1
		.amdhsa_user_sgpr_dispatch_id 0
		.amdhsa_user_sgpr_flat_scratch_init 0
		.amdhsa_user_sgpr_kernarg_preload_length 0
		.amdhsa_user_sgpr_kernarg_preload_offset 0
		.amdhsa_user_sgpr_private_segment_size 0
		.amdhsa_uses_dynamic_stack 0
		.amdhsa_system_sgpr_private_segment_wavefront_offset 0
		.amdhsa_system_sgpr_workgroup_id_x 1
		.amdhsa_system_sgpr_workgroup_id_y 0
		.amdhsa_system_sgpr_workgroup_id_z 0
		.amdhsa_system_sgpr_workgroup_info 0
		.amdhsa_system_vgpr_workitem_id 0
		.amdhsa_next_free_vgpr 47
		.amdhsa_next_free_sgpr 29
		.amdhsa_accum_offset 48
		.amdhsa_reserve_vcc 1
		.amdhsa_reserve_flat_scratch 0
		.amdhsa_float_round_mode_32 0
		.amdhsa_float_round_mode_16_64 0
		.amdhsa_float_denorm_mode_32 3
		.amdhsa_float_denorm_mode_16_64 3
		.amdhsa_dx10_clamp 1
		.amdhsa_ieee_mode 1
		.amdhsa_fp16_overflow 0
		.amdhsa_tg_split 0
		.amdhsa_exception_fp_ieee_invalid_op 0
		.amdhsa_exception_fp_denorm_src 0
		.amdhsa_exception_fp_ieee_div_zero 0
		.amdhsa_exception_fp_ieee_overflow 0
		.amdhsa_exception_fp_ieee_underflow 0
		.amdhsa_exception_fp_ieee_inexact 0
		.amdhsa_exception_int_div_zero 0
	.end_amdhsa_kernel
	.section	.text._ZN2at6native12_GLOBAL__N_143distribution_elementwise_grid_stride_kernelIjLi4EZZZNS0_9templates4cuda21random_from_to_kernelIPNS_17CUDAGeneratorImplEEEvRNS_18TensorIteratorBaseEmlT_ENKUlvE_clEvENKUlvE8_clEvEUlP25hiprandStatePhilox4_32_10E0_ZNS1_27distribution_nullary_kernelIN3c108BFloat16Ej15HIP_vector_typeIjLj4EES7_SF_ZZZNS5_IS7_EEvS9_mlSA_ENKSB_clEvENKSC_clEvEUljE_EEvS9_T2_RKT3_T4_EUlijE_EEvlNS_15PhiloxCudaStateET1_SM_,"axG",@progbits,_ZN2at6native12_GLOBAL__N_143distribution_elementwise_grid_stride_kernelIjLi4EZZZNS0_9templates4cuda21random_from_to_kernelIPNS_17CUDAGeneratorImplEEEvRNS_18TensorIteratorBaseEmlT_ENKUlvE_clEvENKUlvE8_clEvEUlP25hiprandStatePhilox4_32_10E0_ZNS1_27distribution_nullary_kernelIN3c108BFloat16Ej15HIP_vector_typeIjLj4EES7_SF_ZZZNS5_IS7_EEvS9_mlSA_ENKSB_clEvENKSC_clEvEUljE_EEvS9_T2_RKT3_T4_EUlijE_EEvlNS_15PhiloxCudaStateET1_SM_,comdat
.Lfunc_end38:
	.size	_ZN2at6native12_GLOBAL__N_143distribution_elementwise_grid_stride_kernelIjLi4EZZZNS0_9templates4cuda21random_from_to_kernelIPNS_17CUDAGeneratorImplEEEvRNS_18TensorIteratorBaseEmlT_ENKUlvE_clEvENKUlvE8_clEvEUlP25hiprandStatePhilox4_32_10E0_ZNS1_27distribution_nullary_kernelIN3c108BFloat16Ej15HIP_vector_typeIjLj4EES7_SF_ZZZNS5_IS7_EEvS9_mlSA_ENKSB_clEvENKSC_clEvEUljE_EEvS9_T2_RKT3_T4_EUlijE_EEvlNS_15PhiloxCudaStateET1_SM_, .Lfunc_end38-_ZN2at6native12_GLOBAL__N_143distribution_elementwise_grid_stride_kernelIjLi4EZZZNS0_9templates4cuda21random_from_to_kernelIPNS_17CUDAGeneratorImplEEEvRNS_18TensorIteratorBaseEmlT_ENKUlvE_clEvENKUlvE8_clEvEUlP25hiprandStatePhilox4_32_10E0_ZNS1_27distribution_nullary_kernelIN3c108BFloat16Ej15HIP_vector_typeIjLj4EES7_SF_ZZZNS5_IS7_EEvS9_mlSA_ENKSB_clEvENKSC_clEvEUljE_EEvS9_T2_RKT3_T4_EUlijE_EEvlNS_15PhiloxCudaStateET1_SM_
                                        ; -- End function
	.section	.AMDGPU.csdata,"",@progbits
; Kernel info:
; codeLenInByte = 3120
; NumSgprs: 33
; NumVgprs: 47
; NumAgprs: 0
; TotalNumVgprs: 47
; ScratchSize: 0
; MemoryBound: 0
; FloatMode: 240
; IeeeMode: 1
; LDSByteSize: 0 bytes/workgroup (compile time only)
; SGPRBlocks: 4
; VGPRBlocks: 5
; NumSGPRsForWavesPerEU: 33
; NumVGPRsForWavesPerEU: 47
; AccumOffset: 48
; Occupancy: 8
; WaveLimiterHint : 0
; COMPUTE_PGM_RSRC2:SCRATCH_EN: 0
; COMPUTE_PGM_RSRC2:USER_SGPR: 6
; COMPUTE_PGM_RSRC2:TRAP_HANDLER: 0
; COMPUTE_PGM_RSRC2:TGID_X_EN: 1
; COMPUTE_PGM_RSRC2:TGID_Y_EN: 0
; COMPUTE_PGM_RSRC2:TGID_Z_EN: 0
; COMPUTE_PGM_RSRC2:TIDIG_COMP_CNT: 0
; COMPUTE_PGM_RSRC3_GFX90A:ACCUM_OFFSET: 11
; COMPUTE_PGM_RSRC3_GFX90A:TG_SPLIT: 0
	.section	.text._ZN2at6native12_GLOBAL__N_143distribution_elementwise_grid_stride_kernelIjLi4EZZZNS0_9templates4cuda21random_from_to_kernelIPNS_17CUDAGeneratorImplEEEvRNS_18TensorIteratorBaseEmlT_ENKUlvE_clEvENKUlvE8_clEvEUlP25hiprandStatePhilox4_32_10E0_ZNS1_27distribution_nullary_kernelIN3c108BFloat16Ej15HIP_vector_typeIjLj4EES7_SF_ZZZNS5_IS7_EEvS9_mlSA_ENKSB_clEvENKSC_clEvEUljE_EEvS9_T2_RKT3_T4_EUlijE0_EEvlNS_15PhiloxCudaStateET1_SM_,"axG",@progbits,_ZN2at6native12_GLOBAL__N_143distribution_elementwise_grid_stride_kernelIjLi4EZZZNS0_9templates4cuda21random_from_to_kernelIPNS_17CUDAGeneratorImplEEEvRNS_18TensorIteratorBaseEmlT_ENKUlvE_clEvENKUlvE8_clEvEUlP25hiprandStatePhilox4_32_10E0_ZNS1_27distribution_nullary_kernelIN3c108BFloat16Ej15HIP_vector_typeIjLj4EES7_SF_ZZZNS5_IS7_EEvS9_mlSA_ENKSB_clEvENKSC_clEvEUljE_EEvS9_T2_RKT3_T4_EUlijE0_EEvlNS_15PhiloxCudaStateET1_SM_,comdat
	.globl	_ZN2at6native12_GLOBAL__N_143distribution_elementwise_grid_stride_kernelIjLi4EZZZNS0_9templates4cuda21random_from_to_kernelIPNS_17CUDAGeneratorImplEEEvRNS_18TensorIteratorBaseEmlT_ENKUlvE_clEvENKUlvE8_clEvEUlP25hiprandStatePhilox4_32_10E0_ZNS1_27distribution_nullary_kernelIN3c108BFloat16Ej15HIP_vector_typeIjLj4EES7_SF_ZZZNS5_IS7_EEvS9_mlSA_ENKSB_clEvENKSC_clEvEUljE_EEvS9_T2_RKT3_T4_EUlijE0_EEvlNS_15PhiloxCudaStateET1_SM_ ; -- Begin function _ZN2at6native12_GLOBAL__N_143distribution_elementwise_grid_stride_kernelIjLi4EZZZNS0_9templates4cuda21random_from_to_kernelIPNS_17CUDAGeneratorImplEEEvRNS_18TensorIteratorBaseEmlT_ENKUlvE_clEvENKUlvE8_clEvEUlP25hiprandStatePhilox4_32_10E0_ZNS1_27distribution_nullary_kernelIN3c108BFloat16Ej15HIP_vector_typeIjLj4EES7_SF_ZZZNS5_IS7_EEvS9_mlSA_ENKSB_clEvENKSC_clEvEUljE_EEvS9_T2_RKT3_T4_EUlijE0_EEvlNS_15PhiloxCudaStateET1_SM_
	.p2align	8
	.type	_ZN2at6native12_GLOBAL__N_143distribution_elementwise_grid_stride_kernelIjLi4EZZZNS0_9templates4cuda21random_from_to_kernelIPNS_17CUDAGeneratorImplEEEvRNS_18TensorIteratorBaseEmlT_ENKUlvE_clEvENKUlvE8_clEvEUlP25hiprandStatePhilox4_32_10E0_ZNS1_27distribution_nullary_kernelIN3c108BFloat16Ej15HIP_vector_typeIjLj4EES7_SF_ZZZNS5_IS7_EEvS9_mlSA_ENKSB_clEvENKSC_clEvEUljE_EEvS9_T2_RKT3_T4_EUlijE0_EEvlNS_15PhiloxCudaStateET1_SM_,@function
_ZN2at6native12_GLOBAL__N_143distribution_elementwise_grid_stride_kernelIjLi4EZZZNS0_9templates4cuda21random_from_to_kernelIPNS_17CUDAGeneratorImplEEEvRNS_18TensorIteratorBaseEmlT_ENKUlvE_clEvENKUlvE8_clEvEUlP25hiprandStatePhilox4_32_10E0_ZNS1_27distribution_nullary_kernelIN3c108BFloat16Ej15HIP_vector_typeIjLj4EES7_SF_ZZZNS5_IS7_EEvS9_mlSA_ENKSB_clEvENKSC_clEvEUljE_EEvS9_T2_RKT3_T4_EUlijE0_EEvlNS_15PhiloxCudaStateET1_SM_: ; @_ZN2at6native12_GLOBAL__N_143distribution_elementwise_grid_stride_kernelIjLi4EZZZNS0_9templates4cuda21random_from_to_kernelIPNS_17CUDAGeneratorImplEEEvRNS_18TensorIteratorBaseEmlT_ENKUlvE_clEvENKUlvE8_clEvEUlP25hiprandStatePhilox4_32_10E0_ZNS1_27distribution_nullary_kernelIN3c108BFloat16Ej15HIP_vector_typeIjLj4EES7_SF_ZZZNS5_IS7_EEvS9_mlSA_ENKSB_clEvENKSC_clEvEUljE_EEvS9_T2_RKT3_T4_EUlijE0_EEvlNS_15PhiloxCudaStateET1_SM_
; %bb.0:
	s_load_dword s2, s[4:5], 0x20
	s_load_dwordx2 s[0:1], s[4:5], 0x10
	s_load_dwordx4 s[24:27], s[4:5], 0x0
	s_waitcnt lgkmcnt(0)
	s_bitcmp0_b32 s2, 0
	s_mov_b32 s2, 0
	v_pk_mov_b32 v[2:3], s[0:1], s[0:1] op_sel:[0,1]
	v_pk_mov_b32 v[14:15], s[26:27], s[26:27] op_sel:[0,1]
	s_cbranch_scc1 .LBB39_2
; %bb.1:
	v_pk_mov_b32 v[2:3], s[0:1], s[0:1] op_sel:[0,1]
	flat_load_dwordx2 v[2:3], v[2:3]
	v_pk_mov_b32 v[4:5], s[26:27], s[26:27] op_sel:[0,1]
	flat_load_dwordx2 v[14:15], v[4:5]
	s_load_dwordx2 s[0:1], s[4:5], 0x18
	s_waitcnt lgkmcnt(0)
	v_mov_b32_e32 v1, s1
	s_waitcnt vmcnt(0)
	v_add_co_u32_e32 v2, vcc, s0, v2
	v_addc_co_u32_e32 v3, vcc, v3, v1, vcc
.LBB39_2:
	s_load_dword s0, s[4:5], 0x15c
	s_load_dword s7, s[4:5], 0x150
	s_waitcnt lgkmcnt(0)
	s_and_b32 s8, s0, 0xffff
	s_add_u32 s9, s24, -1
	s_mul_i32 s33, s7, s8
	s_addc_u32 s3, s25, -1
	s_lshl_b32 s62, s33, 2
	s_cmp_lg_u64 s[2:3], 0
	s_mov_b64 s[0:1], -1
	s_cbranch_scc0 .LBB39_91
; %bb.3:
	v_cvt_f32_u32_e32 v1, s62
	v_cvt_f32_ubyte0_e32 v4, 0
	s_sub_u32 s2, 0, s62
	s_subb_u32 s10, 0, 0
	v_madmk_f32 v1, v4, 0x4f800000, v1
	v_rcp_f32_e32 v1, v1
	v_mul_f32_e32 v1, 0x5f7ffffc, v1
	v_mul_f32_e32 v4, 0x2f800000, v1
	v_trunc_f32_e32 v4, v4
	v_madmk_f32 v1, v4, 0xcf800000, v1
	v_cvt_u32_f32_e32 v4, v4
	v_cvt_u32_f32_e32 v1, v1
	v_readfirstlane_b32 s11, v4
	v_readfirstlane_b32 s12, v1
	s_mul_i32 s13, s2, s11
	s_mul_hi_u32 s15, s2, s12
	s_mul_i32 s14, s10, s12
	s_add_i32 s13, s15, s13
	s_add_i32 s13, s13, s14
	s_mul_i32 s16, s2, s12
	s_mul_hi_u32 s14, s12, s13
	s_mul_i32 s15, s12, s13
	s_mul_hi_u32 s12, s12, s16
	s_add_u32 s12, s12, s15
	s_addc_u32 s14, 0, s14
	s_mul_hi_u32 s17, s11, s16
	s_mul_i32 s16, s11, s16
	s_add_u32 s12, s12, s16
	s_mul_hi_u32 s15, s11, s13
	s_addc_u32 s12, s14, s17
	s_addc_u32 s14, s15, 0
	s_mul_i32 s13, s11, s13
	s_add_u32 s12, s12, s13
	s_addc_u32 s13, 0, s14
	v_add_co_u32_e32 v1, vcc, s12, v1
	s_cmp_lg_u64 vcc, 0
	s_addc_u32 s11, s11, s13
	v_readfirstlane_b32 s13, v1
	s_mul_i32 s12, s2, s11
	s_mul_hi_u32 s14, s2, s13
	s_add_i32 s12, s14, s12
	s_mul_i32 s10, s10, s13
	s_add_i32 s12, s12, s10
	s_mul_i32 s2, s2, s13
	s_mul_hi_u32 s14, s11, s2
	s_mul_i32 s15, s11, s2
	s_mul_i32 s17, s13, s12
	s_mul_hi_u32 s2, s13, s2
	s_mul_hi_u32 s16, s13, s12
	s_add_u32 s2, s2, s17
	s_addc_u32 s13, 0, s16
	s_add_u32 s2, s2, s15
	s_mul_hi_u32 s10, s11, s12
	s_addc_u32 s2, s13, s14
	s_addc_u32 s10, s10, 0
	s_mul_i32 s12, s11, s12
	s_add_u32 s2, s2, s12
	s_addc_u32 s10, 0, s10
	v_add_co_u32_e32 v1, vcc, s2, v1
	s_cmp_lg_u64 vcc, 0
	s_addc_u32 s12, s11, s10
	s_ashr_i32 s10, s3, 31
	s_add_u32 s2, s9, s10
	s_mov_b32 s11, s10
	s_addc_u32 s3, s3, s10
	s_xor_b64 s[2:3], s[2:3], s[10:11]
	v_readfirstlane_b32 s15, v1
	s_mul_i32 s14, s2, s12
	s_mul_hi_u32 s16, s2, s15
	s_mul_hi_u32 s13, s2, s12
	s_add_u32 s14, s16, s14
	s_addc_u32 s13, 0, s13
	s_mul_hi_u32 s17, s3, s15
	s_mul_i32 s15, s3, s15
	s_add_u32 s14, s14, s15
	s_mul_hi_u32 s16, s3, s12
	s_addc_u32 s13, s13, s17
	s_addc_u32 s14, s16, 0
	s_mul_i32 s12, s3, s12
	s_add_u32 s12, s13, s12
	s_addc_u32 s13, 0, s14
	s_add_u32 s14, s12, 1
	s_addc_u32 s15, s13, 0
	s_add_u32 s16, s12, 2
	s_mul_i32 s18, s62, s13
	s_mul_hi_u32 s19, s62, s12
	s_addc_u32 s17, s13, 0
	s_add_i32 s19, s19, s18
	s_mul_i32 s18, s62, s12
	v_mov_b32_e32 v1, s18
	v_sub_co_u32_e32 v1, vcc, s2, v1
	s_cmp_lg_u64 vcc, 0
	s_subb_u32 s2, s3, s19
	v_subrev_co_u32_e32 v4, vcc, s62, v1
	s_cmp_lg_u64 vcc, 0
	s_subb_u32 s3, s2, 0
	v_readfirstlane_b32 s18, v4
	s_cmp_ge_u32 s18, s62
	s_cselect_b32 s18, -1, 0
	s_cmp_eq_u32 s3, 0
	s_cselect_b32 s3, s18, -1
	s_cmp_lg_u32 s3, 0
	s_cselect_b32 s3, s17, s15
	v_readfirstlane_b32 s15, v1
	s_cselect_b32 s14, s16, s14
	s_cmp_ge_u32 s15, s62
	s_cselect_b32 s15, -1, 0
	s_cmp_eq_u32 s2, 0
	s_cselect_b32 s2, s15, -1
	s_cmp_lg_u32 s2, 0
	s_cselect_b32 s3, s3, s13
	s_cselect_b32 s2, s14, s12
	s_xor_b64 s[2:3], s[2:3], s[10:11]
	s_sub_u32 s2, s2, s10
	s_subb_u32 s3, s3, s10
	s_cbranch_execnz .LBB39_5
.LBB39_4:
	v_cvt_f32_u32_e32 v1, s62
	s_sub_i32 s0, 0, s62
	s_mov_b32 s3, 0
	v_rcp_iflag_f32_e32 v1, v1
	v_mul_f32_e32 v1, 0x4f7ffffe, v1
	v_cvt_u32_f32_e32 v1, v1
	v_readfirstlane_b32 s1, v1
	s_mul_i32 s0, s0, s1
	s_mul_hi_u32 s0, s1, s0
	s_add_i32 s1, s1, s0
	s_mul_hi_u32 s0, s9, s1
	s_mul_i32 s2, s0, s62
	s_sub_i32 s2, s9, s2
	s_add_i32 s1, s0, 1
	s_sub_i32 s9, s2, s62
	s_cmp_ge_u32 s2, s62
	s_cselect_b32 s0, s1, s0
	s_cselect_b32 s2, s9, s2
	s_add_i32 s1, s0, 1
	s_cmp_ge_u32 s2, s62
	s_cselect_b32 s2, s1, s0
.LBB39_5:
	v_mov_b32_e32 v1, 0
	v_mov_b32_e32 v4, s6
	v_mad_u64_u32 v[16:17], s[0:1], s8, v4, v[0:1]
	s_add_u32 s0, s2, 1
	s_addc_u32 s1, s3, 0
	s_mul_hi_u32 s2, s7, s8
	s_mul_i32 s1, s33, s1
	s_mul_hi_u32 s3, s33, s0
	s_add_i32 s1, s3, s1
	s_mul_i32 s2, s2, s0
	s_add_i32 s1, s1, s2
	s_mul_i32 s0, s33, s0
	s_lshl_b64 s[26:27], s[0:1], 2
	v_cmp_gt_i64_e32 vcc, s[26:27], v[16:17]
	s_and_saveexec_b64 s[0:1], vcc
	s_cbranch_execz .LBB39_90
; %bb.6:
	s_mov_b32 s0, 0x5384540f
	v_mov_b32_e32 v0, v15
	v_add_co_u32_e32 v24, vcc, s0, v14
	s_mov_b32 s0, 0x646e171e
	v_add_co_u32_e32 v25, vcc, s0, v0
	s_mov_b32 s0, 0x1715609d
	;; [unrolled: 2-line block ×6, first 2 shown]
	v_alignbit_b32 v31, v3, v2, 2
	s_mov_b32 s64, 0xd2511f53
	v_add_co_u32_e32 v30, vcc, s0, v14
	v_mad_u64_u32 v[4:5], s[0:1], v31, s64, 0
	v_and_b32_e32 v20, 3, v2
	v_xor_b32_e32 v2, v5, v15
	v_xor_b32_e32 v2, v2, v17
	s_mov_b32 s65, 0xcd9e8d57
	v_mad_u64_u32 v[6:7], s[0:1], v2, s65, 0
	v_xor_b32_e32 v2, v30, v7
	v_mad_u64_u32 v[8:9], s[0:1], v16, s65, 0
	v_xor_b32_e32 v2, v2, v8
	;; [unrolled: 2-line block ×3, first 2 shown]
	v_lshrrev_b32_e32 v32, 2, v3
	v_xor_b32_e32 v2, v2, v32
	v_xor_b32_e32 v5, v29, v11
	v_mad_u64_u32 v[2:3], s[0:1], v2, s64, 0
	v_xor_b32_e32 v2, v5, v2
	v_mad_u64_u32 v[8:9], s[0:1], v2, s65, 0
	s_mov_b32 s0, 0xbb67ae85
	v_add_co_u32_e32 v33, vcc, s0, v0
	v_xor_b32_e32 v2, v33, v3
	v_xor_b32_e32 v2, v2, v4
	v_xor_b32_e32 v5, v28, v9
	v_mad_u64_u32 v[2:3], s[0:1], v2, s65, 0
	v_xor_b32_e32 v2, v5, v2
	v_mad_u64_u32 v[4:5], s[0:1], v2, s64, 0
	s_mov_b32 s0, 0x3c6ef372
	v_add_co_u32_e32 v34, vcc, s0, v14
	v_xor_b32_e32 v2, v34, v3
	;; [unrolled: 8-line block ×6, first 2 shown]
	v_add_co_u32_e32 v23, vcc, 0xdb3d7428, v0
	v_xor_b32_e32 v2, v2, v6
	v_xor_b32_e32 v5, v23, v5
	v_mad_u64_u32 v[2:3], s[0:1], v2, s64, 0
	v_xor_b32_e32 v2, v5, v2
	v_mad_u64_u32 v[6:7], s[0:1], v2, s65, 0
	s_mov_b32 s0, 0x1fd5c5a3
	v_add_co_u32_e32 v39, vcc, s0, v0
	v_xor_b32_e32 v0, v39, v3
	v_xor_b32_e32 v0, v0, v10
	v_mad_u64_u32 v[2:3], s[0:1], v0, s65, 0
	s_mov_b32 s0, 0xf1bbcdc8
	s_load_dwordx8 s[8:15], s[4:5], 0x30
	v_add_u32_e32 v21, 0x8ff34781, v14
	v_xor_b32_e32 v0, v7, v2
	v_add_co_u32_e32 v40, vcc, s0, v14
	v_xor_b32_e32 v2, v21, v0
	v_xor_b32_e32 v0, v40, v3
	;; [unrolled: 1-line block ×3, first 2 shown]
	s_add_u32 s34, s4, 48
	v_mad_u64_u32 v[8:9], s[0:1], v0, s64, 0
	s_addc_u32 s35, s5, 0
	s_waitcnt lgkmcnt(0)
	s_add_i32 s0, s8, -1
	s_cmp_gt_u32 s0, 1
	s_cselect_b64 s[40:41], -1, 0
	s_cmp_lg_u32 s8, 0
	s_cselect_b64 s[42:43], -1, 0
	s_add_u32 s44, s4, 0xf4
	s_addc_u32 s45, s5, 0
	s_min_u32 s1, s0, 15
	s_cmp_gt_u32 s8, 1
	s_cselect_b64 s[46:47], -1, 0
	s_load_dwordx2 s[48:49], s[4:5], 0x148
	s_load_dwordx2 s[50:51], s[4:5], 0xf4
	s_load_dwordx4 s[28:31], s[4:5], 0x138
	s_add_i32 s1, s1, 1
	s_mov_b32 s8, s13
	s_lshl_b32 s13, s33, 1
	s_and_b32 s68, s1, 3
	s_cmp_lg_u32 s0, 2
	s_cselect_b64 s[52:53], -1, 0
	s_and_b32 s69, s1, 28
	s_mov_b32 s63, 0
	v_add_u32_e32 v22, 0x96a522ad, v15
	v_xor_b32_e32 v0, v9, v4
	s_cmp_lg_u32 s68, 0
	v_xor_b32_e32 v4, v22, v0
	v_mov_b32_e32 v3, v6
	v_mov_b32_e32 v5, v8
	s_mov_b32 s15, s63
	s_mul_i32 s66, s33, 3
	s_mov_b32 s67, s63
	s_mov_b64 s[54:55], 0
	s_cselect_b64 s[56:57], -1, 0
	s_movk_i32 s70, 0x7fff
	v_mov_b32_e32 v41, v16
	v_mov_b32_e32 v42, v17
	s_branch .LBB39_9
.LBB39_7:                               ;   in Loop: Header=BB39_9 Depth=1
	s_or_b64 exec, exec, s[0:1]
	v_mov_b32_e32 v3, s49
	v_add_co_u32_e32 v4, vcc, s48, v0
	v_addc_co_u32_e32 v5, vcc, v1, v3, vcc
	v_xor_b32_e32 v0, v4, v5
	v_ashrrev_i32_e32 v0, 31, v0
	v_ffbh_i32_e32 v3, v5
	v_add_u32_e32 v0, 32, v0
	v_add_u32_e32 v3, -1, v3
	v_min_u32_e32 v0, v3, v0
	v_lshlrev_b64 v[4:5], v0, v[4:5]
	v_min_u32_e32 v3, 1, v4
	v_or_b32_e32 v3, v5, v3
	v_cvt_f32_i32_e32 v3, v3
	v_sub_u32_e32 v0, 32, v0
	v_ldexp_f32 v0, v3, v0
	v_bfe_u32 v3, v0, 16, 1
	v_add3_u32 v0, v0, v3, s70
	global_store_short_d16_hi v2, v0, s[28:29]
.LBB39_8:                               ;   in Loop: Header=BB39_9 Depth=1
	s_or_b64 exec, exec, s[36:37]
	v_add_co_u32_e32 v16, vcc, s62, v16
	v_addc_co_u32_e32 v17, vcc, 0, v17, vcc
	v_mov_b32_e32 v9, v18
	v_cmp_le_i64_e32 vcc, s[26:27], v[16:17]
	v_pk_mov_b32 v[2:3], v[6:7], v[6:7] op_sel:[0,1]
	s_or_b64 s[54:55], vcc, s[54:55]
	v_pk_mov_b32 v[4:5], v[8:9], v[8:9] op_sel:[0,1]
	s_waitcnt lgkmcnt(0)
	s_barrier
	s_andn2_b64 exec, exec, s[54:55]
	s_cbranch_execz .LBB39_90
.LBB39_9:                               ; =>This Loop Header: Depth=1
                                        ;     Child Loop BB39_24 Depth 2
                                        ;     Child Loop BB39_30 Depth 2
	;; [unrolled: 1-line block ×8, first 2 shown]
	v_add_co_u32_e32 v31, vcc, 1, v31
	v_cndmask_b32_e64 v0, 0, 1, vcc
	v_addc_co_u32_e32 v32, vcc, 0, v32, vcc
	v_cmp_eq_u32_e32 vcc, 0, v32
	v_cndmask_b32_e32 v0, 0, v0, vcc
	v_add_u32_e32 v41, v0, v41
	v_cmp_eq_u32_e32 vcc, 0, v41
	v_cndmask_b32_e32 v0, 0, v0, vcc
	v_mad_u64_u32 v[6:7], s[0:1], v31, s64, 0
	v_mad_u64_u32 v[8:9], s[0:1], v41, s65, 0
	v_add_u32_e32 v42, v0, v42
	v_xor_b32_e32 v0, v9, v14
	v_xor_b32_e32 v7, v7, v15
	v_xor_b32_e32 v0, v32, v0
	v_xor_b32_e32 v7, v42, v7
	v_mad_u64_u32 v[10:11], s[0:1], v0, s64, 0
	v_mad_u64_u32 v[12:13], s[0:1], v7, s65, 0
	v_xor_b32_e32 v0, v30, v13
	v_xor_b32_e32 v7, v33, v11
	v_xor_b32_e32 v0, v0, v8
	v_xor_b32_e32 v8, v7, v6
	v_mad_u64_u32 v[6:7], s[0:1], v0, s64, 0
	v_mad_u64_u32 v[8:9], s[0:1], v8, s65, 0
	;; [unrolled: 6-line block ×9, first 2 shown]
	v_xor_b32_e32 v0, v13, v6
	v_xor_b32_e32 v6, v21, v0
	;; [unrolled: 1-line block ×4, first 2 shown]
	v_mov_b32_e32 v7, v12
	v_mov_b32_e32 v8, v13
	v_cmp_lt_i32_e32 vcc, 1, v20
	s_and_saveexec_b64 s[0:1], vcc
	s_xor_b64 s[0:1], exec, s[0:1]
	s_cbranch_execz .LBB39_15
; %bb.10:                               ;   in Loop: Header=BB39_9 Depth=1
	v_cmp_lt_i32_e32 vcc, 2, v20
	s_and_saveexec_b64 s[2:3], vcc
	s_xor_b64 s[2:3], exec, s[2:3]
; %bb.11:                               ;   in Loop: Header=BB39_9 Depth=1
	v_mov_b32_e32 v10, v5
	v_mov_b32_e32 v11, v6
	v_pk_mov_b32 v[2:3], v[10:11], v[10:11] op_sel:[0,1]
	v_pk_mov_b32 v[4:5], v[12:13], v[12:13] op_sel:[0,1]
                                        ; implicit-def: $vgpr12_vgpr13
; %bb.12:                               ;   in Loop: Header=BB39_9 Depth=1
	s_andn2_saveexec_b64 s[2:3], s[2:3]
; %bb.13:                               ;   in Loop: Header=BB39_9 Depth=1
	v_mov_b32_e32 v2, v4
	v_mov_b32_e32 v3, v5
	v_mov_b32_e32 v4, v6
	v_mov_b32_e32 v5, v12
; %bb.14:                               ;   in Loop: Header=BB39_9 Depth=1
	s_or_b64 exec, exec, s[2:3]
.LBB39_15:                              ;   in Loop: Header=BB39_9 Depth=1
	s_andn2_saveexec_b64 s[0:1], s[0:1]
	s_cbranch_execz .LBB39_19
; %bb.16:                               ;   in Loop: Header=BB39_9 Depth=1
	v_cmp_eq_u32_e32 vcc, 1, v20
	s_and_saveexec_b64 s[2:3], vcc
; %bb.17:                               ;   in Loop: Header=BB39_9 Depth=1
	v_mov_b32_e32 v2, v3
	v_mov_b32_e32 v3, v4
	;; [unrolled: 1-line block ×4, first 2 shown]
; %bb.18:                               ;   in Loop: Header=BB39_9 Depth=1
	s_or_b64 exec, exec, s[2:3]
.LBB39_19:                              ;   in Loop: Header=BB39_9 Depth=1
	s_or_b64 exec, exec, s[0:1]
	v_cndmask_b32_e64 v0, 0, 1, s[40:41]
	v_cmp_gt_i64_e32 vcc, s[24:25], v[16:17]
	v_cmp_ne_u32_e64 s[0:1], 1, v0
	s_and_saveexec_b64 s[2:3], vcc
	s_cbranch_execz .LBB39_37
; %bb.20:                               ;   in Loop: Header=BB39_9 Depth=1
	s_and_b64 vcc, exec, s[0:1]
	s_cbranch_vccnz .LBB39_26
; %bb.21:                               ;   in Loop: Header=BB39_9 Depth=1
	s_andn2_b64 vcc, exec, s[42:43]
	s_cbranch_vccnz .LBB39_27
; %bb.22:                               ;   in Loop: Header=BB39_9 Depth=1
	s_mov_b32 s6, 0
	s_andn2_b64 vcc, exec, s[52:53]
	v_mov_b32_e32 v10, 0
	s_cbranch_vccnz .LBB39_28
; %bb.23:                               ;   in Loop: Header=BB39_9 Depth=1
	s_mov_b32 s71, 0
	v_mov_b32_e32 v10, 0
	s_mov_b64 s[58:59], s[34:35]
	s_mov_b64 s[60:61], s[44:45]
	v_mov_b32_e32 v0, v16
.LBB39_24:                              ;   Parent Loop BB39_9 Depth=1
                                        ; =>  This Inner Loop Header: Depth=2
	s_load_dwordx8 s[16:23], s[58:59], 0x4
	s_load_dwordx4 s[4:7], s[58:59], 0x24
	s_load_dwordx4 s[36:39], s[60:61], 0x0
	s_add_u32 s58, s58, 48
	s_addc_u32 s59, s59, 0
	s_waitcnt lgkmcnt(0)
	v_mul_hi_u32 v9, s17, v0
	v_add_u32_e32 v9, v0, v9
	v_lshrrev_b32_e32 v9, s18, v9
	v_mul_lo_u32 v11, v9, s16
	v_mul_hi_u32 v12, s20, v9
	v_sub_u32_e32 v0, v0, v11
	v_add_u32_e32 v11, v9, v12
	v_lshrrev_b32_e32 v11, s21, v11
	v_mul_lo_u32 v12, v11, s19
	v_mul_hi_u32 v13, s23, v11
	v_sub_u32_e32 v9, v9, v12
	v_add_u32_e32 v12, v11, v13
	v_mul_lo_u32 v0, v0, s36
	v_mul_lo_u32 v9, v9, s37
	v_lshrrev_b32_e32 v12, s4, v12
	v_add3_u32 v9, v0, v10, v9
	v_mul_lo_u32 v0, v12, s22
	v_mul_hi_u32 v10, s6, v12
	v_sub_u32_e32 v0, v11, v0
	v_add_u32_e32 v10, v12, v10
	v_mul_lo_u32 v11, v0, s38
	v_lshrrev_b32_e32 v0, s7, v10
	s_add_i32 s71, s71, 4
	v_mul_lo_u32 v10, v0, s5
	s_add_u32 s60, s60, 16
	v_sub_u32_e32 v10, v12, v10
	s_addc_u32 s61, s61, 0
	v_mul_lo_u32 v10, v10, s39
	s_cmp_lg_u32 s69, s71
	v_add3_u32 v10, v11, v9, v10
	s_cbranch_scc1 .LBB39_24
; %bb.25:                               ;   in Loop: Header=BB39_9 Depth=1
	s_mov_b32 s6, s69
	s_andn2_b64 vcc, exec, s[56:57]
	s_cbranch_vccz .LBB39_29
	s_branch .LBB39_31
.LBB39_26:                              ;   in Loop: Header=BB39_9 Depth=1
                                        ; implicit-def: $vgpr10
	s_branch .LBB39_32
.LBB39_27:                              ;   in Loop: Header=BB39_9 Depth=1
	v_mov_b32_e32 v10, 0
	s_branch .LBB39_31
.LBB39_28:                              ;   in Loop: Header=BB39_9 Depth=1
	v_mov_b32_e32 v0, v16
	s_andn2_b64 vcc, exec, s[56:57]
	s_cbranch_vccnz .LBB39_31
.LBB39_29:                              ;   in Loop: Header=BB39_9 Depth=1
	s_lshl_b32 s4, s6, 2
	s_add_u32 s4, s44, s4
	s_addc_u32 s5, s45, 0
	s_mul_i32 s6, s6, 12
	s_add_u32 s6, s34, s6
	s_addc_u32 s7, s35, 0
	s_mov_b32 s16, s68
.LBB39_30:                              ;   Parent Loop BB39_9 Depth=1
                                        ; =>  This Inner Loop Header: Depth=2
	s_load_dwordx2 s[18:19], s[6:7], 0x4
	s_load_dword s17, s[6:7], 0xc
	s_load_dword s20, s[4:5], 0x0
	s_add_u32 s6, s6, 12
	s_addc_u32 s7, s7, 0
	s_waitcnt lgkmcnt(0)
	v_mul_hi_u32 v9, s19, v0
	v_add_u32_e32 v9, v0, v9
	v_lshrrev_b32_e32 v9, s17, v9
	s_add_u32 s4, s4, 4
	v_mul_lo_u32 v11, v9, s18
	s_addc_u32 s5, s5, 0
	s_add_i32 s16, s16, -1
	v_sub_u32_e32 v11, v0, v11
	s_cmp_lg_u32 s16, 0
	v_mov_b32_e32 v0, v9
	v_mad_u64_u32 v[10:11], s[18:19], v11, s20, v[10:11]
	s_cbranch_scc1 .LBB39_30
.LBB39_31:                              ;   in Loop: Header=BB39_9 Depth=1
	s_cbranch_execnz .LBB39_34
.LBB39_32:                              ;   in Loop: Header=BB39_9 Depth=1
	v_mul_hi_u32 v0, v16, s10
	v_add_u32_e32 v0, v0, v16
	v_lshrrev_b32_e32 v0, s11, v0
	v_mul_lo_u32 v9, v0, s9
	v_sub_u32_e32 v9, v16, v9
	s_andn2_b64 vcc, exec, s[46:47]
	s_waitcnt lgkmcnt(0)
	v_mul_lo_u32 v10, v9, s50
	s_cbranch_vccnz .LBB39_34
; %bb.33:                               ;   in Loop: Header=BB39_9 Depth=1
	v_mul_hi_u32 v9, s8, v0
	v_add_u32_e32 v9, v0, v9
	v_lshrrev_b32_e32 v9, s14, v9
	v_mul_lo_u32 v9, v9, s12
	v_sub_u32_e32 v0, v0, v9
	v_mad_u64_u32 v[10:11], s[4:5], v0, s51, v[10:11]
.LBB39_34:                              ;   in Loop: Header=BB39_9 Depth=1
	v_mov_b32_e32 v0, v2
	s_waitcnt lgkmcnt(0)
	v_cmp_le_u64_e32 vcc, s[30:31], v[0:1]
	s_and_saveexec_b64 s[4:5], vcc
	s_cbranch_execz .LBB39_36
; %bb.35:                               ;   in Loop: Header=BB39_9 Depth=1
	v_cvt_f32_u32_e32 v2, s30
	s_sub_i32 s6, 0, s30
	v_rcp_iflag_f32_e32 v2, v2
	v_mul_f32_e32 v2, 0x4f7ffffe, v2
	v_cvt_u32_f32_e32 v2, v2
	v_mul_lo_u32 v9, s6, v2
	v_mul_hi_u32 v9, v2, v9
	v_add_u32_e32 v2, v2, v9
	v_mul_hi_u32 v2, v0, v2
	v_mul_lo_u32 v2, v2, s30
	v_sub_u32_e32 v0, v0, v2
	v_subrev_u32_e32 v2, s30, v0
	v_cmp_le_u32_e32 vcc, s30, v0
	v_cndmask_b32_e32 v0, v0, v2, vcc
	v_subrev_u32_e32 v2, s30, v0
	v_cmp_le_u32_e32 vcc, s30, v0
	v_cndmask_b32_e32 v0, v0, v2, vcc
.LBB39_36:                              ;   in Loop: Header=BB39_9 Depth=1
	s_or_b64 exec, exec, s[4:5]
	v_mov_b32_e32 v2, s49
	v_add_co_u32_e32 v12, vcc, s48, v0
	v_addc_co_u32_e32 v13, vcc, v1, v2, vcc
	v_xor_b32_e32 v0, v12, v13
	v_ashrrev_i32_e32 v0, 31, v0
	v_ffbh_i32_e32 v2, v13
	v_add_u32_e32 v0, 32, v0
	v_add_u32_e32 v2, -1, v2
	v_min_u32_e32 v0, v2, v0
	v_lshlrev_b64 v[12:13], v0, v[12:13]
	v_min_u32_e32 v2, 1, v12
	v_or_b32_e32 v2, v13, v2
	v_cvt_f32_i32_e32 v2, v2
	v_sub_u32_e32 v0, 32, v0
	v_ldexp_f32 v0, v2, v0
	v_bfe_u32 v2, v0, 16, 1
	v_add3_u32 v0, v0, v2, s70
	global_store_short_d16_hi v10, v0, s[28:29]
.LBB39_37:                              ;   in Loop: Header=BB39_9 Depth=1
	s_or_b64 exec, exec, s[2:3]
	v_mov_b32_e32 v0, s63
	v_add_co_u32_e32 v12, vcc, s33, v16
	v_addc_co_u32_e32 v13, vcc, v17, v0, vcc
	v_cmp_gt_i64_e32 vcc, s[24:25], v[12:13]
	s_and_saveexec_b64 s[2:3], vcc
	s_cbranch_execz .LBB39_55
; %bb.38:                               ;   in Loop: Header=BB39_9 Depth=1
	s_and_b64 vcc, exec, s[0:1]
	s_cbranch_vccnz .LBB39_44
; %bb.39:                               ;   in Loop: Header=BB39_9 Depth=1
	s_andn2_b64 vcc, exec, s[42:43]
	s_cbranch_vccnz .LBB39_45
; %bb.40:                               ;   in Loop: Header=BB39_9 Depth=1
	s_mov_b32 s6, 0
	s_andn2_b64 vcc, exec, s[52:53]
	v_mov_b32_e32 v10, 0
	s_cbranch_vccnz .LBB39_46
; %bb.41:                               ;   in Loop: Header=BB39_9 Depth=1
	s_mov_b32 s71, 0
	v_mov_b32_e32 v10, 0
	s_mov_b64 s[58:59], s[34:35]
	s_mov_b64 s[60:61], s[44:45]
	v_mov_b32_e32 v0, v12
.LBB39_42:                              ;   Parent Loop BB39_9 Depth=1
                                        ; =>  This Inner Loop Header: Depth=2
	s_load_dwordx8 s[16:23], s[58:59], 0x4
	s_load_dwordx4 s[4:7], s[58:59], 0x24
	s_load_dwordx4 s[36:39], s[60:61], 0x0
	s_add_u32 s58, s58, 48
	s_addc_u32 s59, s59, 0
	s_waitcnt lgkmcnt(0)
	v_mul_hi_u32 v2, s17, v0
	v_add_u32_e32 v2, v0, v2
	v_lshrrev_b32_e32 v2, s18, v2
	v_mul_lo_u32 v9, v2, s16
	v_mul_hi_u32 v11, s20, v2
	v_sub_u32_e32 v0, v0, v9
	v_add_u32_e32 v9, v2, v11
	v_lshrrev_b32_e32 v9, s21, v9
	v_mul_lo_u32 v11, v9, s19
	v_mul_hi_u32 v13, s23, v9
	v_sub_u32_e32 v2, v2, v11
	v_add_u32_e32 v11, v9, v13
	v_mul_lo_u32 v0, v0, s36
	v_mul_lo_u32 v2, v2, s37
	v_lshrrev_b32_e32 v11, s4, v11
	v_add3_u32 v2, v0, v10, v2
	v_mul_lo_u32 v0, v11, s22
	v_mul_hi_u32 v10, s6, v11
	v_sub_u32_e32 v0, v9, v0
	v_add_u32_e32 v9, v11, v10
	v_mul_lo_u32 v10, v0, s38
	v_lshrrev_b32_e32 v0, s7, v9
	s_add_i32 s71, s71, 4
	v_mul_lo_u32 v9, v0, s5
	s_add_u32 s60, s60, 16
	v_sub_u32_e32 v9, v11, v9
	s_addc_u32 s61, s61, 0
	v_mul_lo_u32 v9, v9, s39
	s_cmp_eq_u32 s69, s71
	v_add3_u32 v10, v10, v2, v9
	s_cbranch_scc0 .LBB39_42
; %bb.43:                               ;   in Loop: Header=BB39_9 Depth=1
	s_mov_b32 s6, s69
	s_andn2_b64 vcc, exec, s[56:57]
	s_cbranch_vccz .LBB39_47
	s_branch .LBB39_49
.LBB39_44:                              ;   in Loop: Header=BB39_9 Depth=1
                                        ; implicit-def: $vgpr10
	s_branch .LBB39_50
.LBB39_45:                              ;   in Loop: Header=BB39_9 Depth=1
	v_mov_b32_e32 v10, 0
	s_branch .LBB39_49
.LBB39_46:                              ;   in Loop: Header=BB39_9 Depth=1
	v_mov_b32_e32 v0, v12
	s_andn2_b64 vcc, exec, s[56:57]
	s_cbranch_vccnz .LBB39_49
.LBB39_47:                              ;   in Loop: Header=BB39_9 Depth=1
	s_lshl_b32 s4, s6, 2
	s_add_u32 s4, s44, s4
	s_addc_u32 s5, s45, 0
	s_mul_i32 s6, s6, 12
	s_add_u32 s6, s34, s6
	s_addc_u32 s7, s35, 0
	s_mov_b32 s16, s68
.LBB39_48:                              ;   Parent Loop BB39_9 Depth=1
                                        ; =>  This Inner Loop Header: Depth=2
	s_load_dwordx2 s[18:19], s[6:7], 0x4
	s_load_dword s17, s[6:7], 0xc
	s_load_dword s20, s[4:5], 0x0
	s_add_u32 s6, s6, 12
	s_addc_u32 s7, s7, 0
	s_waitcnt lgkmcnt(0)
	v_mul_hi_u32 v2, s19, v0
	v_add_u32_e32 v2, v0, v2
	v_lshrrev_b32_e32 v2, s17, v2
	s_add_u32 s4, s4, 4
	v_mul_lo_u32 v9, v2, s18
	s_addc_u32 s5, s5, 0
	s_add_i32 s16, s16, -1
	v_sub_u32_e32 v9, v0, v9
	s_cmp_lg_u32 s16, 0
	v_mov_b32_e32 v0, v2
	v_mad_u64_u32 v[10:11], s[18:19], v9, s20, v[10:11]
	s_cbranch_scc1 .LBB39_48
.LBB39_49:                              ;   in Loop: Header=BB39_9 Depth=1
	s_cbranch_execnz .LBB39_52
.LBB39_50:                              ;   in Loop: Header=BB39_9 Depth=1
	v_mul_hi_u32 v0, v12, s10
	v_add_u32_e32 v0, v0, v12
	v_lshrrev_b32_e32 v0, s11, v0
	v_mul_lo_u32 v2, v0, s9
	v_sub_u32_e32 v2, v12, v2
	s_andn2_b64 vcc, exec, s[46:47]
	s_waitcnt lgkmcnt(0)
	v_mul_lo_u32 v10, v2, s50
	s_cbranch_vccnz .LBB39_52
; %bb.51:                               ;   in Loop: Header=BB39_9 Depth=1
	v_mul_hi_u32 v2, s8, v0
	v_add_u32_e32 v2, v0, v2
	v_lshrrev_b32_e32 v2, s14, v2
	v_mul_lo_u32 v2, v2, s12
	v_sub_u32_e32 v0, v0, v2
	v_mad_u64_u32 v[10:11], s[4:5], v0, s51, v[10:11]
.LBB39_52:                              ;   in Loop: Header=BB39_9 Depth=1
	v_mov_b32_e32 v0, v3
	s_waitcnt lgkmcnt(0)
	v_cmp_le_u64_e32 vcc, s[30:31], v[0:1]
	s_and_saveexec_b64 s[4:5], vcc
	s_cbranch_execz .LBB39_54
; %bb.53:                               ;   in Loop: Header=BB39_9 Depth=1
	v_cvt_f32_u32_e32 v2, s30
	s_sub_i32 s6, 0, s30
	v_rcp_iflag_f32_e32 v2, v2
	v_mul_f32_e32 v2, 0x4f7ffffe, v2
	v_cvt_u32_f32_e32 v2, v2
	v_mul_lo_u32 v3, s6, v2
	v_mul_hi_u32 v3, v2, v3
	v_add_u32_e32 v2, v2, v3
	v_mul_hi_u32 v2, v0, v2
	v_mul_lo_u32 v2, v2, s30
	v_sub_u32_e32 v0, v0, v2
	v_subrev_u32_e32 v2, s30, v0
	v_cmp_le_u32_e32 vcc, s30, v0
	v_cndmask_b32_e32 v0, v0, v2, vcc
	v_subrev_u32_e32 v2, s30, v0
	v_cmp_le_u32_e32 vcc, s30, v0
	v_cndmask_b32_e32 v0, v0, v2, vcc
.LBB39_54:                              ;   in Loop: Header=BB39_9 Depth=1
	s_or_b64 exec, exec, s[4:5]
	v_mov_b32_e32 v3, s49
	v_add_co_u32_e32 v2, vcc, s48, v0
	v_addc_co_u32_e32 v3, vcc, v1, v3, vcc
	v_xor_b32_e32 v0, v2, v3
	v_ashrrev_i32_e32 v0, 31, v0
	v_ffbh_i32_e32 v9, v3
	v_add_u32_e32 v0, 32, v0
	v_add_u32_e32 v9, -1, v9
	v_min_u32_e32 v0, v9, v0
	v_lshlrev_b64 v[2:3], v0, v[2:3]
	v_min_u32_e32 v2, 1, v2
	v_or_b32_e32 v2, v3, v2
	v_cvt_f32_i32_e32 v2, v2
	v_sub_u32_e32 v0, 32, v0
	v_ldexp_f32 v0, v2, v0
	v_bfe_u32 v2, v0, 16, 1
	v_add3_u32 v0, v0, v2, s70
	global_store_short_d16_hi v10, v0, s[28:29]
.LBB39_55:                              ;   in Loop: Header=BB39_9 Depth=1
	s_or_b64 exec, exec, s[2:3]
	v_mov_b32_e32 v0, s15
	v_add_co_u32_e32 v10, vcc, s13, v16
	v_addc_co_u32_e32 v11, vcc, v17, v0, vcc
	v_cmp_gt_i64_e32 vcc, s[24:25], v[10:11]
	s_and_saveexec_b64 s[2:3], vcc
	s_cbranch_execz .LBB39_73
; %bb.56:                               ;   in Loop: Header=BB39_9 Depth=1
	s_and_b64 vcc, exec, s[0:1]
	s_cbranch_vccnz .LBB39_62
; %bb.57:                               ;   in Loop: Header=BB39_9 Depth=1
	s_andn2_b64 vcc, exec, s[42:43]
	s_cbranch_vccnz .LBB39_63
; %bb.58:                               ;   in Loop: Header=BB39_9 Depth=1
	s_mov_b32 s6, 0
	s_andn2_b64 vcc, exec, s[52:53]
	v_mov_b32_e32 v2, 0
	s_cbranch_vccnz .LBB39_64
; %bb.59:                               ;   in Loop: Header=BB39_9 Depth=1
	s_mov_b32 s71, 0
	v_mov_b32_e32 v2, 0
	s_mov_b64 s[58:59], s[34:35]
	s_mov_b64 s[60:61], s[44:45]
	v_mov_b32_e32 v0, v10
.LBB39_60:                              ;   Parent Loop BB39_9 Depth=1
                                        ; =>  This Inner Loop Header: Depth=2
	s_load_dwordx8 s[16:23], s[58:59], 0x4
	s_load_dwordx4 s[4:7], s[58:59], 0x24
	s_load_dwordx4 s[36:39], s[60:61], 0x0
	s_add_u32 s58, s58, 48
	s_addc_u32 s59, s59, 0
	s_waitcnt lgkmcnt(0)
	v_mul_hi_u32 v3, s17, v0
	v_add_u32_e32 v3, v0, v3
	v_lshrrev_b32_e32 v3, s18, v3
	v_mul_lo_u32 v9, v3, s16
	v_mul_hi_u32 v11, s20, v3
	v_sub_u32_e32 v0, v0, v9
	v_add_u32_e32 v9, v3, v11
	v_lshrrev_b32_e32 v9, s21, v9
	v_mul_lo_u32 v11, v9, s19
	v_mul_hi_u32 v12, s23, v9
	v_sub_u32_e32 v3, v3, v11
	v_add_u32_e32 v11, v9, v12
	v_mul_lo_u32 v0, v0, s36
	v_mul_lo_u32 v3, v3, s37
	v_lshrrev_b32_e32 v11, s4, v11
	v_add3_u32 v2, v0, v2, v3
	v_mul_lo_u32 v0, v11, s22
	v_mul_hi_u32 v3, s6, v11
	v_sub_u32_e32 v0, v9, v0
	v_add_u32_e32 v3, v11, v3
	v_mul_lo_u32 v9, v0, s38
	v_lshrrev_b32_e32 v0, s7, v3
	s_add_i32 s71, s71, 4
	v_mul_lo_u32 v3, v0, s5
	s_add_u32 s60, s60, 16
	v_sub_u32_e32 v3, v11, v3
	s_addc_u32 s61, s61, 0
	v_mul_lo_u32 v3, v3, s39
	s_cmp_eq_u32 s69, s71
	v_add3_u32 v2, v9, v2, v3
	s_cbranch_scc0 .LBB39_60
; %bb.61:                               ;   in Loop: Header=BB39_9 Depth=1
	s_mov_b32 s6, s69
	s_andn2_b64 vcc, exec, s[56:57]
	s_cbranch_vccz .LBB39_65
	s_branch .LBB39_67
.LBB39_62:                              ;   in Loop: Header=BB39_9 Depth=1
                                        ; implicit-def: $vgpr2
	s_branch .LBB39_68
.LBB39_63:                              ;   in Loop: Header=BB39_9 Depth=1
	v_mov_b32_e32 v2, 0
	s_branch .LBB39_67
.LBB39_64:                              ;   in Loop: Header=BB39_9 Depth=1
	v_mov_b32_e32 v0, v10
	s_andn2_b64 vcc, exec, s[56:57]
	s_cbranch_vccnz .LBB39_67
.LBB39_65:                              ;   in Loop: Header=BB39_9 Depth=1
	s_lshl_b32 s4, s6, 2
	s_add_u32 s4, s44, s4
	s_addc_u32 s5, s45, 0
	s_mul_i32 s6, s6, 12
	s_add_u32 s6, s34, s6
	s_addc_u32 s7, s35, 0
	s_mov_b32 s16, s68
.LBB39_66:                              ;   Parent Loop BB39_9 Depth=1
                                        ; =>  This Inner Loop Header: Depth=2
	s_load_dwordx2 s[18:19], s[6:7], 0x4
	s_load_dword s17, s[6:7], 0xc
	s_load_dword s20, s[4:5], 0x0
	s_add_u32 s6, s6, 12
	s_addc_u32 s7, s7, 0
	s_waitcnt lgkmcnt(0)
	v_mul_hi_u32 v3, s19, v0
	v_add_u32_e32 v3, v0, v3
	v_lshrrev_b32_e32 v3, s17, v3
	s_add_u32 s4, s4, 4
	v_mul_lo_u32 v9, v3, s18
	s_addc_u32 s5, s5, 0
	s_add_i32 s16, s16, -1
	v_sub_u32_e32 v9, v0, v9
	s_cmp_lg_u32 s16, 0
	v_mov_b32_e32 v0, v3
	v_mad_u64_u32 v[2:3], s[18:19], v9, s20, v[2:3]
	s_cbranch_scc1 .LBB39_66
.LBB39_67:                              ;   in Loop: Header=BB39_9 Depth=1
	s_cbranch_execnz .LBB39_70
.LBB39_68:                              ;   in Loop: Header=BB39_9 Depth=1
	v_mul_hi_u32 v0, v10, s10
	v_add_u32_e32 v0, v0, v10
	v_lshrrev_b32_e32 v0, s11, v0
	v_mul_lo_u32 v2, v0, s9
	v_sub_u32_e32 v2, v10, v2
	s_andn2_b64 vcc, exec, s[46:47]
	s_waitcnt lgkmcnt(0)
	v_mul_lo_u32 v2, v2, s50
	s_cbranch_vccnz .LBB39_70
; %bb.69:                               ;   in Loop: Header=BB39_9 Depth=1
	v_mul_hi_u32 v3, s8, v0
	v_add_u32_e32 v3, v0, v3
	v_lshrrev_b32_e32 v3, s14, v3
	v_mul_lo_u32 v3, v3, s12
	v_sub_u32_e32 v0, v0, v3
	v_mad_u64_u32 v[2:3], s[4:5], v0, s51, v[2:3]
.LBB39_70:                              ;   in Loop: Header=BB39_9 Depth=1
	v_mov_b32_e32 v0, v4
	s_waitcnt lgkmcnt(0)
	v_cmp_le_u64_e32 vcc, s[30:31], v[0:1]
	s_and_saveexec_b64 s[4:5], vcc
	s_cbranch_execz .LBB39_72
; %bb.71:                               ;   in Loop: Header=BB39_9 Depth=1
	v_cvt_f32_u32_e32 v3, s30
	s_sub_i32 s6, 0, s30
	v_rcp_iflag_f32_e32 v3, v3
	v_mul_f32_e32 v3, 0x4f7ffffe, v3
	v_cvt_u32_f32_e32 v3, v3
	v_mul_lo_u32 v4, s6, v3
	v_mul_hi_u32 v4, v3, v4
	v_add_u32_e32 v3, v3, v4
	v_mul_hi_u32 v3, v0, v3
	v_mul_lo_u32 v3, v3, s30
	v_sub_u32_e32 v0, v0, v3
	v_subrev_u32_e32 v3, s30, v0
	v_cmp_le_u32_e32 vcc, s30, v0
	v_cndmask_b32_e32 v0, v0, v3, vcc
	v_subrev_u32_e32 v3, s30, v0
	v_cmp_le_u32_e32 vcc, s30, v0
	v_cndmask_b32_e32 v0, v0, v3, vcc
.LBB39_72:                              ;   in Loop: Header=BB39_9 Depth=1
	s_or_b64 exec, exec, s[4:5]
	v_mov_b32_e32 v3, s49
	v_add_co_u32_e32 v10, vcc, s48, v0
	v_addc_co_u32_e32 v11, vcc, v1, v3, vcc
	v_xor_b32_e32 v0, v10, v11
	v_ashrrev_i32_e32 v0, 31, v0
	v_ffbh_i32_e32 v3, v11
	v_add_u32_e32 v0, 32, v0
	v_add_u32_e32 v3, -1, v3
	v_min_u32_e32 v0, v3, v0
	v_lshlrev_b64 v[10:11], v0, v[10:11]
	v_min_u32_e32 v3, 1, v10
	v_or_b32_e32 v3, v11, v3
	v_cvt_f32_i32_e32 v3, v3
	v_sub_u32_e32 v0, 32, v0
	v_ldexp_f32 v0, v3, v0
	v_bfe_u32 v3, v0, 16, 1
	v_add3_u32 v0, v0, v3, s70
	global_store_short_d16_hi v2, v0, s[28:29]
.LBB39_73:                              ;   in Loop: Header=BB39_9 Depth=1
	s_or_b64 exec, exec, s[2:3]
	v_mov_b32_e32 v0, s67
	v_add_co_u32_e32 v10, vcc, s66, v16
	v_addc_co_u32_e32 v11, vcc, v17, v0, vcc
	v_cmp_gt_i64_e32 vcc, s[24:25], v[10:11]
	s_and_saveexec_b64 s[36:37], vcc
	s_cbranch_execz .LBB39_8
; %bb.74:                               ;   in Loop: Header=BB39_9 Depth=1
	s_and_b64 vcc, exec, s[0:1]
	s_cbranch_vccnz .LBB39_80
; %bb.75:                               ;   in Loop: Header=BB39_9 Depth=1
	s_andn2_b64 vcc, exec, s[42:43]
	s_cbranch_vccnz .LBB39_81
; %bb.76:                               ;   in Loop: Header=BB39_9 Depth=1
	s_mov_b32 s2, 0
	s_andn2_b64 vcc, exec, s[52:53]
	v_mov_b32_e32 v2, 0
	s_cbranch_vccnz .LBB39_82
; %bb.77:                               ;   in Loop: Header=BB39_9 Depth=1
	s_mov_b32 s60, 0
	v_mov_b32_e32 v2, 0
	s_mov_b64 s[38:39], s[34:35]
	s_mov_b64 s[58:59], s[44:45]
	v_mov_b32_e32 v0, v10
.LBB39_78:                              ;   Parent Loop BB39_9 Depth=1
                                        ; =>  This Inner Loop Header: Depth=2
	s_load_dwordx8 s[0:7], s[38:39], 0x4
	s_load_dwordx4 s[16:19], s[38:39], 0x24
	s_load_dwordx4 s[20:23], s[58:59], 0x0
	s_add_u32 s38, s38, 48
	s_addc_u32 s39, s39, 0
	s_waitcnt lgkmcnt(0)
	v_mul_hi_u32 v3, s1, v0
	v_add_u32_e32 v3, v0, v3
	v_lshrrev_b32_e32 v3, s2, v3
	v_mul_lo_u32 v4, v3, s0
	v_mul_hi_u32 v9, s4, v3
	v_sub_u32_e32 v0, v0, v4
	v_add_u32_e32 v4, v3, v9
	v_lshrrev_b32_e32 v4, s5, v4
	v_mul_lo_u32 v9, v4, s3
	v_mul_hi_u32 v11, s7, v4
	v_sub_u32_e32 v3, v3, v9
	v_add_u32_e32 v9, v4, v11
	v_mul_lo_u32 v0, v0, s20
	v_mul_lo_u32 v3, v3, s21
	v_lshrrev_b32_e32 v9, s16, v9
	v_add3_u32 v2, v0, v2, v3
	v_mul_lo_u32 v0, v9, s6
	v_mul_hi_u32 v3, s18, v9
	v_sub_u32_e32 v0, v4, v0
	v_add_u32_e32 v3, v9, v3
	v_mul_lo_u32 v4, v0, s22
	v_lshrrev_b32_e32 v0, s19, v3
	s_add_i32 s60, s60, 4
	v_mul_lo_u32 v3, v0, s17
	s_add_u32 s58, s58, 16
	v_sub_u32_e32 v3, v9, v3
	s_addc_u32 s59, s59, 0
	v_mul_lo_u32 v3, v3, s23
	s_cmp_eq_u32 s69, s60
	v_add3_u32 v2, v4, v2, v3
	s_cbranch_scc0 .LBB39_78
; %bb.79:                               ;   in Loop: Header=BB39_9 Depth=1
	s_mov_b32 s2, s69
	s_andn2_b64 vcc, exec, s[56:57]
	s_cbranch_vccz .LBB39_83
	s_branch .LBB39_85
.LBB39_80:                              ;   in Loop: Header=BB39_9 Depth=1
                                        ; implicit-def: $vgpr2
	s_branch .LBB39_86
.LBB39_81:                              ;   in Loop: Header=BB39_9 Depth=1
	v_mov_b32_e32 v2, 0
	s_branch .LBB39_85
.LBB39_82:                              ;   in Loop: Header=BB39_9 Depth=1
	v_mov_b32_e32 v0, v10
	s_andn2_b64 vcc, exec, s[56:57]
	s_cbranch_vccnz .LBB39_85
.LBB39_83:                              ;   in Loop: Header=BB39_9 Depth=1
	s_lshl_b32 s0, s2, 2
	s_add_u32 s0, s44, s0
	s_addc_u32 s1, s45, 0
	s_mul_i32 s2, s2, 12
	s_add_u32 s2, s34, s2
	s_addc_u32 s3, s35, 0
	s_mov_b32 s4, s68
.LBB39_84:                              ;   Parent Loop BB39_9 Depth=1
                                        ; =>  This Inner Loop Header: Depth=2
	s_load_dwordx2 s[6:7], s[2:3], 0x4
	s_load_dword s5, s[2:3], 0xc
	s_load_dword s16, s[0:1], 0x0
	s_add_u32 s2, s2, 12
	s_addc_u32 s3, s3, 0
	s_waitcnt lgkmcnt(0)
	v_mul_hi_u32 v3, s7, v0
	v_add_u32_e32 v3, v0, v3
	v_lshrrev_b32_e32 v3, s5, v3
	s_add_u32 s0, s0, 4
	v_mul_lo_u32 v4, v3, s6
	s_addc_u32 s1, s1, 0
	s_add_i32 s4, s4, -1
	v_sub_u32_e32 v4, v0, v4
	s_cmp_lg_u32 s4, 0
	v_mov_b32_e32 v0, v3
	v_mad_u64_u32 v[2:3], s[6:7], v4, s16, v[2:3]
	s_cbranch_scc1 .LBB39_84
.LBB39_85:                              ;   in Loop: Header=BB39_9 Depth=1
	s_cbranch_execnz .LBB39_88
.LBB39_86:                              ;   in Loop: Header=BB39_9 Depth=1
	v_mul_hi_u32 v0, v10, s10
	v_add_u32_e32 v0, v0, v10
	v_lshrrev_b32_e32 v0, s11, v0
	v_mul_lo_u32 v2, v0, s9
	v_sub_u32_e32 v2, v10, v2
	s_andn2_b64 vcc, exec, s[46:47]
	s_waitcnt lgkmcnt(0)
	v_mul_lo_u32 v2, v2, s50
	s_cbranch_vccnz .LBB39_88
; %bb.87:                               ;   in Loop: Header=BB39_9 Depth=1
	v_mul_hi_u32 v3, s8, v0
	v_add_u32_e32 v3, v0, v3
	v_lshrrev_b32_e32 v3, s14, v3
	v_mul_lo_u32 v3, v3, s12
	v_sub_u32_e32 v0, v0, v3
	v_mad_u64_u32 v[2:3], s[0:1], v0, s51, v[2:3]
.LBB39_88:                              ;   in Loop: Header=BB39_9 Depth=1
	v_mov_b32_e32 v0, v5
	s_waitcnt lgkmcnt(0)
	v_cmp_le_u64_e32 vcc, s[30:31], v[0:1]
	s_and_saveexec_b64 s[0:1], vcc
	s_cbranch_execz .LBB39_7
; %bb.89:                               ;   in Loop: Header=BB39_9 Depth=1
	v_cvt_f32_u32_e32 v3, s30
	s_sub_i32 s2, 0, s30
	v_rcp_iflag_f32_e32 v3, v3
	v_mul_f32_e32 v3, 0x4f7ffffe, v3
	v_cvt_u32_f32_e32 v3, v3
	v_mul_lo_u32 v4, s2, v3
	v_mul_hi_u32 v4, v3, v4
	v_add_u32_e32 v3, v3, v4
	v_mul_hi_u32 v3, v0, v3
	v_mul_lo_u32 v3, v3, s30
	v_sub_u32_e32 v0, v0, v3
	v_subrev_u32_e32 v3, s30, v0
	v_cmp_le_u32_e32 vcc, s30, v0
	v_cndmask_b32_e32 v0, v0, v3, vcc
	v_subrev_u32_e32 v3, s30, v0
	v_cmp_le_u32_e32 vcc, s30, v0
	v_cndmask_b32_e32 v0, v0, v3, vcc
	s_branch .LBB39_7
.LBB39_90:
	s_endpgm
.LBB39_91:
                                        ; implicit-def: $sgpr2_sgpr3
	s_andn2_b64 vcc, exec, s[0:1]
	s_cbranch_vccz .LBB39_4
	s_branch .LBB39_5
	.section	.rodata,"a",@progbits
	.p2align	6, 0x0
	.amdhsa_kernel _ZN2at6native12_GLOBAL__N_143distribution_elementwise_grid_stride_kernelIjLi4EZZZNS0_9templates4cuda21random_from_to_kernelIPNS_17CUDAGeneratorImplEEEvRNS_18TensorIteratorBaseEmlT_ENKUlvE_clEvENKUlvE8_clEvEUlP25hiprandStatePhilox4_32_10E0_ZNS1_27distribution_nullary_kernelIN3c108BFloat16Ej15HIP_vector_typeIjLj4EES7_SF_ZZZNS5_IS7_EEvS9_mlSA_ENKSB_clEvENKSC_clEvEUljE_EEvS9_T2_RKT3_T4_EUlijE0_EEvlNS_15PhiloxCudaStateET1_SM_
		.amdhsa_group_segment_fixed_size 0
		.amdhsa_private_segment_fixed_size 0
		.amdhsa_kernarg_size 592
		.amdhsa_user_sgpr_count 6
		.amdhsa_user_sgpr_private_segment_buffer 1
		.amdhsa_user_sgpr_dispatch_ptr 0
		.amdhsa_user_sgpr_queue_ptr 0
		.amdhsa_user_sgpr_kernarg_segment_ptr 1
		.amdhsa_user_sgpr_dispatch_id 0
		.amdhsa_user_sgpr_flat_scratch_init 0
		.amdhsa_user_sgpr_kernarg_preload_length 0
		.amdhsa_user_sgpr_kernarg_preload_offset 0
		.amdhsa_user_sgpr_private_segment_size 0
		.amdhsa_uses_dynamic_stack 0
		.amdhsa_system_sgpr_private_segment_wavefront_offset 0
		.amdhsa_system_sgpr_workgroup_id_x 1
		.amdhsa_system_sgpr_workgroup_id_y 0
		.amdhsa_system_sgpr_workgroup_id_z 0
		.amdhsa_system_sgpr_workgroup_info 0
		.amdhsa_system_vgpr_workitem_id 0
		.amdhsa_next_free_vgpr 43
		.amdhsa_next_free_sgpr 72
		.amdhsa_accum_offset 44
		.amdhsa_reserve_vcc 1
		.amdhsa_reserve_flat_scratch 0
		.amdhsa_float_round_mode_32 0
		.amdhsa_float_round_mode_16_64 0
		.amdhsa_float_denorm_mode_32 3
		.amdhsa_float_denorm_mode_16_64 3
		.amdhsa_dx10_clamp 1
		.amdhsa_ieee_mode 1
		.amdhsa_fp16_overflow 0
		.amdhsa_tg_split 0
		.amdhsa_exception_fp_ieee_invalid_op 0
		.amdhsa_exception_fp_denorm_src 0
		.amdhsa_exception_fp_ieee_div_zero 0
		.amdhsa_exception_fp_ieee_overflow 0
		.amdhsa_exception_fp_ieee_underflow 0
		.amdhsa_exception_fp_ieee_inexact 0
		.amdhsa_exception_int_div_zero 0
	.end_amdhsa_kernel
	.section	.text._ZN2at6native12_GLOBAL__N_143distribution_elementwise_grid_stride_kernelIjLi4EZZZNS0_9templates4cuda21random_from_to_kernelIPNS_17CUDAGeneratorImplEEEvRNS_18TensorIteratorBaseEmlT_ENKUlvE_clEvENKUlvE8_clEvEUlP25hiprandStatePhilox4_32_10E0_ZNS1_27distribution_nullary_kernelIN3c108BFloat16Ej15HIP_vector_typeIjLj4EES7_SF_ZZZNS5_IS7_EEvS9_mlSA_ENKSB_clEvENKSC_clEvEUljE_EEvS9_T2_RKT3_T4_EUlijE0_EEvlNS_15PhiloxCudaStateET1_SM_,"axG",@progbits,_ZN2at6native12_GLOBAL__N_143distribution_elementwise_grid_stride_kernelIjLi4EZZZNS0_9templates4cuda21random_from_to_kernelIPNS_17CUDAGeneratorImplEEEvRNS_18TensorIteratorBaseEmlT_ENKUlvE_clEvENKUlvE8_clEvEUlP25hiprandStatePhilox4_32_10E0_ZNS1_27distribution_nullary_kernelIN3c108BFloat16Ej15HIP_vector_typeIjLj4EES7_SF_ZZZNS5_IS7_EEvS9_mlSA_ENKSB_clEvENKSC_clEvEUljE_EEvS9_T2_RKT3_T4_EUlijE0_EEvlNS_15PhiloxCudaStateET1_SM_,comdat
.Lfunc_end39:
	.size	_ZN2at6native12_GLOBAL__N_143distribution_elementwise_grid_stride_kernelIjLi4EZZZNS0_9templates4cuda21random_from_to_kernelIPNS_17CUDAGeneratorImplEEEvRNS_18TensorIteratorBaseEmlT_ENKUlvE_clEvENKUlvE8_clEvEUlP25hiprandStatePhilox4_32_10E0_ZNS1_27distribution_nullary_kernelIN3c108BFloat16Ej15HIP_vector_typeIjLj4EES7_SF_ZZZNS5_IS7_EEvS9_mlSA_ENKSB_clEvENKSC_clEvEUljE_EEvS9_T2_RKT3_T4_EUlijE0_EEvlNS_15PhiloxCudaStateET1_SM_, .Lfunc_end39-_ZN2at6native12_GLOBAL__N_143distribution_elementwise_grid_stride_kernelIjLi4EZZZNS0_9templates4cuda21random_from_to_kernelIPNS_17CUDAGeneratorImplEEEvRNS_18TensorIteratorBaseEmlT_ENKUlvE_clEvENKUlvE8_clEvEUlP25hiprandStatePhilox4_32_10E0_ZNS1_27distribution_nullary_kernelIN3c108BFloat16Ej15HIP_vector_typeIjLj4EES7_SF_ZZZNS5_IS7_EEvS9_mlSA_ENKSB_clEvENKSC_clEvEUljE_EEvS9_T2_RKT3_T4_EUlijE0_EEvlNS_15PhiloxCudaStateET1_SM_
                                        ; -- End function
	.section	.AMDGPU.csdata,"",@progbits
; Kernel info:
; codeLenInByte = 5112
; NumSgprs: 76
; NumVgprs: 43
; NumAgprs: 0
; TotalNumVgprs: 43
; ScratchSize: 0
; MemoryBound: 0
; FloatMode: 240
; IeeeMode: 1
; LDSByteSize: 0 bytes/workgroup (compile time only)
; SGPRBlocks: 9
; VGPRBlocks: 5
; NumSGPRsForWavesPerEU: 76
; NumVGPRsForWavesPerEU: 43
; AccumOffset: 44
; Occupancy: 8
; WaveLimiterHint : 1
; COMPUTE_PGM_RSRC2:SCRATCH_EN: 0
; COMPUTE_PGM_RSRC2:USER_SGPR: 6
; COMPUTE_PGM_RSRC2:TRAP_HANDLER: 0
; COMPUTE_PGM_RSRC2:TGID_X_EN: 1
; COMPUTE_PGM_RSRC2:TGID_Y_EN: 0
; COMPUTE_PGM_RSRC2:TGID_Z_EN: 0
; COMPUTE_PGM_RSRC2:TIDIG_COMP_CNT: 0
; COMPUTE_PGM_RSRC3_GFX90A:ACCUM_OFFSET: 10
; COMPUTE_PGM_RSRC3_GFX90A:TG_SPLIT: 0
	.section	.text._ZN2at6native12_GLOBAL__N_143distribution_elementwise_grid_stride_kernelImLi2EZZZNS0_9templates4cuda21random_from_to_kernelIPNS_17CUDAGeneratorImplEEEvRNS_18TensorIteratorBaseEmlT_ENKUlvE_clEvENKUlvE9_clEvEUlP25hiprandStatePhilox4_32_10E_ZNS1_27distribution_nullary_kernelItm15HIP_vector_typeIyLj2EES7_SF_ZZZNS5_IS7_EEvS9_mlSA_ENKSB_clEvENKSC_clEvEUlmE_EEvS9_T2_RKT3_T4_EUlimE_EEvlNS_15PhiloxCudaStateET1_SK_,"axG",@progbits,_ZN2at6native12_GLOBAL__N_143distribution_elementwise_grid_stride_kernelImLi2EZZZNS0_9templates4cuda21random_from_to_kernelIPNS_17CUDAGeneratorImplEEEvRNS_18TensorIteratorBaseEmlT_ENKUlvE_clEvENKUlvE9_clEvEUlP25hiprandStatePhilox4_32_10E_ZNS1_27distribution_nullary_kernelItm15HIP_vector_typeIyLj2EES7_SF_ZZZNS5_IS7_EEvS9_mlSA_ENKSB_clEvENKSC_clEvEUlmE_EEvS9_T2_RKT3_T4_EUlimE_EEvlNS_15PhiloxCudaStateET1_SK_,comdat
	.globl	_ZN2at6native12_GLOBAL__N_143distribution_elementwise_grid_stride_kernelImLi2EZZZNS0_9templates4cuda21random_from_to_kernelIPNS_17CUDAGeneratorImplEEEvRNS_18TensorIteratorBaseEmlT_ENKUlvE_clEvENKUlvE9_clEvEUlP25hiprandStatePhilox4_32_10E_ZNS1_27distribution_nullary_kernelItm15HIP_vector_typeIyLj2EES7_SF_ZZZNS5_IS7_EEvS9_mlSA_ENKSB_clEvENKSC_clEvEUlmE_EEvS9_T2_RKT3_T4_EUlimE_EEvlNS_15PhiloxCudaStateET1_SK_ ; -- Begin function _ZN2at6native12_GLOBAL__N_143distribution_elementwise_grid_stride_kernelImLi2EZZZNS0_9templates4cuda21random_from_to_kernelIPNS_17CUDAGeneratorImplEEEvRNS_18TensorIteratorBaseEmlT_ENKUlvE_clEvENKUlvE9_clEvEUlP25hiprandStatePhilox4_32_10E_ZNS1_27distribution_nullary_kernelItm15HIP_vector_typeIyLj2EES7_SF_ZZZNS5_IS7_EEvS9_mlSA_ENKSB_clEvENKSC_clEvEUlmE_EEvS9_T2_RKT3_T4_EUlimE_EEvlNS_15PhiloxCudaStateET1_SK_
	.p2align	8
	.type	_ZN2at6native12_GLOBAL__N_143distribution_elementwise_grid_stride_kernelImLi2EZZZNS0_9templates4cuda21random_from_to_kernelIPNS_17CUDAGeneratorImplEEEvRNS_18TensorIteratorBaseEmlT_ENKUlvE_clEvENKUlvE9_clEvEUlP25hiprandStatePhilox4_32_10E_ZNS1_27distribution_nullary_kernelItm15HIP_vector_typeIyLj2EES7_SF_ZZZNS5_IS7_EEvS9_mlSA_ENKSB_clEvENKSC_clEvEUlmE_EEvS9_T2_RKT3_T4_EUlimE_EEvlNS_15PhiloxCudaStateET1_SK_,@function
_ZN2at6native12_GLOBAL__N_143distribution_elementwise_grid_stride_kernelImLi2EZZZNS0_9templates4cuda21random_from_to_kernelIPNS_17CUDAGeneratorImplEEEvRNS_18TensorIteratorBaseEmlT_ENKUlvE_clEvENKUlvE9_clEvEUlP25hiprandStatePhilox4_32_10E_ZNS1_27distribution_nullary_kernelItm15HIP_vector_typeIyLj2EES7_SF_ZZZNS5_IS7_EEvS9_mlSA_ENKSB_clEvENKSC_clEvEUlmE_EEvS9_T2_RKT3_T4_EUlimE_EEvlNS_15PhiloxCudaStateET1_SK_: ; @_ZN2at6native12_GLOBAL__N_143distribution_elementwise_grid_stride_kernelImLi2EZZZNS0_9templates4cuda21random_from_to_kernelIPNS_17CUDAGeneratorImplEEEvRNS_18TensorIteratorBaseEmlT_ENKUlvE_clEvENKUlvE9_clEvEUlP25hiprandStatePhilox4_32_10E_ZNS1_27distribution_nullary_kernelItm15HIP_vector_typeIyLj2EES7_SF_ZZZNS5_IS7_EEvS9_mlSA_ENKSB_clEvENKSC_clEvEUlmE_EEvS9_T2_RKT3_T4_EUlimE_EEvlNS_15PhiloxCudaStateET1_SK_
; %bb.0:
	s_load_dword s2, s[4:5], 0x20
	s_load_dwordx2 s[0:1], s[4:5], 0x10
	s_load_dwordx4 s[8:11], s[4:5], 0x0
	s_waitcnt lgkmcnt(0)
	s_bitcmp0_b32 s2, 0
	s_mov_b32 s2, 0
	v_pk_mov_b32 v[2:3], s[0:1], s[0:1] op_sel:[0,1]
	v_pk_mov_b32 v[14:15], s[10:11], s[10:11] op_sel:[0,1]
	s_cbranch_scc1 .LBB40_2
; %bb.1:
	v_pk_mov_b32 v[2:3], s[0:1], s[0:1] op_sel:[0,1]
	flat_load_dwordx2 v[2:3], v[2:3]
	v_pk_mov_b32 v[4:5], s[10:11], s[10:11] op_sel:[0,1]
	flat_load_dwordx2 v[14:15], v[4:5]
	s_load_dwordx2 s[0:1], s[4:5], 0x18
	s_waitcnt lgkmcnt(0)
	v_mov_b32_e32 v1, s1
	s_waitcnt vmcnt(0)
	v_add_co_u32_e32 v2, vcc, s0, v2
	v_addc_co_u32_e32 v3, vcc, v3, v1, vcc
.LBB40_2:
	s_load_dword s0, s[4:5], 0x5c
	s_load_dword s16, s[4:5], 0x50
	s_waitcnt lgkmcnt(0)
	s_and_b32 s7, s0, 0xffff
	s_add_u32 s10, s8, -1
	s_mul_i32 s18, s16, s7
	s_addc_u32 s3, s9, -1
	s_lshl_b32 s19, s18, 1
	s_cmp_lg_u64 s[2:3], 0
	s_mov_b64 s[0:1], -1
	s_cbranch_scc0 .LBB40_31
; %bb.3:
	v_cvt_f32_u32_e32 v1, s19
	v_cvt_f32_ubyte0_e32 v4, 0
	s_sub_u32 s2, 0, s19
	s_subb_u32 s11, 0, 0
	v_madmk_f32 v1, v4, 0x4f800000, v1
	v_rcp_f32_e32 v1, v1
	v_mul_f32_e32 v1, 0x5f7ffffc, v1
	v_mul_f32_e32 v4, 0x2f800000, v1
	v_trunc_f32_e32 v4, v4
	v_madmk_f32 v1, v4, 0xcf800000, v1
	v_cvt_u32_f32_e32 v4, v4
	v_cvt_u32_f32_e32 v1, v1
	v_readfirstlane_b32 s12, v4
	v_readfirstlane_b32 s13, v1
	s_mul_i32 s14, s2, s12
	s_mul_hi_u32 s17, s2, s13
	s_mul_i32 s15, s11, s13
	s_add_i32 s14, s17, s14
	s_add_i32 s14, s14, s15
	s_mul_i32 s20, s2, s13
	s_mul_hi_u32 s15, s13, s14
	s_mul_i32 s17, s13, s14
	s_mul_hi_u32 s13, s13, s20
	s_add_u32 s13, s13, s17
	s_addc_u32 s15, 0, s15
	s_mul_hi_u32 s21, s12, s20
	s_mul_i32 s20, s12, s20
	s_add_u32 s13, s13, s20
	s_mul_hi_u32 s17, s12, s14
	s_addc_u32 s13, s15, s21
	s_addc_u32 s15, s17, 0
	s_mul_i32 s14, s12, s14
	s_add_u32 s13, s13, s14
	s_addc_u32 s14, 0, s15
	v_add_co_u32_e32 v1, vcc, s13, v1
	s_cmp_lg_u64 vcc, 0
	s_addc_u32 s12, s12, s14
	v_readfirstlane_b32 s14, v1
	s_mul_i32 s13, s2, s12
	s_mul_hi_u32 s15, s2, s14
	s_add_i32 s13, s15, s13
	s_mul_i32 s11, s11, s14
	s_add_i32 s13, s13, s11
	s_mul_i32 s2, s2, s14
	s_mul_hi_u32 s15, s12, s2
	s_mul_i32 s17, s12, s2
	s_mul_i32 s21, s14, s13
	s_mul_hi_u32 s2, s14, s2
	s_mul_hi_u32 s20, s14, s13
	s_add_u32 s2, s2, s21
	s_addc_u32 s14, 0, s20
	s_add_u32 s2, s2, s17
	s_mul_hi_u32 s11, s12, s13
	s_addc_u32 s2, s14, s15
	s_addc_u32 s11, s11, 0
	s_mul_i32 s13, s12, s13
	s_add_u32 s2, s2, s13
	s_addc_u32 s11, 0, s11
	v_add_co_u32_e32 v1, vcc, s2, v1
	s_cmp_lg_u64 vcc, 0
	s_addc_u32 s11, s12, s11
	s_ashr_i32 s12, s3, 31
	s_add_u32 s2, s10, s12
	s_mov_b32 s13, s12
	s_addc_u32 s3, s3, s12
	s_xor_b64 s[2:3], s[2:3], s[12:13]
	v_readfirstlane_b32 s17, v1
	s_mul_i32 s15, s2, s11
	s_mul_hi_u32 s20, s2, s17
	s_mul_hi_u32 s14, s2, s11
	s_add_u32 s15, s20, s15
	s_addc_u32 s14, 0, s14
	s_mul_hi_u32 s21, s3, s17
	s_mul_i32 s17, s3, s17
	s_add_u32 s15, s15, s17
	s_mul_hi_u32 s20, s3, s11
	s_addc_u32 s14, s14, s21
	s_addc_u32 s15, s20, 0
	s_mul_i32 s11, s3, s11
	s_add_u32 s11, s14, s11
	s_addc_u32 s14, 0, s15
	s_add_u32 s15, s11, 1
	s_addc_u32 s17, s14, 0
	s_add_u32 s20, s11, 2
	s_mul_i32 s22, s19, s14
	s_mul_hi_u32 s23, s19, s11
	s_addc_u32 s21, s14, 0
	s_add_i32 s23, s23, s22
	s_mul_i32 s22, s19, s11
	v_mov_b32_e32 v1, s22
	v_sub_co_u32_e32 v1, vcc, s2, v1
	s_cmp_lg_u64 vcc, 0
	s_subb_u32 s2, s3, s23
	v_subrev_co_u32_e32 v4, vcc, s19, v1
	s_cmp_lg_u64 vcc, 0
	s_subb_u32 s3, s2, 0
	v_readfirstlane_b32 s22, v4
	s_cmp_ge_u32 s22, s19
	s_cselect_b32 s22, -1, 0
	s_cmp_eq_u32 s3, 0
	s_cselect_b32 s3, s22, -1
	s_cmp_lg_u32 s3, 0
	s_cselect_b32 s3, s21, s17
	v_readfirstlane_b32 s17, v1
	s_cselect_b32 s15, s20, s15
	s_cmp_ge_u32 s17, s19
	s_cselect_b32 s17, -1, 0
	s_cmp_eq_u32 s2, 0
	s_cselect_b32 s2, s17, -1
	s_cmp_lg_u32 s2, 0
	s_cselect_b32 s3, s3, s14
	s_cselect_b32 s2, s15, s11
	s_xor_b64 s[2:3], s[2:3], s[12:13]
	s_sub_u32 s2, s2, s12
	s_subb_u32 s3, s3, s12
	s_cbranch_execnz .LBB40_5
.LBB40_4:
	v_cvt_f32_u32_e32 v1, s19
	s_sub_i32 s0, 0, s19
	s_mov_b32 s3, 0
	v_rcp_iflag_f32_e32 v1, v1
	v_mul_f32_e32 v1, 0x4f7ffffe, v1
	v_cvt_u32_f32_e32 v1, v1
	v_readfirstlane_b32 s1, v1
	s_mul_i32 s0, s0, s1
	s_mul_hi_u32 s0, s1, s0
	s_add_i32 s1, s1, s0
	s_mul_hi_u32 s0, s10, s1
	s_mul_i32 s2, s0, s19
	s_sub_i32 s2, s10, s2
	s_add_i32 s1, s0, 1
	s_sub_i32 s10, s2, s19
	s_cmp_ge_u32 s2, s19
	s_cselect_b32 s0, s1, s0
	s_cselect_b32 s2, s10, s2
	s_add_i32 s1, s0, 1
	s_cmp_ge_u32 s2, s19
	s_cselect_b32 s2, s1, s0
.LBB40_5:
	v_mov_b32_e32 v16, 0
	v_mov_b32_e32 v1, v16
	;; [unrolled: 1-line block ×3, first 2 shown]
	v_mad_u64_u32 v[18:19], s[0:1], s7, v4, v[0:1]
	s_add_u32 s0, s2, 1
	s_addc_u32 s1, s3, 0
	s_mul_hi_u32 s2, s16, s7
	s_mul_i32 s1, s18, s1
	s_mul_hi_u32 s3, s18, s0
	s_add_i32 s1, s3, s1
	s_mul_i32 s2, s2, s0
	s_add_i32 s1, s1, s2
	s_mul_i32 s0, s18, s0
	s_lshl_b64 s[2:3], s[0:1], 1
	v_cmp_gt_i64_e32 vcc, s[2:3], v[18:19]
	s_and_saveexec_b64 s[0:1], vcc
	s_cbranch_execz .LBB40_30
; %bb.6:
	v_mov_b32_e32 v4, v15
	s_mov_b32 s0, 0xdb3d7428
	v_add_co_u32_e32 v23, vcc, s0, v4
	s_mov_b32 s0, 0x5384540f
	v_add_co_u32_e32 v24, vcc, s0, v14
	;; [unrolled: 2-line block ×7, first 2 shown]
	s_mov_b32 s0, 0x9e3779b9
	v_alignbit_b32 v31, v3, v2, 2
	s_mov_b32 s20, 0xd2511f53
	v_add_co_u32_e32 v30, vcc, s0, v14
	v_mad_u64_u32 v[6:7], s[0:1], v31, s20, 0
	v_xor_b32_e32 v1, v7, v15
	v_xor_b32_e32 v1, v1, v19
	s_mov_b32 s21, 0xcd9e8d57
	v_mad_u64_u32 v[8:9], s[0:1], v1, s21, 0
	v_xor_b32_e32 v1, v30, v9
	v_mad_u64_u32 v[10:11], s[0:1], v18, s21, 0
	v_and_b32_e32 v20, 3, v2
	v_xor_b32_e32 v1, v1, v10
	v_xor_b32_e32 v2, v14, v11
	v_lshrrev_b32_e32 v32, 2, v3
	v_mad_u64_u32 v[12:13], s[0:1], v1, s20, 0
	v_xor_b32_e32 v2, v2, v32
	v_xor_b32_e32 v1, v29, v13
	v_mad_u64_u32 v[2:3], s[0:1], v2, s20, 0
	v_xor_b32_e32 v1, v1, v2
	v_mad_u64_u32 v[10:11], s[0:1], v1, s21, 0
	s_mov_b32 s0, 0xbb67ae85
	v_add_co_u32_e32 v33, vcc, s0, v4
	v_xor_b32_e32 v2, v33, v3
	v_xor_b32_e32 v2, v2, v6
	v_xor_b32_e32 v1, v28, v11
	v_mad_u64_u32 v[2:3], s[0:1], v2, s21, 0
	v_xor_b32_e32 v1, v1, v2
	v_mad_u64_u32 v[6:7], s[0:1], v1, s20, 0
	s_mov_b32 s0, 0x3c6ef372
	v_add_co_u32_e32 v34, vcc, s0, v14
	v_xor_b32_e32 v2, v34, v3
	;; [unrolled: 8-line block ×7, first 2 shown]
	v_xor_b32_e32 v1, v1, v12
	v_mad_u64_u32 v[2:3], s[0:1], v1, s21, 0
	s_mov_b32 s0, 0xf1bbcdc8
	v_add_u32_e32 v21, 0x8ff34781, v14
	v_xor_b32_e32 v1, v9, v2
	v_add_co_u32_e32 v40, vcc, s0, v14
	s_load_dwordx2 s[10:11], s[4:5], 0x30
	s_load_dword s17, s[4:5], 0x38
	s_load_dwordx4 s[12:15], s[4:5], 0x40
	v_xor_b32_e32 v2, v21, v1
	v_xor_b32_e32 v1, v40, v3
	;; [unrolled: 1-line block ×3, first 2 shown]
	v_mad_u64_u32 v[10:11], s[0:1], v1, s20, 0
	v_add_u32_e32 v22, 0x96a522ad, v15
	v_xor_b32_e32 v1, v11, v6
	s_mul_i32 s0, s6, s7
	v_xor_b32_e32 v4, v22, v1
	v_add_u32_e32 v1, s0, v0
	s_waitcnt lgkmcnt(0)
	s_mul_i32 s0, s16, s17
	s_mul_i32 s0, s0, s7
	s_lshl_b32 s22, s0, 1
	s_add_i32 s0, s6, s16
	s_mul_i32 s0, s0, s7
	s_mov_b32 s15, 0
	v_add_u32_e32 v0, s0, v0
	v_mov_b32_e32 v3, v8
	v_mov_b32_e32 v5, v10
	v_mul_lo_u32 v41, s17, v1
	v_mul_lo_u32 v42, s17, v0
	s_mov_b64 s[4:5], 0
	s_mov_b32 s23, s15
	v_mov_b32_e32 v43, v18
	v_mov_b32_e32 v44, v19
	s_branch .LBB40_9
.LBB40_7:                               ;   in Loop: Header=BB40_9 Depth=1
	s_or_b64 exec, exec, s[0:1]
	v_add_u32_e32 v1, s23, v42
	v_ashrrev_i32_e32 v3, 31, v1
	v_mov_b32_e32 v4, s11
	v_add_co_u32_e32 v2, vcc, s10, v1
	v_addc_co_u32_e32 v3, vcc, v4, v3, vcc
	v_add_u32_e32 v1, s14, v10
	global_store_short v[2:3], v1, off
.LBB40_8:                               ;   in Loop: Header=BB40_9 Depth=1
	s_or_b64 exec, exec, s[6:7]
	v_add_co_u32_e32 v18, vcc, s19, v18
	v_addc_co_u32_e32 v19, vcc, 0, v19, vcc
	v_mov_b32_e32 v9, v0
	s_add_i32 s23, s23, s22
	v_cmp_le_i64_e32 vcc, s[2:3], v[18:19]
	v_pk_mov_b32 v[2:3], v[6:7], v[6:7] op_sel:[0,1]
	s_or_b64 s[4:5], vcc, s[4:5]
	v_pk_mov_b32 v[4:5], v[8:9], v[8:9] op_sel:[0,1]
	s_barrier
	s_andn2_b64 exec, exec, s[4:5]
	s_cbranch_execz .LBB40_30
.LBB40_9:                               ; =>This Inner Loop Header: Depth=1
	v_add_co_u32_e32 v31, vcc, 1, v31
	v_cndmask_b32_e64 v0, 0, 1, vcc
	v_addc_co_u32_e32 v32, vcc, 0, v32, vcc
	v_cmp_eq_u32_e32 vcc, 0, v32
	v_cndmask_b32_e32 v0, 0, v0, vcc
	v_add_u32_e32 v43, v0, v43
	v_cmp_eq_u32_e32 vcc, 0, v43
	v_cndmask_b32_e32 v0, 0, v0, vcc
	v_add_u32_e32 v44, v0, v44
	v_mad_u64_u32 v[0:1], s[0:1], v31, s20, 0
	v_mad_u64_u32 v[6:7], s[0:1], v43, s21, 0
	v_xor_b32_e32 v1, v1, v15
	v_xor_b32_e32 v7, v7, v14
	v_xor_b32_e32 v1, v44, v1
	v_xor_b32_e32 v7, v32, v7
	v_mad_u64_u32 v[10:11], s[0:1], v1, s21, 0
	v_mad_u64_u32 v[8:9], s[0:1], v7, s20, 0
	v_xor_b32_e32 v1, v30, v11
	v_xor_b32_e32 v1, v1, v6
	v_xor_b32_e32 v6, v33, v9
	v_xor_b32_e32 v6, v6, v0
	;; [unrolled: 6-line block ×10, first 2 shown]
	v_mov_b32_e32 v7, v12
	v_mov_b32_e32 v8, v13
	v_cmp_lt_i32_e32 vcc, 1, v20
	s_and_saveexec_b64 s[0:1], vcc
	s_xor_b64 s[0:1], exec, s[0:1]
	s_cbranch_execnz .LBB40_12
; %bb.10:                               ;   in Loop: Header=BB40_9 Depth=1
	s_andn2_saveexec_b64 s[0:1], s[0:1]
	s_cbranch_execnz .LBB40_17
.LBB40_11:                              ;   in Loop: Header=BB40_9 Depth=1
	s_or_b64 exec, exec, s[0:1]
	v_cmp_gt_i64_e32 vcc, s[8:9], v[18:19]
	s_and_saveexec_b64 s[6:7], vcc
	s_cbranch_execnz .LBB40_20
	s_branch .LBB40_25
.LBB40_12:                              ;   in Loop: Header=BB40_9 Depth=1
	v_cmp_lt_i32_e32 vcc, 2, v20
	s_and_saveexec_b64 s[6:7], vcc
	s_xor_b64 s[6:7], exec, s[6:7]
; %bb.13:                               ;   in Loop: Header=BB40_9 Depth=1
	v_mov_b32_e32 v10, v5
	v_mov_b32_e32 v11, v6
	v_pk_mov_b32 v[2:3], v[10:11], v[10:11] op_sel:[0,1]
	v_pk_mov_b32 v[4:5], v[12:13], v[12:13] op_sel:[0,1]
                                        ; implicit-def: $vgpr12_vgpr13
; %bb.14:                               ;   in Loop: Header=BB40_9 Depth=1
	s_andn2_saveexec_b64 s[6:7], s[6:7]
; %bb.15:                               ;   in Loop: Header=BB40_9 Depth=1
	v_mov_b32_e32 v2, v4
	v_mov_b32_e32 v3, v5
	;; [unrolled: 1-line block ×4, first 2 shown]
; %bb.16:                               ;   in Loop: Header=BB40_9 Depth=1
	s_or_b64 exec, exec, s[6:7]
	s_andn2_saveexec_b64 s[0:1], s[0:1]
	s_cbranch_execz .LBB40_11
.LBB40_17:                              ;   in Loop: Header=BB40_9 Depth=1
	v_cmp_eq_u32_e32 vcc, 1, v20
	s_and_saveexec_b64 s[6:7], vcc
; %bb.18:                               ;   in Loop: Header=BB40_9 Depth=1
	v_mov_b32_e32 v2, v3
	v_mov_b32_e32 v3, v4
	;; [unrolled: 1-line block ×4, first 2 shown]
; %bb.19:                               ;   in Loop: Header=BB40_9 Depth=1
	s_or_b64 exec, exec, s[6:7]
	s_or_b64 exec, exec, s[0:1]
	v_cmp_gt_i64_e32 vcc, s[8:9], v[18:19]
	s_and_saveexec_b64 s[6:7], vcc
	s_cbranch_execz .LBB40_25
.LBB40_20:                              ;   in Loop: Header=BB40_9 Depth=1
	v_or_b32_e32 v17, s13, v2
	v_cmp_ne_u64_e32 vcc, 0, v[16:17]
                                        ; implicit-def: $vgpr10_vgpr11
	s_and_saveexec_b64 s[0:1], vcc
	s_xor_b64 s[16:17], exec, s[0:1]
	s_cbranch_execz .LBB40_22
; %bb.21:                               ;   in Loop: Header=BB40_9 Depth=1
	v_cvt_f32_u32_e32 v1, s12
	v_cvt_f32_u32_e32 v9, s13
	s_sub_u32 s0, 0, s12
	s_subb_u32 s1, 0, s13
	v_mac_f32_e32 v1, 0x4f800000, v9
	v_rcp_f32_e32 v1, v1
	v_mul_f32_e32 v1, 0x5f7ffffc, v1
	v_mul_f32_e32 v9, 0x2f800000, v1
	v_trunc_f32_e32 v9, v9
	v_mac_f32_e32 v1, 0xcf800000, v9
	v_cvt_u32_f32_e32 v9, v9
	v_cvt_u32_f32_e32 v1, v1
	v_mul_lo_u32 v10, s0, v9
	v_mul_hi_u32 v12, s0, v1
	v_mul_lo_u32 v11, s1, v1
	v_add_u32_e32 v10, v12, v10
	v_mul_lo_u32 v13, s0, v1
	v_add_u32_e32 v10, v10, v11
	v_mul_hi_u32 v12, v1, v13
	v_mul_lo_u32 v17, v1, v10
	v_mul_hi_u32 v11, v1, v10
	v_add_co_u32_e32 v12, vcc, v12, v17
	v_addc_co_u32_e32 v11, vcc, 0, v11, vcc
	v_mul_hi_u32 v45, v9, v13
	v_mul_lo_u32 v13, v9, v13
	v_add_co_u32_e32 v12, vcc, v12, v13
	v_mul_hi_u32 v17, v9, v10
	v_addc_co_u32_e32 v11, vcc, v11, v45, vcc
	v_addc_co_u32_e32 v12, vcc, 0, v17, vcc
	v_mul_lo_u32 v10, v9, v10
	v_add_co_u32_e32 v10, vcc, v11, v10
	v_addc_co_u32_e32 v11, vcc, 0, v12, vcc
	v_add_co_u32_e32 v1, vcc, v1, v10
	v_addc_co_u32_e32 v9, vcc, v9, v11, vcc
	v_mul_lo_u32 v10, s0, v9
	v_mul_hi_u32 v11, s0, v1
	v_add_u32_e32 v10, v11, v10
	v_mul_lo_u32 v11, s1, v1
	v_add_u32_e32 v10, v10, v11
	v_mul_lo_u32 v12, s0, v1
	v_mul_hi_u32 v13, v9, v12
	v_mul_lo_u32 v17, v9, v12
	v_mul_lo_u32 v46, v1, v10
	v_mul_hi_u32 v12, v1, v12
	v_mul_hi_u32 v45, v1, v10
	v_add_co_u32_e32 v12, vcc, v12, v46
	v_addc_co_u32_e32 v45, vcc, 0, v45, vcc
	v_add_co_u32_e32 v12, vcc, v12, v17
	v_mul_hi_u32 v11, v9, v10
	v_addc_co_u32_e32 v12, vcc, v45, v13, vcc
	v_addc_co_u32_e32 v11, vcc, 0, v11, vcc
	v_mul_lo_u32 v10, v9, v10
	v_add_co_u32_e32 v10, vcc, v12, v10
	v_addc_co_u32_e32 v11, vcc, 0, v11, vcc
	v_add_co_u32_e32 v1, vcc, v1, v10
	v_addc_co_u32_e32 v9, vcc, v9, v11, vcc
	v_mad_u64_u32 v[10:11], s[0:1], v3, v9, 0
	v_mul_hi_u32 v12, v3, v1
	v_add_co_u32_e32 v17, vcc, v12, v10
	v_addc_co_u32_e32 v45, vcc, 0, v11, vcc
	v_mad_u64_u32 v[12:13], s[0:1], v2, v1, 0
	v_add_co_u32_e32 v1, vcc, v17, v12
	v_mad_u64_u32 v[10:11], s[0:1], v2, v9, 0
	v_addc_co_u32_e32 v1, vcc, v45, v13, vcc
	v_addc_co_u32_e32 v9, vcc, 0, v11, vcc
	v_add_co_u32_e32 v1, vcc, v1, v10
	v_addc_co_u32_e32 v9, vcc, 0, v9, vcc
	v_mul_lo_u32 v12, s13, v1
	v_mul_lo_u32 v9, s12, v9
	v_mad_u64_u32 v[10:11], s[0:1], s12, v1, 0
	v_add3_u32 v1, v11, v9, v12
	v_sub_u32_e32 v9, v2, v1
	v_mov_b32_e32 v11, s13
	v_sub_co_u32_e32 v10, vcc, v3, v10
	v_subb_co_u32_e64 v9, s[0:1], v9, v11, vcc
	v_subrev_co_u32_e64 v11, s[0:1], s12, v10
	v_subbrev_co_u32_e64 v9, s[0:1], 0, v9, s[0:1]
	v_cmp_le_u32_e64 s[0:1], s13, v9
	v_subb_co_u32_e32 v1, vcc, v2, v1, vcc
	v_cndmask_b32_e64 v12, 0, -1, s[0:1]
	v_cmp_le_u32_e64 s[0:1], s12, v11
	v_cmp_le_u32_e32 vcc, s13, v1
	v_cndmask_b32_e64 v13, 0, -1, s[0:1]
	v_cmp_eq_u32_e64 s[0:1], s13, v9
	v_cndmask_b32_e64 v2, 0, -1, vcc
	v_cmp_le_u32_e32 vcc, s12, v10
	v_cndmask_b32_e64 v9, v12, v13, s[0:1]
	v_cndmask_b32_e64 v13, 0, -1, vcc
	v_cmp_eq_u32_e32 vcc, s13, v1
	v_subrev_co_u32_e64 v12, s[0:1], s12, v11
	v_cndmask_b32_e32 v1, v2, v13, vcc
	v_cmp_ne_u32_e32 vcc, 0, v9
	v_cndmask_b32_e32 v2, v11, v12, vcc
	v_cmp_ne_u32_e32 vcc, 0, v1
	v_cndmask_b32_e32 v10, v10, v2, vcc
.LBB40_22:                              ;   in Loop: Header=BB40_9 Depth=1
	s_andn2_saveexec_b64 s[0:1], s[16:17]
	s_cbranch_execz .LBB40_24
; %bb.23:                               ;   in Loop: Header=BB40_9 Depth=1
	v_cvt_f32_u32_e32 v1, s12
	s_sub_i32 s16, 0, s12
	v_rcp_iflag_f32_e32 v1, v1
	v_mul_f32_e32 v1, 0x4f7ffffe, v1
	v_cvt_u32_f32_e32 v1, v1
	v_mul_lo_u32 v2, s16, v1
	v_mul_hi_u32 v2, v1, v2
	v_add_u32_e32 v1, v1, v2
	v_mul_hi_u32 v1, v3, v1
	v_mul_lo_u32 v1, v1, s12
	v_sub_u32_e32 v1, v3, v1
	v_subrev_u32_e32 v2, s12, v1
	v_cmp_le_u32_e32 vcc, s12, v1
	v_cndmask_b32_e32 v1, v1, v2, vcc
	v_subrev_u32_e32 v2, s12, v1
	v_cmp_le_u32_e32 vcc, s12, v1
	v_cndmask_b32_e32 v10, v1, v2, vcc
.LBB40_24:                              ;   in Loop: Header=BB40_9 Depth=1
	s_or_b64 exec, exec, s[0:1]
	v_add_u32_e32 v1, s23, v41
	v_ashrrev_i32_e32 v3, 31, v1
	v_mov_b32_e32 v9, s11
	v_add_co_u32_e32 v2, vcc, s10, v1
	v_addc_co_u32_e32 v3, vcc, v9, v3, vcc
	v_add_u32_e32 v1, s14, v10
	global_store_short v[2:3], v1, off
.LBB40_25:                              ;   in Loop: Header=BB40_9 Depth=1
	s_or_b64 exec, exec, s[6:7]
	v_mov_b32_e32 v1, s15
	v_add_co_u32_e32 v2, vcc, s18, v18
	v_addc_co_u32_e32 v3, vcc, v1, v19, vcc
	v_cmp_gt_i64_e32 vcc, s[8:9], v[2:3]
	s_and_saveexec_b64 s[6:7], vcc
	s_cbranch_execz .LBB40_8
; %bb.26:                               ;   in Loop: Header=BB40_9 Depth=1
	v_or_b32_e32 v17, s13, v4
	v_cmp_ne_u64_e32 vcc, 0, v[16:17]
                                        ; implicit-def: $vgpr10_vgpr11
	s_and_saveexec_b64 s[0:1], vcc
	s_xor_b64 s[16:17], exec, s[0:1]
	s_cbranch_execz .LBB40_28
; %bb.27:                               ;   in Loop: Header=BB40_9 Depth=1
	v_cvt_f32_u32_e32 v1, s12
	v_cvt_f32_u32_e32 v2, s13
	s_sub_u32 s0, 0, s12
	s_subb_u32 s1, 0, s13
	v_mac_f32_e32 v1, 0x4f800000, v2
	v_rcp_f32_e32 v1, v1
	v_mul_f32_e32 v1, 0x5f7ffffc, v1
	v_mul_f32_e32 v2, 0x2f800000, v1
	v_trunc_f32_e32 v2, v2
	v_mac_f32_e32 v1, 0xcf800000, v2
	v_cvt_u32_f32_e32 v2, v2
	v_cvt_u32_f32_e32 v1, v1
	v_mul_lo_u32 v3, s0, v2
	v_mul_hi_u32 v10, s0, v1
	v_mul_lo_u32 v9, s1, v1
	v_add_u32_e32 v3, v10, v3
	v_mul_lo_u32 v11, s0, v1
	v_add_u32_e32 v3, v3, v9
	v_mul_hi_u32 v10, v1, v11
	v_mul_lo_u32 v12, v1, v3
	v_mul_hi_u32 v9, v1, v3
	v_add_co_u32_e32 v10, vcc, v10, v12
	v_addc_co_u32_e32 v9, vcc, 0, v9, vcc
	v_mul_hi_u32 v13, v2, v11
	v_mul_lo_u32 v11, v2, v11
	v_add_co_u32_e32 v10, vcc, v10, v11
	v_mul_hi_u32 v12, v2, v3
	v_addc_co_u32_e32 v9, vcc, v9, v13, vcc
	v_addc_co_u32_e32 v10, vcc, 0, v12, vcc
	v_mul_lo_u32 v3, v2, v3
	v_add_co_u32_e32 v3, vcc, v9, v3
	v_addc_co_u32_e32 v9, vcc, 0, v10, vcc
	v_add_co_u32_e32 v1, vcc, v1, v3
	v_addc_co_u32_e32 v2, vcc, v2, v9, vcc
	v_mul_lo_u32 v3, s0, v2
	v_mul_hi_u32 v9, s0, v1
	v_add_u32_e32 v3, v9, v3
	v_mul_lo_u32 v9, s1, v1
	v_add_u32_e32 v3, v3, v9
	v_mul_lo_u32 v10, s0, v1
	v_mul_hi_u32 v11, v2, v10
	v_mul_lo_u32 v12, v2, v10
	v_mul_lo_u32 v17, v1, v3
	v_mul_hi_u32 v10, v1, v10
	v_mul_hi_u32 v13, v1, v3
	v_add_co_u32_e32 v10, vcc, v10, v17
	v_addc_co_u32_e32 v13, vcc, 0, v13, vcc
	v_add_co_u32_e32 v10, vcc, v10, v12
	v_mul_hi_u32 v9, v2, v3
	v_addc_co_u32_e32 v10, vcc, v13, v11, vcc
	v_addc_co_u32_e32 v9, vcc, 0, v9, vcc
	v_mul_lo_u32 v3, v2, v3
	v_add_co_u32_e32 v3, vcc, v10, v3
	v_addc_co_u32_e32 v9, vcc, 0, v9, vcc
	v_add_co_u32_e32 v1, vcc, v1, v3
	v_addc_co_u32_e32 v9, vcc, v2, v9, vcc
	v_mad_u64_u32 v[2:3], s[0:1], v5, v9, 0
	v_mul_hi_u32 v10, v5, v1
	v_add_co_u32_e32 v12, vcc, v10, v2
	v_addc_co_u32_e32 v13, vcc, 0, v3, vcc
	v_mad_u64_u32 v[10:11], s[0:1], v4, v1, 0
	v_add_co_u32_e32 v1, vcc, v12, v10
	v_mad_u64_u32 v[2:3], s[0:1], v4, v9, 0
	v_addc_co_u32_e32 v1, vcc, v13, v11, vcc
	v_addc_co_u32_e32 v3, vcc, 0, v3, vcc
	v_add_co_u32_e32 v1, vcc, v1, v2
	v_addc_co_u32_e32 v2, vcc, 0, v3, vcc
	v_mul_lo_u32 v9, s13, v1
	v_mul_lo_u32 v10, s12, v2
	v_mad_u64_u32 v[2:3], s[0:1], s12, v1, 0
	v_add3_u32 v1, v3, v10, v9
	v_sub_u32_e32 v3, v4, v1
	v_mov_b32_e32 v9, s13
	v_sub_co_u32_e32 v2, vcc, v5, v2
	v_subb_co_u32_e64 v3, s[0:1], v3, v9, vcc
	v_subrev_co_u32_e64 v5, s[0:1], s12, v2
	v_subbrev_co_u32_e64 v3, s[0:1], 0, v3, s[0:1]
	v_cmp_le_u32_e64 s[0:1], s13, v3
	v_subb_co_u32_e32 v1, vcc, v4, v1, vcc
	v_cndmask_b32_e64 v9, 0, -1, s[0:1]
	v_cmp_le_u32_e64 s[0:1], s12, v5
	v_cmp_le_u32_e32 vcc, s13, v1
	v_cndmask_b32_e64 v10, 0, -1, s[0:1]
	v_cmp_eq_u32_e64 s[0:1], s13, v3
	v_cndmask_b32_e64 v4, 0, -1, vcc
	v_cmp_le_u32_e32 vcc, s12, v2
	v_cndmask_b32_e64 v3, v9, v10, s[0:1]
	v_cndmask_b32_e64 v10, 0, -1, vcc
	v_cmp_eq_u32_e32 vcc, s13, v1
	v_subrev_co_u32_e64 v9, s[0:1], s12, v5
	v_cndmask_b32_e32 v1, v4, v10, vcc
	v_cmp_ne_u32_e32 vcc, 0, v3
	v_cndmask_b32_e32 v3, v5, v9, vcc
	v_cmp_ne_u32_e32 vcc, 0, v1
	v_cndmask_b32_e32 v10, v2, v3, vcc
                                        ; implicit-def: $vgpr2_vgpr3_vgpr4_vgpr5
.LBB40_28:                              ;   in Loop: Header=BB40_9 Depth=1
	s_andn2_saveexec_b64 s[0:1], s[16:17]
	s_cbranch_execz .LBB40_7
; %bb.29:                               ;   in Loop: Header=BB40_9 Depth=1
	v_cvt_f32_u32_e32 v1, s12
	s_sub_i32 s16, 0, s12
	v_rcp_iflag_f32_e32 v1, v1
	v_mul_f32_e32 v1, 0x4f7ffffe, v1
	v_cvt_u32_f32_e32 v1, v1
	v_mul_lo_u32 v2, s16, v1
	v_mul_hi_u32 v2, v1, v2
	v_add_u32_e32 v1, v1, v2
	v_mul_hi_u32 v1, v5, v1
	v_mul_lo_u32 v1, v1, s12
	v_sub_u32_e32 v1, v5, v1
	v_subrev_u32_e32 v2, s12, v1
	v_cmp_le_u32_e32 vcc, s12, v1
	v_cndmask_b32_e32 v1, v1, v2, vcc
	v_subrev_u32_e32 v2, s12, v1
	v_cmp_le_u32_e32 vcc, s12, v1
	v_cndmask_b32_e32 v10, v1, v2, vcc
	s_branch .LBB40_7
.LBB40_30:
	s_endpgm
.LBB40_31:
                                        ; implicit-def: $sgpr2_sgpr3
	s_andn2_b64 vcc, exec, s[0:1]
	s_cbranch_vccz .LBB40_4
	s_branch .LBB40_5
	.section	.rodata,"a",@progbits
	.p2align	6, 0x0
	.amdhsa_kernel _ZN2at6native12_GLOBAL__N_143distribution_elementwise_grid_stride_kernelImLi2EZZZNS0_9templates4cuda21random_from_to_kernelIPNS_17CUDAGeneratorImplEEEvRNS_18TensorIteratorBaseEmlT_ENKUlvE_clEvENKUlvE9_clEvEUlP25hiprandStatePhilox4_32_10E_ZNS1_27distribution_nullary_kernelItm15HIP_vector_typeIyLj2EES7_SF_ZZZNS5_IS7_EEvS9_mlSA_ENKSB_clEvENKSC_clEvEUlmE_EEvS9_T2_RKT3_T4_EUlimE_EEvlNS_15PhiloxCudaStateET1_SK_
		.amdhsa_group_segment_fixed_size 0
		.amdhsa_private_segment_fixed_size 0
		.amdhsa_kernarg_size 336
		.amdhsa_user_sgpr_count 6
		.amdhsa_user_sgpr_private_segment_buffer 1
		.amdhsa_user_sgpr_dispatch_ptr 0
		.amdhsa_user_sgpr_queue_ptr 0
		.amdhsa_user_sgpr_kernarg_segment_ptr 1
		.amdhsa_user_sgpr_dispatch_id 0
		.amdhsa_user_sgpr_flat_scratch_init 0
		.amdhsa_user_sgpr_kernarg_preload_length 0
		.amdhsa_user_sgpr_kernarg_preload_offset 0
		.amdhsa_user_sgpr_private_segment_size 0
		.amdhsa_uses_dynamic_stack 0
		.amdhsa_system_sgpr_private_segment_wavefront_offset 0
		.amdhsa_system_sgpr_workgroup_id_x 1
		.amdhsa_system_sgpr_workgroup_id_y 0
		.amdhsa_system_sgpr_workgroup_id_z 0
		.amdhsa_system_sgpr_workgroup_info 0
		.amdhsa_system_vgpr_workitem_id 0
		.amdhsa_next_free_vgpr 48
		.amdhsa_next_free_sgpr 24
		.amdhsa_accum_offset 48
		.amdhsa_reserve_vcc 1
		.amdhsa_reserve_flat_scratch 0
		.amdhsa_float_round_mode_32 0
		.amdhsa_float_round_mode_16_64 0
		.amdhsa_float_denorm_mode_32 3
		.amdhsa_float_denorm_mode_16_64 3
		.amdhsa_dx10_clamp 1
		.amdhsa_ieee_mode 1
		.amdhsa_fp16_overflow 0
		.amdhsa_tg_split 0
		.amdhsa_exception_fp_ieee_invalid_op 0
		.amdhsa_exception_fp_denorm_src 0
		.amdhsa_exception_fp_ieee_div_zero 0
		.amdhsa_exception_fp_ieee_overflow 0
		.amdhsa_exception_fp_ieee_underflow 0
		.amdhsa_exception_fp_ieee_inexact 0
		.amdhsa_exception_int_div_zero 0
	.end_amdhsa_kernel
	.section	.text._ZN2at6native12_GLOBAL__N_143distribution_elementwise_grid_stride_kernelImLi2EZZZNS0_9templates4cuda21random_from_to_kernelIPNS_17CUDAGeneratorImplEEEvRNS_18TensorIteratorBaseEmlT_ENKUlvE_clEvENKUlvE9_clEvEUlP25hiprandStatePhilox4_32_10E_ZNS1_27distribution_nullary_kernelItm15HIP_vector_typeIyLj2EES7_SF_ZZZNS5_IS7_EEvS9_mlSA_ENKSB_clEvENKSC_clEvEUlmE_EEvS9_T2_RKT3_T4_EUlimE_EEvlNS_15PhiloxCudaStateET1_SK_,"axG",@progbits,_ZN2at6native12_GLOBAL__N_143distribution_elementwise_grid_stride_kernelImLi2EZZZNS0_9templates4cuda21random_from_to_kernelIPNS_17CUDAGeneratorImplEEEvRNS_18TensorIteratorBaseEmlT_ENKUlvE_clEvENKUlvE9_clEvEUlP25hiprandStatePhilox4_32_10E_ZNS1_27distribution_nullary_kernelItm15HIP_vector_typeIyLj2EES7_SF_ZZZNS5_IS7_EEvS9_mlSA_ENKSB_clEvENKSC_clEvEUlmE_EEvS9_T2_RKT3_T4_EUlimE_EEvlNS_15PhiloxCudaStateET1_SK_,comdat
.Lfunc_end40:
	.size	_ZN2at6native12_GLOBAL__N_143distribution_elementwise_grid_stride_kernelImLi2EZZZNS0_9templates4cuda21random_from_to_kernelIPNS_17CUDAGeneratorImplEEEvRNS_18TensorIteratorBaseEmlT_ENKUlvE_clEvENKUlvE9_clEvEUlP25hiprandStatePhilox4_32_10E_ZNS1_27distribution_nullary_kernelItm15HIP_vector_typeIyLj2EES7_SF_ZZZNS5_IS7_EEvS9_mlSA_ENKSB_clEvENKSC_clEvEUlmE_EEvS9_T2_RKT3_T4_EUlimE_EEvlNS_15PhiloxCudaStateET1_SK_, .Lfunc_end40-_ZN2at6native12_GLOBAL__N_143distribution_elementwise_grid_stride_kernelImLi2EZZZNS0_9templates4cuda21random_from_to_kernelIPNS_17CUDAGeneratorImplEEEvRNS_18TensorIteratorBaseEmlT_ENKUlvE_clEvENKUlvE9_clEvEUlP25hiprandStatePhilox4_32_10E_ZNS1_27distribution_nullary_kernelItm15HIP_vector_typeIyLj2EES7_SF_ZZZNS5_IS7_EEvS9_mlSA_ENKSB_clEvENKSC_clEvEUlmE_EEvS9_T2_RKT3_T4_EUlimE_EEvlNS_15PhiloxCudaStateET1_SK_
                                        ; -- End function
	.section	.AMDGPU.csdata,"",@progbits
; Kernel info:
; codeLenInByte = 3552
; NumSgprs: 28
; NumVgprs: 48
; NumAgprs: 0
; TotalNumVgprs: 48
; ScratchSize: 0
; MemoryBound: 0
; FloatMode: 240
; IeeeMode: 1
; LDSByteSize: 0 bytes/workgroup (compile time only)
; SGPRBlocks: 3
; VGPRBlocks: 5
; NumSGPRsForWavesPerEU: 28
; NumVGPRsForWavesPerEU: 48
; AccumOffset: 48
; Occupancy: 8
; WaveLimiterHint : 0
; COMPUTE_PGM_RSRC2:SCRATCH_EN: 0
; COMPUTE_PGM_RSRC2:USER_SGPR: 6
; COMPUTE_PGM_RSRC2:TRAP_HANDLER: 0
; COMPUTE_PGM_RSRC2:TGID_X_EN: 1
; COMPUTE_PGM_RSRC2:TGID_Y_EN: 0
; COMPUTE_PGM_RSRC2:TGID_Z_EN: 0
; COMPUTE_PGM_RSRC2:TIDIG_COMP_CNT: 0
; COMPUTE_PGM_RSRC3_GFX90A:ACCUM_OFFSET: 11
; COMPUTE_PGM_RSRC3_GFX90A:TG_SPLIT: 0
	.section	.text._ZN2at6native12_GLOBAL__N_143distribution_elementwise_grid_stride_kernelImLi2EZZZNS0_9templates4cuda21random_from_to_kernelIPNS_17CUDAGeneratorImplEEEvRNS_18TensorIteratorBaseEmlT_ENKUlvE_clEvENKUlvE9_clEvEUlP25hiprandStatePhilox4_32_10E_ZNS1_27distribution_nullary_kernelItm15HIP_vector_typeIyLj2EES7_SF_ZZZNS5_IS7_EEvS9_mlSA_ENKSB_clEvENKSC_clEvEUlmE_EEvS9_T2_RKT3_T4_EUlimE0_EEvlNS_15PhiloxCudaStateET1_SK_,"axG",@progbits,_ZN2at6native12_GLOBAL__N_143distribution_elementwise_grid_stride_kernelImLi2EZZZNS0_9templates4cuda21random_from_to_kernelIPNS_17CUDAGeneratorImplEEEvRNS_18TensorIteratorBaseEmlT_ENKUlvE_clEvENKUlvE9_clEvEUlP25hiprandStatePhilox4_32_10E_ZNS1_27distribution_nullary_kernelItm15HIP_vector_typeIyLj2EES7_SF_ZZZNS5_IS7_EEvS9_mlSA_ENKSB_clEvENKSC_clEvEUlmE_EEvS9_T2_RKT3_T4_EUlimE0_EEvlNS_15PhiloxCudaStateET1_SK_,comdat
	.globl	_ZN2at6native12_GLOBAL__N_143distribution_elementwise_grid_stride_kernelImLi2EZZZNS0_9templates4cuda21random_from_to_kernelIPNS_17CUDAGeneratorImplEEEvRNS_18TensorIteratorBaseEmlT_ENKUlvE_clEvENKUlvE9_clEvEUlP25hiprandStatePhilox4_32_10E_ZNS1_27distribution_nullary_kernelItm15HIP_vector_typeIyLj2EES7_SF_ZZZNS5_IS7_EEvS9_mlSA_ENKSB_clEvENKSC_clEvEUlmE_EEvS9_T2_RKT3_T4_EUlimE0_EEvlNS_15PhiloxCudaStateET1_SK_ ; -- Begin function _ZN2at6native12_GLOBAL__N_143distribution_elementwise_grid_stride_kernelImLi2EZZZNS0_9templates4cuda21random_from_to_kernelIPNS_17CUDAGeneratorImplEEEvRNS_18TensorIteratorBaseEmlT_ENKUlvE_clEvENKUlvE9_clEvEUlP25hiprandStatePhilox4_32_10E_ZNS1_27distribution_nullary_kernelItm15HIP_vector_typeIyLj2EES7_SF_ZZZNS5_IS7_EEvS9_mlSA_ENKSB_clEvENKSC_clEvEUlmE_EEvS9_T2_RKT3_T4_EUlimE0_EEvlNS_15PhiloxCudaStateET1_SK_
	.p2align	8
	.type	_ZN2at6native12_GLOBAL__N_143distribution_elementwise_grid_stride_kernelImLi2EZZZNS0_9templates4cuda21random_from_to_kernelIPNS_17CUDAGeneratorImplEEEvRNS_18TensorIteratorBaseEmlT_ENKUlvE_clEvENKUlvE9_clEvEUlP25hiprandStatePhilox4_32_10E_ZNS1_27distribution_nullary_kernelItm15HIP_vector_typeIyLj2EES7_SF_ZZZNS5_IS7_EEvS9_mlSA_ENKSB_clEvENKSC_clEvEUlmE_EEvS9_T2_RKT3_T4_EUlimE0_EEvlNS_15PhiloxCudaStateET1_SK_,@function
_ZN2at6native12_GLOBAL__N_143distribution_elementwise_grid_stride_kernelImLi2EZZZNS0_9templates4cuda21random_from_to_kernelIPNS_17CUDAGeneratorImplEEEvRNS_18TensorIteratorBaseEmlT_ENKUlvE_clEvENKUlvE9_clEvEUlP25hiprandStatePhilox4_32_10E_ZNS1_27distribution_nullary_kernelItm15HIP_vector_typeIyLj2EES7_SF_ZZZNS5_IS7_EEvS9_mlSA_ENKSB_clEvENKSC_clEvEUlmE_EEvS9_T2_RKT3_T4_EUlimE0_EEvlNS_15PhiloxCudaStateET1_SK_: ; @_ZN2at6native12_GLOBAL__N_143distribution_elementwise_grid_stride_kernelImLi2EZZZNS0_9templates4cuda21random_from_to_kernelIPNS_17CUDAGeneratorImplEEEvRNS_18TensorIteratorBaseEmlT_ENKUlvE_clEvENKUlvE9_clEvEUlP25hiprandStatePhilox4_32_10E_ZNS1_27distribution_nullary_kernelItm15HIP_vector_typeIyLj2EES7_SF_ZZZNS5_IS7_EEvS9_mlSA_ENKSB_clEvENKSC_clEvEUlmE_EEvS9_T2_RKT3_T4_EUlimE0_EEvlNS_15PhiloxCudaStateET1_SK_
; %bb.0:
	s_load_dword s2, s[4:5], 0x20
	s_load_dwordx2 s[0:1], s[4:5], 0x10
	s_load_dwordx4 s[24:27], s[4:5], 0x0
	s_waitcnt lgkmcnt(0)
	s_bitcmp0_b32 s2, 0
	s_mov_b32 s2, 0
	v_pk_mov_b32 v[2:3], s[0:1], s[0:1] op_sel:[0,1]
	v_pk_mov_b32 v[12:13], s[26:27], s[26:27] op_sel:[0,1]
	s_cbranch_scc1 .LBB41_2
; %bb.1:
	v_pk_mov_b32 v[2:3], s[0:1], s[0:1] op_sel:[0,1]
	flat_load_dwordx2 v[2:3], v[2:3]
	v_pk_mov_b32 v[4:5], s[26:27], s[26:27] op_sel:[0,1]
	flat_load_dwordx2 v[12:13], v[4:5]
	s_load_dwordx2 s[0:1], s[4:5], 0x18
	s_waitcnt lgkmcnt(0)
	v_mov_b32_e32 v1, s1
	s_waitcnt vmcnt(0)
	v_add_co_u32_e32 v2, vcc, s0, v2
	v_addc_co_u32_e32 v3, vcc, v3, v1, vcc
.LBB41_2:
	s_load_dword s0, s[4:5], 0x15c
	s_load_dword s7, s[4:5], 0x150
	s_waitcnt lgkmcnt(0)
	s_and_b32 s8, s0, 0xffff
	s_add_u32 s9, s24, -1
	s_mul_i32 s33, s7, s8
	s_addc_u32 s3, s25, -1
	s_lshl_b32 s62, s33, 1
	s_cmp_lg_u64 s[2:3], 0
	s_mov_b64 s[0:1], -1
	s_cbranch_scc0 .LBB41_59
; %bb.3:
	v_cvt_f32_u32_e32 v1, s62
	v_cvt_f32_ubyte0_e32 v4, 0
	s_sub_u32 s2, 0, s62
	s_subb_u32 s10, 0, 0
	v_madmk_f32 v1, v4, 0x4f800000, v1
	v_rcp_f32_e32 v1, v1
	v_mul_f32_e32 v1, 0x5f7ffffc, v1
	v_mul_f32_e32 v4, 0x2f800000, v1
	v_trunc_f32_e32 v4, v4
	v_madmk_f32 v1, v4, 0xcf800000, v1
	v_cvt_u32_f32_e32 v4, v4
	v_cvt_u32_f32_e32 v1, v1
	v_readfirstlane_b32 s11, v4
	v_readfirstlane_b32 s12, v1
	s_mul_i32 s13, s2, s11
	s_mul_hi_u32 s15, s2, s12
	s_mul_i32 s14, s10, s12
	s_add_i32 s13, s15, s13
	s_add_i32 s13, s13, s14
	s_mul_i32 s16, s2, s12
	s_mul_hi_u32 s14, s12, s13
	s_mul_i32 s15, s12, s13
	s_mul_hi_u32 s12, s12, s16
	s_add_u32 s12, s12, s15
	s_addc_u32 s14, 0, s14
	s_mul_hi_u32 s17, s11, s16
	s_mul_i32 s16, s11, s16
	s_add_u32 s12, s12, s16
	s_mul_hi_u32 s15, s11, s13
	s_addc_u32 s12, s14, s17
	s_addc_u32 s14, s15, 0
	s_mul_i32 s13, s11, s13
	s_add_u32 s12, s12, s13
	s_addc_u32 s13, 0, s14
	v_add_co_u32_e32 v1, vcc, s12, v1
	s_cmp_lg_u64 vcc, 0
	s_addc_u32 s11, s11, s13
	v_readfirstlane_b32 s13, v1
	s_mul_i32 s12, s2, s11
	s_mul_hi_u32 s14, s2, s13
	s_add_i32 s12, s14, s12
	s_mul_i32 s10, s10, s13
	s_add_i32 s12, s12, s10
	s_mul_i32 s2, s2, s13
	s_mul_hi_u32 s14, s11, s2
	s_mul_i32 s15, s11, s2
	s_mul_i32 s17, s13, s12
	s_mul_hi_u32 s2, s13, s2
	s_mul_hi_u32 s16, s13, s12
	s_add_u32 s2, s2, s17
	s_addc_u32 s13, 0, s16
	s_add_u32 s2, s2, s15
	s_mul_hi_u32 s10, s11, s12
	s_addc_u32 s2, s13, s14
	s_addc_u32 s10, s10, 0
	s_mul_i32 s12, s11, s12
	s_add_u32 s2, s2, s12
	s_addc_u32 s10, 0, s10
	v_add_co_u32_e32 v1, vcc, s2, v1
	s_cmp_lg_u64 vcc, 0
	s_addc_u32 s12, s11, s10
	s_ashr_i32 s10, s3, 31
	s_add_u32 s2, s9, s10
	s_mov_b32 s11, s10
	s_addc_u32 s3, s3, s10
	s_xor_b64 s[2:3], s[2:3], s[10:11]
	v_readfirstlane_b32 s15, v1
	s_mul_i32 s14, s2, s12
	s_mul_hi_u32 s16, s2, s15
	s_mul_hi_u32 s13, s2, s12
	s_add_u32 s14, s16, s14
	s_addc_u32 s13, 0, s13
	s_mul_hi_u32 s17, s3, s15
	s_mul_i32 s15, s3, s15
	s_add_u32 s14, s14, s15
	s_mul_hi_u32 s16, s3, s12
	s_addc_u32 s13, s13, s17
	s_addc_u32 s14, s16, 0
	s_mul_i32 s12, s3, s12
	s_add_u32 s12, s13, s12
	s_addc_u32 s13, 0, s14
	s_add_u32 s14, s12, 1
	s_addc_u32 s15, s13, 0
	s_add_u32 s16, s12, 2
	s_mul_i32 s18, s62, s13
	s_mul_hi_u32 s19, s62, s12
	s_addc_u32 s17, s13, 0
	s_add_i32 s19, s19, s18
	s_mul_i32 s18, s62, s12
	v_mov_b32_e32 v1, s18
	v_sub_co_u32_e32 v1, vcc, s2, v1
	s_cmp_lg_u64 vcc, 0
	s_subb_u32 s2, s3, s19
	v_subrev_co_u32_e32 v4, vcc, s62, v1
	s_cmp_lg_u64 vcc, 0
	s_subb_u32 s3, s2, 0
	v_readfirstlane_b32 s18, v4
	s_cmp_ge_u32 s18, s62
	s_cselect_b32 s18, -1, 0
	s_cmp_eq_u32 s3, 0
	s_cselect_b32 s3, s18, -1
	s_cmp_lg_u32 s3, 0
	s_cselect_b32 s3, s17, s15
	v_readfirstlane_b32 s15, v1
	s_cselect_b32 s14, s16, s14
	s_cmp_ge_u32 s15, s62
	s_cselect_b32 s15, -1, 0
	s_cmp_eq_u32 s2, 0
	s_cselect_b32 s2, s15, -1
	s_cmp_lg_u32 s2, 0
	s_cselect_b32 s3, s3, s13
	s_cselect_b32 s2, s14, s12
	s_xor_b64 s[2:3], s[2:3], s[10:11]
	s_sub_u32 s2, s2, s10
	s_subb_u32 s3, s3, s10
	s_cbranch_execnz .LBB41_5
.LBB41_4:
	v_cvt_f32_u32_e32 v1, s62
	s_sub_i32 s0, 0, s62
	s_mov_b32 s3, 0
	v_rcp_iflag_f32_e32 v1, v1
	v_mul_f32_e32 v1, 0x4f7ffffe, v1
	v_cvt_u32_f32_e32 v1, v1
	v_readfirstlane_b32 s1, v1
	s_mul_i32 s0, s0, s1
	s_mul_hi_u32 s0, s1, s0
	s_add_i32 s1, s1, s0
	s_mul_hi_u32 s0, s9, s1
	s_mul_i32 s2, s0, s62
	s_sub_i32 s2, s9, s2
	s_add_i32 s1, s0, 1
	s_sub_i32 s9, s2, s62
	s_cmp_ge_u32 s2, s62
	s_cselect_b32 s0, s1, s0
	s_cselect_b32 s2, s9, s2
	s_add_i32 s1, s0, 1
	s_cmp_ge_u32 s2, s62
	s_cselect_b32 s2, s1, s0
.LBB41_5:
	v_mov_b32_e32 v14, 0
	v_mov_b32_e32 v1, v14
	;; [unrolled: 1-line block ×3, first 2 shown]
	v_mad_u64_u32 v[16:17], s[0:1], s8, v4, v[0:1]
	s_add_u32 s0, s2, 1
	s_addc_u32 s1, s3, 0
	s_mul_hi_u32 s2, s7, s8
	s_mul_i32 s1, s33, s1
	s_mul_hi_u32 s3, s33, s0
	s_add_i32 s1, s3, s1
	s_mul_i32 s2, s2, s0
	s_add_i32 s1, s1, s2
	s_mul_i32 s0, s33, s0
	s_lshl_b64 s[26:27], s[0:1], 1
	v_cmp_gt_i64_e32 vcc, s[26:27], v[16:17]
	s_and_saveexec_b64 s[0:1], vcc
	s_cbranch_execz .LBB41_58
; %bb.6:
	s_mov_b32 s0, 0x5384540f
	v_mov_b32_e32 v0, v13
	v_add_co_u32_e32 v24, vcc, s0, v12
	s_mov_b32 s0, 0x646e171e
	v_add_co_u32_e32 v25, vcc, s0, v0
	s_mov_b32 s0, 0x1715609d
	;; [unrolled: 2-line block ×6, first 2 shown]
	v_alignbit_b32 v31, v3, v2, 2
	s_mov_b32 s64, 0xd2511f53
	v_add_co_u32_e32 v30, vcc, s0, v12
	v_mad_u64_u32 v[4:5], s[0:1], v31, s64, 0
	v_xor_b32_e32 v1, v5, v13
	v_xor_b32_e32 v1, v1, v17
	s_mov_b32 s65, 0xcd9e8d57
	v_mad_u64_u32 v[6:7], s[0:1], v1, s65, 0
	v_xor_b32_e32 v1, v30, v7
	v_mad_u64_u32 v[8:9], s[0:1], v16, s65, 0
	v_and_b32_e32 v20, 3, v2
	v_xor_b32_e32 v1, v1, v8
	v_xor_b32_e32 v2, v12, v9
	v_lshrrev_b32_e32 v32, 2, v3
	v_mad_u64_u32 v[10:11], s[0:1], v1, s64, 0
	v_xor_b32_e32 v2, v2, v32
	v_xor_b32_e32 v1, v29, v11
	v_mad_u64_u32 v[2:3], s[0:1], v2, s64, 0
	v_xor_b32_e32 v1, v1, v2
	v_mad_u64_u32 v[8:9], s[0:1], v1, s65, 0
	s_mov_b32 s0, 0xbb67ae85
	v_add_co_u32_e32 v33, vcc, s0, v0
	v_xor_b32_e32 v2, v33, v3
	v_xor_b32_e32 v2, v2, v4
	v_xor_b32_e32 v1, v28, v9
	v_mad_u64_u32 v[2:3], s[0:1], v2, s65, 0
	v_xor_b32_e32 v1, v1, v2
	v_mad_u64_u32 v[4:5], s[0:1], v1, s64, 0
	s_mov_b32 s0, 0x3c6ef372
	v_add_co_u32_e32 v34, vcc, s0, v12
	v_xor_b32_e32 v2, v34, v3
	;; [unrolled: 8-line block ×6, first 2 shown]
	v_add_co_u32_e32 v23, vcc, 0xdb3d7428, v0
	v_xor_b32_e32 v2, v2, v6
	v_xor_b32_e32 v1, v23, v5
	v_mad_u64_u32 v[2:3], s[0:1], v2, s64, 0
	v_xor_b32_e32 v1, v1, v2
	v_mad_u64_u32 v[6:7], s[0:1], v1, s65, 0
	s_mov_b32 s0, 0x1fd5c5a3
	v_add_co_u32_e32 v39, vcc, s0, v0
	v_xor_b32_e32 v0, v39, v3
	v_xor_b32_e32 v0, v0, v10
	v_mad_u64_u32 v[0:1], s[0:1], v0, s65, 0
	s_mov_b32 s0, 0xf1bbcdc8
	s_load_dwordx8 s[8:15], s[4:5], 0x30
	v_add_co_u32_e32 v40, vcc, s0, v12
	v_xor_b32_e32 v1, v40, v1
	v_xor_b32_e32 v1, v1, v8
	s_add_u32 s34, s4, 48
	v_mad_u64_u32 v[8:9], s[0:1], v1, s64, 0
	s_addc_u32 s35, s5, 0
	s_waitcnt lgkmcnt(0)
	s_add_i32 s0, s8, -1
	s_cmp_gt_u32 s0, 1
	s_cselect_b64 s[40:41], -1, 0
	s_cmp_lg_u32 s8, 0
	s_cselect_b64 s[42:43], -1, 0
	s_add_u32 s44, s4, 0xf4
	s_addc_u32 s45, s5, 0
	s_min_u32 s1, s0, 15
	s_cmp_gt_u32 s8, 1
	s_cselect_b64 s[46:47], -1, 0
	s_load_dwordx2 s[48:49], s[4:5], 0x148
	s_load_dwordx2 s[50:51], s[4:5], 0xf4
	s_load_dwordx4 s[28:31], s[4:5], 0x138
	s_add_i32 s1, s1, 1
	s_mov_b32 s8, s13
	s_and_b32 s13, s1, 3
	s_cmp_lg_u32 s0, 2
	s_cselect_b64 s[52:53], -1, 0
	s_and_b32 s15, s1, 28
	v_add_u32_e32 v21, 0x8ff34781, v12
	v_add_u32_e32 v22, 0x96a522ad, v13
	v_xor_b32_e32 v0, v7, v0
	v_xor_b32_e32 v1, v9, v4
	s_cmp_lg_u32 s13, 0
	s_mov_b32 s63, 0
	v_xor_b32_e32 v0, v21, v0
	v_xor_b32_e32 v2, v22, v1
	v_mov_b32_e32 v1, v6
	v_mov_b32_e32 v3, v8
	s_mov_b64 s[54:55], 0
	s_cselect_b64 s[56:57], -1, 0
	v_mov_b32_e32 v41, v16
	v_mov_b32_e32 v42, v17
	s_branch .LBB41_9
.LBB41_7:                               ;   in Loop: Header=BB41_9 Depth=1
	s_or_b64 exec, exec, s[0:1]
	v_add_u32_e32 v0, s48, v10
	global_store_short v8, v0, s[28:29]
.LBB41_8:                               ;   in Loop: Header=BB41_9 Depth=1
	s_or_b64 exec, exec, s[36:37]
	v_add_co_u32_e32 v16, vcc, s62, v16
	v_addc_co_u32_e32 v17, vcc, 0, v17, vcc
	v_mov_b32_e32 v7, v18
	v_cmp_le_i64_e32 vcc, s[26:27], v[16:17]
	v_pk_mov_b32 v[0:1], v[4:5], v[4:5] op_sel:[0,1]
	s_or_b64 s[54:55], vcc, s[54:55]
	v_pk_mov_b32 v[2:3], v[6:7], v[6:7] op_sel:[0,1]
	s_waitcnt lgkmcnt(0)
	s_barrier
	s_andn2_b64 exec, exec, s[54:55]
	s_cbranch_execz .LBB41_58
.LBB41_9:                               ; =>This Loop Header: Depth=1
                                        ;     Child Loop BB41_24 Depth 2
                                        ;     Child Loop BB41_30 Depth 2
	;; [unrolled: 1-line block ×4, first 2 shown]
	v_add_co_u32_e32 v31, vcc, 1, v31
	v_cndmask_b32_e64 v4, 0, 1, vcc
	v_addc_co_u32_e32 v32, vcc, 0, v32, vcc
	v_cmp_eq_u32_e32 vcc, 0, v32
	v_cndmask_b32_e32 v4, 0, v4, vcc
	v_add_u32_e32 v41, v4, v41
	v_cmp_eq_u32_e32 vcc, 0, v41
	v_cndmask_b32_e32 v4, 0, v4, vcc
	v_add_u32_e32 v42, v4, v42
	v_mad_u64_u32 v[4:5], s[0:1], v31, s64, 0
	v_mad_u64_u32 v[6:7], s[0:1], v41, s65, 0
	v_xor_b32_e32 v5, v5, v13
	v_xor_b32_e32 v7, v7, v12
	v_xor_b32_e32 v5, v42, v5
	v_xor_b32_e32 v7, v32, v7
	v_mad_u64_u32 v[10:11], s[0:1], v5, s65, 0
	v_mad_u64_u32 v[8:9], s[0:1], v7, s64, 0
	v_xor_b32_e32 v5, v30, v11
	v_xor_b32_e32 v5, v5, v6
	v_xor_b32_e32 v6, v33, v9
	v_xor_b32_e32 v6, v6, v4
	;; [unrolled: 6-line block ×10, first 2 shown]
	v_mov_b32_e32 v5, v10
	v_mov_b32_e32 v6, v11
	v_cmp_lt_i32_e32 vcc, 1, v20
	s_and_saveexec_b64 s[0:1], vcc
	s_xor_b64 s[0:1], exec, s[0:1]
	s_cbranch_execz .LBB41_15
; %bb.10:                               ;   in Loop: Header=BB41_9 Depth=1
	v_cmp_lt_i32_e32 vcc, 2, v20
	s_and_saveexec_b64 s[2:3], vcc
	s_xor_b64 s[2:3], exec, s[2:3]
; %bb.11:                               ;   in Loop: Header=BB41_9 Depth=1
	v_mov_b32_e32 v8, v3
	v_mov_b32_e32 v9, v4
	v_pk_mov_b32 v[0:1], v[8:9], v[8:9] op_sel:[0,1]
	v_pk_mov_b32 v[2:3], v[10:11], v[10:11] op_sel:[0,1]
                                        ; implicit-def: $vgpr10_vgpr11
; %bb.12:                               ;   in Loop: Header=BB41_9 Depth=1
	s_andn2_saveexec_b64 s[2:3], s[2:3]
; %bb.13:                               ;   in Loop: Header=BB41_9 Depth=1
	v_mov_b32_e32 v0, v2
	v_mov_b32_e32 v1, v3
	;; [unrolled: 1-line block ×4, first 2 shown]
; %bb.14:                               ;   in Loop: Header=BB41_9 Depth=1
	s_or_b64 exec, exec, s[2:3]
.LBB41_15:                              ;   in Loop: Header=BB41_9 Depth=1
	s_andn2_saveexec_b64 s[0:1], s[0:1]
	s_cbranch_execz .LBB41_19
; %bb.16:                               ;   in Loop: Header=BB41_9 Depth=1
	v_cmp_eq_u32_e32 vcc, 1, v20
	s_and_saveexec_b64 s[2:3], vcc
; %bb.17:                               ;   in Loop: Header=BB41_9 Depth=1
	v_mov_b32_e32 v0, v1
	v_mov_b32_e32 v1, v2
	v_mov_b32_e32 v2, v3
	v_mov_b32_e32 v3, v4
; %bb.18:                               ;   in Loop: Header=BB41_9 Depth=1
	s_or_b64 exec, exec, s[2:3]
.LBB41_19:                              ;   in Loop: Header=BB41_9 Depth=1
	s_or_b64 exec, exec, s[0:1]
	v_cndmask_b32_e64 v7, 0, 1, s[40:41]
	v_cmp_gt_i64_e32 vcc, s[24:25], v[16:17]
	v_cmp_ne_u32_e64 s[0:1], 1, v7
	s_and_saveexec_b64 s[58:59], vcc
	s_cbranch_execz .LBB41_39
; %bb.20:                               ;   in Loop: Header=BB41_9 Depth=1
	s_and_b64 vcc, exec, s[0:1]
	s_cbranch_vccnz .LBB41_26
; %bb.21:                               ;   in Loop: Header=BB41_9 Depth=1
	s_andn2_b64 vcc, exec, s[42:43]
	s_cbranch_vccnz .LBB41_27
; %bb.22:                               ;   in Loop: Header=BB41_9 Depth=1
	s_mov_b32 s4, 0
	s_andn2_b64 vcc, exec, s[52:53]
	v_mov_b32_e32 v8, 0
	s_cbranch_vccnz .LBB41_28
; %bb.23:                               ;   in Loop: Header=BB41_9 Depth=1
	s_waitcnt lgkmcnt(0)
	s_mov_b32 s49, 0
	v_mov_b32_e32 v8, 0
	s_mov_b64 s[2:3], s[34:35]
	s_mov_b64 s[60:61], s[44:45]
	v_mov_b32_e32 v7, v16
.LBB41_24:                              ;   Parent Loop BB41_9 Depth=1
                                        ; =>  This Inner Loop Header: Depth=2
	s_load_dwordx8 s[16:23], s[2:3], 0x4
	s_load_dwordx4 s[4:7], s[2:3], 0x24
	s_load_dwordx4 s[36:39], s[60:61], 0x0
	s_add_u32 s2, s2, 48
	s_addc_u32 s3, s3, 0
	s_waitcnt lgkmcnt(0)
	v_mul_hi_u32 v9, s17, v7
	v_add_u32_e32 v9, v7, v9
	v_lshrrev_b32_e32 v9, s18, v9
	v_mul_lo_u32 v10, v9, s16
	v_mul_hi_u32 v11, s20, v9
	v_sub_u32_e32 v7, v7, v10
	v_add_u32_e32 v10, v9, v11
	v_lshrrev_b32_e32 v10, s21, v10
	v_mul_lo_u32 v11, v10, s19
	v_mul_hi_u32 v15, s23, v10
	v_sub_u32_e32 v9, v9, v11
	v_add_u32_e32 v11, v10, v15
	v_mul_lo_u32 v7, v7, s36
	v_mul_lo_u32 v9, v9, s37
	v_lshrrev_b32_e32 v11, s4, v11
	v_add3_u32 v8, v7, v8, v9
	v_mul_lo_u32 v7, v11, s22
	v_mul_hi_u32 v9, s6, v11
	v_sub_u32_e32 v7, v10, v7
	v_add_u32_e32 v9, v11, v9
	v_mul_lo_u32 v10, v7, s38
	v_lshrrev_b32_e32 v7, s7, v9
	s_add_i32 s49, s49, 4
	v_mul_lo_u32 v9, v7, s5
	s_add_u32 s60, s60, 16
	v_sub_u32_e32 v9, v11, v9
	s_addc_u32 s61, s61, 0
	v_mul_lo_u32 v9, v9, s39
	s_cmp_lg_u32 s15, s49
	v_add3_u32 v8, v10, v8, v9
	s_cbranch_scc1 .LBB41_24
; %bb.25:                               ;   in Loop: Header=BB41_9 Depth=1
	s_mov_b32 s4, s15
	s_andn2_b64 vcc, exec, s[56:57]
	s_cbranch_vccz .LBB41_29
	s_branch .LBB41_31
.LBB41_26:                              ;   in Loop: Header=BB41_9 Depth=1
                                        ; implicit-def: $vgpr8
	s_branch .LBB41_32
.LBB41_27:                              ;   in Loop: Header=BB41_9 Depth=1
	v_mov_b32_e32 v8, 0
	s_branch .LBB41_31
.LBB41_28:                              ;   in Loop: Header=BB41_9 Depth=1
	v_mov_b32_e32 v7, v16
	s_andn2_b64 vcc, exec, s[56:57]
	s_cbranch_vccnz .LBB41_31
.LBB41_29:                              ;   in Loop: Header=BB41_9 Depth=1
	s_lshl_b32 s2, s4, 2
	s_add_u32 s2, s44, s2
	s_addc_u32 s3, s45, 0
	s_mul_i32 s4, s4, 12
	s_add_u32 s4, s34, s4
	s_addc_u32 s5, s35, 0
	s_mov_b32 s6, s13
.LBB41_30:                              ;   Parent Loop BB41_9 Depth=1
                                        ; =>  This Inner Loop Header: Depth=2
	s_load_dwordx2 s[16:17], s[4:5], 0x4
	s_load_dword s7, s[4:5], 0xc
	s_load_dword s18, s[2:3], 0x0
	s_add_u32 s4, s4, 12
	s_addc_u32 s5, s5, 0
	s_waitcnt lgkmcnt(0)
	v_mul_hi_u32 v9, s17, v7
	v_add_u32_e32 v9, v7, v9
	v_lshrrev_b32_e32 v9, s7, v9
	s_add_u32 s2, s2, 4
	v_mul_lo_u32 v10, v9, s16
	s_addc_u32 s3, s3, 0
	s_add_i32 s6, s6, -1
	v_sub_u32_e32 v10, v7, v10
	s_cmp_lg_u32 s6, 0
	v_mov_b32_e32 v7, v9
	v_mad_u64_u32 v[8:9], s[16:17], v10, s18, v[8:9]
	s_cbranch_scc1 .LBB41_30
.LBB41_31:                              ;   in Loop: Header=BB41_9 Depth=1
	s_cbranch_execnz .LBB41_34
.LBB41_32:                              ;   in Loop: Header=BB41_9 Depth=1
	v_mul_hi_u32 v7, v16, s10
	v_add_u32_e32 v7, v7, v16
	v_lshrrev_b32_e32 v7, s11, v7
	v_mul_lo_u32 v8, v7, s9
	v_sub_u32_e32 v8, v16, v8
	s_andn2_b64 vcc, exec, s[46:47]
	s_waitcnt lgkmcnt(0)
	v_mul_lo_u32 v8, v8, s50
	s_cbranch_vccnz .LBB41_34
; %bb.33:                               ;   in Loop: Header=BB41_9 Depth=1
	v_mul_hi_u32 v9, s8, v7
	v_add_u32_e32 v9, v7, v9
	v_lshrrev_b32_e32 v9, s14, v9
	v_mul_lo_u32 v9, v9, s12
	v_sub_u32_e32 v7, v7, v9
	v_mad_u64_u32 v[8:9], s[2:3], v7, s51, v[8:9]
.LBB41_34:                              ;   in Loop: Header=BB41_9 Depth=1
	s_waitcnt lgkmcnt(0)
	v_or_b32_e32 v15, s31, v0
	v_cmp_ne_u64_e32 vcc, 0, v[14:15]
                                        ; implicit-def: $vgpr10_vgpr11
	s_and_saveexec_b64 s[2:3], vcc
	s_xor_b64 s[4:5], exec, s[2:3]
	s_cbranch_execz .LBB41_36
; %bb.35:                               ;   in Loop: Header=BB41_9 Depth=1
	v_cvt_f32_u32_e32 v7, s30
	v_cvt_f32_u32_e32 v9, s31
	s_sub_u32 s2, 0, s30
	s_subb_u32 s3, 0, s31
	v_mac_f32_e32 v7, 0x4f800000, v9
	v_rcp_f32_e32 v7, v7
	v_mul_f32_e32 v7, 0x5f7ffffc, v7
	v_mul_f32_e32 v9, 0x2f800000, v7
	v_trunc_f32_e32 v9, v9
	v_mac_f32_e32 v7, 0xcf800000, v9
	v_cvt_u32_f32_e32 v9, v9
	v_cvt_u32_f32_e32 v7, v7
	v_mul_lo_u32 v10, s2, v9
	v_mul_hi_u32 v15, s2, v7
	v_mul_lo_u32 v11, s3, v7
	v_add_u32_e32 v10, v15, v10
	v_mul_lo_u32 v19, s2, v7
	v_add_u32_e32 v10, v10, v11
	v_mul_hi_u32 v15, v7, v19
	v_mul_lo_u32 v43, v7, v10
	v_mul_hi_u32 v11, v7, v10
	v_add_co_u32_e32 v15, vcc, v15, v43
	v_addc_co_u32_e32 v11, vcc, 0, v11, vcc
	v_mul_hi_u32 v44, v9, v19
	v_mul_lo_u32 v19, v9, v19
	v_add_co_u32_e32 v15, vcc, v15, v19
	v_mul_hi_u32 v43, v9, v10
	v_addc_co_u32_e32 v11, vcc, v11, v44, vcc
	v_addc_co_u32_e32 v15, vcc, 0, v43, vcc
	v_mul_lo_u32 v10, v9, v10
	v_add_co_u32_e32 v10, vcc, v11, v10
	v_addc_co_u32_e32 v11, vcc, 0, v15, vcc
	v_add_co_u32_e32 v7, vcc, v7, v10
	v_addc_co_u32_e32 v9, vcc, v9, v11, vcc
	v_mul_lo_u32 v10, s2, v9
	v_mul_hi_u32 v11, s2, v7
	v_add_u32_e32 v10, v11, v10
	v_mul_lo_u32 v11, s3, v7
	v_add_u32_e32 v10, v10, v11
	v_mul_lo_u32 v15, s2, v7
	v_mul_hi_u32 v19, v9, v15
	v_mul_lo_u32 v43, v9, v15
	v_mul_lo_u32 v45, v7, v10
	v_mul_hi_u32 v15, v7, v15
	v_mul_hi_u32 v44, v7, v10
	v_add_co_u32_e32 v15, vcc, v15, v45
	v_addc_co_u32_e32 v44, vcc, 0, v44, vcc
	v_add_co_u32_e32 v15, vcc, v15, v43
	v_mul_hi_u32 v11, v9, v10
	v_addc_co_u32_e32 v15, vcc, v44, v19, vcc
	v_addc_co_u32_e32 v11, vcc, 0, v11, vcc
	v_mul_lo_u32 v10, v9, v10
	v_add_co_u32_e32 v10, vcc, v15, v10
	v_addc_co_u32_e32 v11, vcc, 0, v11, vcc
	v_add_co_u32_e32 v7, vcc, v7, v10
	v_addc_co_u32_e32 v9, vcc, v9, v11, vcc
	v_mad_u64_u32 v[10:11], s[2:3], v1, v9, 0
	v_mul_hi_u32 v15, v1, v7
	v_add_co_u32_e32 v15, vcc, v15, v10
	v_addc_co_u32_e32 v19, vcc, 0, v11, vcc
	v_mad_u64_u32 v[44:45], s[2:3], v0, v7, 0
	v_add_co_u32_e32 v7, vcc, v15, v44
	v_mad_u64_u32 v[10:11], s[2:3], v0, v9, 0
	v_addc_co_u32_e32 v7, vcc, v19, v45, vcc
	v_addc_co_u32_e32 v9, vcc, 0, v11, vcc
	v_add_co_u32_e32 v7, vcc, v7, v10
	v_addc_co_u32_e32 v9, vcc, 0, v9, vcc
	v_mul_lo_u32 v15, s31, v7
	v_mul_lo_u32 v9, s30, v9
	v_mad_u64_u32 v[10:11], s[2:3], s30, v7, 0
	v_add3_u32 v7, v11, v9, v15
	v_sub_u32_e32 v9, v0, v7
	v_mov_b32_e32 v11, s31
	v_sub_co_u32_e32 v10, vcc, v1, v10
	v_subb_co_u32_e64 v9, s[2:3], v9, v11, vcc
	v_subrev_co_u32_e64 v11, s[2:3], s30, v10
	v_subbrev_co_u32_e64 v9, s[2:3], 0, v9, s[2:3]
	v_cmp_le_u32_e64 s[2:3], s31, v9
	v_subb_co_u32_e32 v0, vcc, v0, v7, vcc
	v_cndmask_b32_e64 v15, 0, -1, s[2:3]
	v_cmp_le_u32_e64 s[2:3], s30, v11
	v_cmp_le_u32_e32 vcc, s31, v0
	v_cndmask_b32_e64 v19, 0, -1, s[2:3]
	v_cmp_eq_u32_e64 s[2:3], s31, v9
	v_cndmask_b32_e64 v7, 0, -1, vcc
	v_cmp_le_u32_e32 vcc, s30, v10
	v_cndmask_b32_e64 v9, v15, v19, s[2:3]
	v_cndmask_b32_e64 v19, 0, -1, vcc
	v_cmp_eq_u32_e32 vcc, s31, v0
	v_subrev_co_u32_e64 v15, s[2:3], s30, v11
	v_cndmask_b32_e32 v0, v7, v19, vcc
	v_cmp_ne_u32_e32 vcc, 0, v9
	v_cndmask_b32_e32 v7, v11, v15, vcc
	v_cmp_ne_u32_e32 vcc, 0, v0
	v_cndmask_b32_e32 v10, v10, v7, vcc
.LBB41_36:                              ;   in Loop: Header=BB41_9 Depth=1
	s_andn2_saveexec_b64 s[2:3], s[4:5]
	s_cbranch_execz .LBB41_38
; %bb.37:                               ;   in Loop: Header=BB41_9 Depth=1
	v_cvt_f32_u32_e32 v0, s30
	s_sub_i32 s4, 0, s30
	v_rcp_iflag_f32_e32 v0, v0
	v_mul_f32_e32 v0, 0x4f7ffffe, v0
	v_cvt_u32_f32_e32 v0, v0
	v_mul_lo_u32 v7, s4, v0
	v_mul_hi_u32 v7, v0, v7
	v_add_u32_e32 v0, v0, v7
	v_mul_hi_u32 v0, v1, v0
	v_mul_lo_u32 v0, v0, s30
	v_sub_u32_e32 v0, v1, v0
	v_subrev_u32_e32 v1, s30, v0
	v_cmp_le_u32_e32 vcc, s30, v0
	v_cndmask_b32_e32 v0, v0, v1, vcc
	v_subrev_u32_e32 v1, s30, v0
	v_cmp_le_u32_e32 vcc, s30, v0
	v_cndmask_b32_e32 v10, v0, v1, vcc
.LBB41_38:                              ;   in Loop: Header=BB41_9 Depth=1
	s_or_b64 exec, exec, s[2:3]
	v_add_u32_e32 v0, s48, v10
	global_store_short v8, v0, s[28:29]
.LBB41_39:                              ;   in Loop: Header=BB41_9 Depth=1
	s_or_b64 exec, exec, s[58:59]
	v_mov_b32_e32 v1, s63
	v_add_co_u32_e32 v0, vcc, s33, v16
	v_addc_co_u32_e32 v1, vcc, v17, v1, vcc
	v_cmp_gt_i64_e32 vcc, s[24:25], v[0:1]
	s_and_saveexec_b64 s[36:37], vcc
	s_cbranch_execz .LBB41_8
; %bb.40:                               ;   in Loop: Header=BB41_9 Depth=1
	s_and_b64 vcc, exec, s[0:1]
	s_cbranch_vccnz .LBB41_46
; %bb.41:                               ;   in Loop: Header=BB41_9 Depth=1
	s_andn2_b64 vcc, exec, s[42:43]
	s_cbranch_vccnz .LBB41_47
; %bb.42:                               ;   in Loop: Header=BB41_9 Depth=1
	s_mov_b32 s2, 0
	s_andn2_b64 vcc, exec, s[52:53]
	v_mov_b32_e32 v8, 0
	s_cbranch_vccnz .LBB41_48
; %bb.43:                               ;   in Loop: Header=BB41_9 Depth=1
	s_waitcnt lgkmcnt(0)
	s_mov_b32 s49, 0
	v_mov_b32_e32 v8, 0
	s_mov_b64 s[38:39], s[34:35]
	s_mov_b64 s[58:59], s[44:45]
	v_mov_b32_e32 v1, v0
.LBB41_44:                              ;   Parent Loop BB41_9 Depth=1
                                        ; =>  This Inner Loop Header: Depth=2
	s_load_dwordx8 s[0:7], s[38:39], 0x4
	s_load_dwordx4 s[16:19], s[38:39], 0x24
	s_load_dwordx4 s[20:23], s[58:59], 0x0
	s_add_u32 s38, s38, 48
	s_addc_u32 s39, s39, 0
	s_waitcnt lgkmcnt(0)
	v_mul_hi_u32 v7, s1, v1
	v_add_u32_e32 v7, v1, v7
	v_lshrrev_b32_e32 v7, s2, v7
	v_mul_lo_u32 v9, v7, s0
	v_mul_hi_u32 v10, s4, v7
	v_sub_u32_e32 v1, v1, v9
	v_add_u32_e32 v9, v7, v10
	v_lshrrev_b32_e32 v9, s5, v9
	v_mul_lo_u32 v10, v9, s3
	v_mul_hi_u32 v11, s7, v9
	v_sub_u32_e32 v7, v7, v10
	v_add_u32_e32 v10, v9, v11
	v_mul_lo_u32 v1, v1, s20
	v_mul_lo_u32 v7, v7, s21
	v_lshrrev_b32_e32 v10, s16, v10
	v_add3_u32 v7, v1, v8, v7
	v_mul_lo_u32 v1, v10, s6
	v_mul_hi_u32 v8, s18, v10
	v_sub_u32_e32 v1, v9, v1
	v_add_u32_e32 v8, v10, v8
	v_mul_lo_u32 v9, v1, s22
	v_lshrrev_b32_e32 v1, s19, v8
	s_add_i32 s49, s49, 4
	v_mul_lo_u32 v8, v1, s17
	s_add_u32 s58, s58, 16
	v_sub_u32_e32 v8, v10, v8
	s_addc_u32 s59, s59, 0
	v_mul_lo_u32 v8, v8, s23
	s_cmp_eq_u32 s15, s49
	v_add3_u32 v8, v9, v7, v8
	s_cbranch_scc0 .LBB41_44
; %bb.45:                               ;   in Loop: Header=BB41_9 Depth=1
	s_mov_b32 s2, s15
	s_andn2_b64 vcc, exec, s[56:57]
	s_cbranch_vccz .LBB41_49
	s_branch .LBB41_51
.LBB41_46:                              ;   in Loop: Header=BB41_9 Depth=1
                                        ; implicit-def: $vgpr8
	s_branch .LBB41_52
.LBB41_47:                              ;   in Loop: Header=BB41_9 Depth=1
	v_mov_b32_e32 v8, 0
	s_branch .LBB41_51
.LBB41_48:                              ;   in Loop: Header=BB41_9 Depth=1
	v_mov_b32_e32 v1, v0
	s_andn2_b64 vcc, exec, s[56:57]
	s_cbranch_vccnz .LBB41_51
.LBB41_49:                              ;   in Loop: Header=BB41_9 Depth=1
	s_lshl_b32 s0, s2, 2
	s_add_u32 s0, s44, s0
	s_addc_u32 s1, s45, 0
	s_mul_i32 s2, s2, 12
	s_add_u32 s2, s34, s2
	s_addc_u32 s3, s35, 0
	s_mov_b32 s4, s13
.LBB41_50:                              ;   Parent Loop BB41_9 Depth=1
                                        ; =>  This Inner Loop Header: Depth=2
	s_load_dwordx2 s[6:7], s[2:3], 0x4
	s_load_dword s5, s[2:3], 0xc
	s_load_dword s16, s[0:1], 0x0
	s_add_u32 s2, s2, 12
	s_addc_u32 s3, s3, 0
	s_waitcnt lgkmcnt(0)
	v_mul_hi_u32 v7, s7, v1
	v_add_u32_e32 v7, v1, v7
	v_lshrrev_b32_e32 v7, s5, v7
	s_add_u32 s0, s0, 4
	v_mul_lo_u32 v9, v7, s6
	s_addc_u32 s1, s1, 0
	s_add_i32 s4, s4, -1
	v_sub_u32_e32 v9, v1, v9
	s_cmp_lg_u32 s4, 0
	v_mov_b32_e32 v1, v7
	v_mad_u64_u32 v[8:9], s[6:7], v9, s16, v[8:9]
	s_cbranch_scc1 .LBB41_50
.LBB41_51:                              ;   in Loop: Header=BB41_9 Depth=1
	s_cbranch_execnz .LBB41_54
.LBB41_52:                              ;   in Loop: Header=BB41_9 Depth=1
	v_mul_hi_u32 v1, v0, s10
	v_add_u32_e32 v1, v1, v0
	v_lshrrev_b32_e32 v1, s11, v1
	v_mul_lo_u32 v7, v1, s9
	v_sub_u32_e32 v0, v0, v7
	s_andn2_b64 vcc, exec, s[46:47]
	s_waitcnt lgkmcnt(0)
	v_mul_lo_u32 v8, v0, s50
	s_cbranch_vccnz .LBB41_54
; %bb.53:                               ;   in Loop: Header=BB41_9 Depth=1
	v_mul_hi_u32 v0, s8, v1
	v_add_u32_e32 v0, v1, v0
	v_lshrrev_b32_e32 v0, s14, v0
	v_mul_lo_u32 v0, v0, s12
	v_sub_u32_e32 v0, v1, v0
	v_mad_u64_u32 v[8:9], s[0:1], v0, s51, v[8:9]
.LBB41_54:                              ;   in Loop: Header=BB41_9 Depth=1
	s_waitcnt lgkmcnt(0)
	v_or_b32_e32 v15, s31, v2
	v_cmp_ne_u64_e32 vcc, 0, v[14:15]
                                        ; implicit-def: $vgpr10_vgpr11
	s_and_saveexec_b64 s[0:1], vcc
	s_xor_b64 s[2:3], exec, s[0:1]
	s_cbranch_execz .LBB41_56
; %bb.55:                               ;   in Loop: Header=BB41_9 Depth=1
	v_cvt_f32_u32_e32 v0, s30
	v_cvt_f32_u32_e32 v1, s31
	s_sub_u32 s0, 0, s30
	s_subb_u32 s1, 0, s31
	v_mac_f32_e32 v0, 0x4f800000, v1
	v_rcp_f32_e32 v0, v0
	v_mul_f32_e32 v0, 0x5f7ffffc, v0
	v_mul_f32_e32 v1, 0x2f800000, v0
	v_trunc_f32_e32 v1, v1
	v_mac_f32_e32 v0, 0xcf800000, v1
	v_cvt_u32_f32_e32 v1, v1
	v_cvt_u32_f32_e32 v0, v0
	v_mul_lo_u32 v7, s0, v1
	v_mul_hi_u32 v10, s0, v0
	v_mul_lo_u32 v9, s1, v0
	v_add_u32_e32 v7, v10, v7
	v_mul_lo_u32 v11, s0, v0
	v_add_u32_e32 v7, v7, v9
	v_mul_hi_u32 v10, v0, v11
	v_mul_lo_u32 v15, v0, v7
	v_mul_hi_u32 v9, v0, v7
	v_add_co_u32_e32 v10, vcc, v10, v15
	v_addc_co_u32_e32 v9, vcc, 0, v9, vcc
	v_mul_hi_u32 v19, v1, v11
	v_mul_lo_u32 v11, v1, v11
	v_add_co_u32_e32 v10, vcc, v10, v11
	v_mul_hi_u32 v15, v1, v7
	v_addc_co_u32_e32 v9, vcc, v9, v19, vcc
	v_addc_co_u32_e32 v10, vcc, 0, v15, vcc
	v_mul_lo_u32 v7, v1, v7
	v_add_co_u32_e32 v7, vcc, v9, v7
	v_addc_co_u32_e32 v9, vcc, 0, v10, vcc
	v_add_co_u32_e32 v0, vcc, v0, v7
	v_addc_co_u32_e32 v1, vcc, v1, v9, vcc
	v_mul_lo_u32 v7, s0, v1
	v_mul_hi_u32 v9, s0, v0
	v_add_u32_e32 v7, v9, v7
	v_mul_lo_u32 v9, s1, v0
	v_add_u32_e32 v7, v7, v9
	v_mul_lo_u32 v10, s0, v0
	v_mul_hi_u32 v11, v1, v10
	v_mul_lo_u32 v15, v1, v10
	v_mul_lo_u32 v43, v0, v7
	v_mul_hi_u32 v10, v0, v10
	v_mul_hi_u32 v19, v0, v7
	v_add_co_u32_e32 v10, vcc, v10, v43
	v_addc_co_u32_e32 v19, vcc, 0, v19, vcc
	v_add_co_u32_e32 v10, vcc, v10, v15
	v_mul_hi_u32 v9, v1, v7
	v_addc_co_u32_e32 v10, vcc, v19, v11, vcc
	v_addc_co_u32_e32 v9, vcc, 0, v9, vcc
	v_mul_lo_u32 v7, v1, v7
	v_add_co_u32_e32 v7, vcc, v10, v7
	v_addc_co_u32_e32 v9, vcc, 0, v9, vcc
	v_add_co_u32_e32 v7, vcc, v0, v7
	v_addc_co_u32_e32 v9, vcc, v1, v9, vcc
	v_mad_u64_u32 v[0:1], s[0:1], v3, v9, 0
	v_mul_hi_u32 v10, v3, v7
	v_add_co_u32_e32 v15, vcc, v10, v0
	v_addc_co_u32_e32 v19, vcc, 0, v1, vcc
	v_mad_u64_u32 v[10:11], s[0:1], v2, v7, 0
	v_add_co_u32_e32 v7, vcc, v15, v10
	v_mad_u64_u32 v[0:1], s[0:1], v2, v9, 0
	v_addc_co_u32_e32 v7, vcc, v19, v11, vcc
	v_addc_co_u32_e32 v1, vcc, 0, v1, vcc
	v_add_co_u32_e32 v0, vcc, v7, v0
	v_addc_co_u32_e32 v1, vcc, 0, v1, vcc
	v_mul_lo_u32 v7, s31, v0
	v_mul_lo_u32 v9, s30, v1
	v_mad_u64_u32 v[0:1], s[0:1], s30, v0, 0
	v_add3_u32 v1, v1, v9, v7
	v_sub_u32_e32 v7, v2, v1
	v_mov_b32_e32 v9, s31
	v_sub_co_u32_e32 v0, vcc, v3, v0
	v_subb_co_u32_e64 v3, s[0:1], v7, v9, vcc
	v_subrev_co_u32_e64 v7, s[0:1], s30, v0
	v_subbrev_co_u32_e64 v3, s[0:1], 0, v3, s[0:1]
	v_cmp_le_u32_e64 s[0:1], s31, v3
	v_subb_co_u32_e32 v1, vcc, v2, v1, vcc
	v_cndmask_b32_e64 v9, 0, -1, s[0:1]
	v_cmp_le_u32_e64 s[0:1], s30, v7
	v_cmp_le_u32_e32 vcc, s31, v1
	v_cndmask_b32_e64 v10, 0, -1, s[0:1]
	v_cmp_eq_u32_e64 s[0:1], s31, v3
	v_cndmask_b32_e64 v2, 0, -1, vcc
	v_cmp_le_u32_e32 vcc, s30, v0
	v_cndmask_b32_e64 v3, v9, v10, s[0:1]
	v_cndmask_b32_e64 v10, 0, -1, vcc
	v_cmp_eq_u32_e32 vcc, s31, v1
	v_subrev_co_u32_e64 v9, s[0:1], s30, v7
	v_cndmask_b32_e32 v1, v2, v10, vcc
	v_cmp_ne_u32_e32 vcc, 0, v3
	v_cndmask_b32_e32 v2, v7, v9, vcc
	v_cmp_ne_u32_e32 vcc, 0, v1
	v_cndmask_b32_e32 v10, v0, v2, vcc
                                        ; implicit-def: $vgpr0_vgpr1_vgpr2_vgpr3
.LBB41_56:                              ;   in Loop: Header=BB41_9 Depth=1
	s_andn2_saveexec_b64 s[0:1], s[2:3]
	s_cbranch_execz .LBB41_7
; %bb.57:                               ;   in Loop: Header=BB41_9 Depth=1
	v_cvt_f32_u32_e32 v0, s30
	s_sub_i32 s2, 0, s30
	v_rcp_iflag_f32_e32 v0, v0
	v_mul_f32_e32 v0, 0x4f7ffffe, v0
	v_cvt_u32_f32_e32 v0, v0
	v_mul_lo_u32 v1, s2, v0
	v_mul_hi_u32 v1, v0, v1
	v_add_u32_e32 v0, v0, v1
	v_mul_hi_u32 v0, v3, v0
	v_mul_lo_u32 v0, v0, s30
	v_sub_u32_e32 v0, v3, v0
	v_subrev_u32_e32 v1, s30, v0
	v_cmp_le_u32_e32 vcc, s30, v0
	v_cndmask_b32_e32 v0, v0, v1, vcc
	v_subrev_u32_e32 v1, s30, v0
	v_cmp_le_u32_e32 vcc, s30, v0
	v_cndmask_b32_e32 v10, v0, v1, vcc
	s_branch .LBB41_7
.LBB41_58:
	s_endpgm
.LBB41_59:
                                        ; implicit-def: $sgpr2_sgpr3
	s_andn2_b64 vcc, exec, s[0:1]
	s_cbranch_vccz .LBB41_4
	s_branch .LBB41_5
	.section	.rodata,"a",@progbits
	.p2align	6, 0x0
	.amdhsa_kernel _ZN2at6native12_GLOBAL__N_143distribution_elementwise_grid_stride_kernelImLi2EZZZNS0_9templates4cuda21random_from_to_kernelIPNS_17CUDAGeneratorImplEEEvRNS_18TensorIteratorBaseEmlT_ENKUlvE_clEvENKUlvE9_clEvEUlP25hiprandStatePhilox4_32_10E_ZNS1_27distribution_nullary_kernelItm15HIP_vector_typeIyLj2EES7_SF_ZZZNS5_IS7_EEvS9_mlSA_ENKSB_clEvENKSC_clEvEUlmE_EEvS9_T2_RKT3_T4_EUlimE0_EEvlNS_15PhiloxCudaStateET1_SK_
		.amdhsa_group_segment_fixed_size 0
		.amdhsa_private_segment_fixed_size 0
		.amdhsa_kernarg_size 592
		.amdhsa_user_sgpr_count 6
		.amdhsa_user_sgpr_private_segment_buffer 1
		.amdhsa_user_sgpr_dispatch_ptr 0
		.amdhsa_user_sgpr_queue_ptr 0
		.amdhsa_user_sgpr_kernarg_segment_ptr 1
		.amdhsa_user_sgpr_dispatch_id 0
		.amdhsa_user_sgpr_flat_scratch_init 0
		.amdhsa_user_sgpr_kernarg_preload_length 0
		.amdhsa_user_sgpr_kernarg_preload_offset 0
		.amdhsa_user_sgpr_private_segment_size 0
		.amdhsa_uses_dynamic_stack 0
		.amdhsa_system_sgpr_private_segment_wavefront_offset 0
		.amdhsa_system_sgpr_workgroup_id_x 1
		.amdhsa_system_sgpr_workgroup_id_y 0
		.amdhsa_system_sgpr_workgroup_id_z 0
		.amdhsa_system_sgpr_workgroup_info 0
		.amdhsa_system_vgpr_workitem_id 0
		.amdhsa_next_free_vgpr 46
		.amdhsa_next_free_sgpr 66
		.amdhsa_accum_offset 48
		.amdhsa_reserve_vcc 1
		.amdhsa_reserve_flat_scratch 0
		.amdhsa_float_round_mode_32 0
		.amdhsa_float_round_mode_16_64 0
		.amdhsa_float_denorm_mode_32 3
		.amdhsa_float_denorm_mode_16_64 3
		.amdhsa_dx10_clamp 1
		.amdhsa_ieee_mode 1
		.amdhsa_fp16_overflow 0
		.amdhsa_tg_split 0
		.amdhsa_exception_fp_ieee_invalid_op 0
		.amdhsa_exception_fp_denorm_src 0
		.amdhsa_exception_fp_ieee_div_zero 0
		.amdhsa_exception_fp_ieee_overflow 0
		.amdhsa_exception_fp_ieee_underflow 0
		.amdhsa_exception_fp_ieee_inexact 0
		.amdhsa_exception_int_div_zero 0
	.end_amdhsa_kernel
	.section	.text._ZN2at6native12_GLOBAL__N_143distribution_elementwise_grid_stride_kernelImLi2EZZZNS0_9templates4cuda21random_from_to_kernelIPNS_17CUDAGeneratorImplEEEvRNS_18TensorIteratorBaseEmlT_ENKUlvE_clEvENKUlvE9_clEvEUlP25hiprandStatePhilox4_32_10E_ZNS1_27distribution_nullary_kernelItm15HIP_vector_typeIyLj2EES7_SF_ZZZNS5_IS7_EEvS9_mlSA_ENKSB_clEvENKSC_clEvEUlmE_EEvS9_T2_RKT3_T4_EUlimE0_EEvlNS_15PhiloxCudaStateET1_SK_,"axG",@progbits,_ZN2at6native12_GLOBAL__N_143distribution_elementwise_grid_stride_kernelImLi2EZZZNS0_9templates4cuda21random_from_to_kernelIPNS_17CUDAGeneratorImplEEEvRNS_18TensorIteratorBaseEmlT_ENKUlvE_clEvENKUlvE9_clEvEUlP25hiprandStatePhilox4_32_10E_ZNS1_27distribution_nullary_kernelItm15HIP_vector_typeIyLj2EES7_SF_ZZZNS5_IS7_EEvS9_mlSA_ENKSB_clEvENKSC_clEvEUlmE_EEvS9_T2_RKT3_T4_EUlimE0_EEvlNS_15PhiloxCudaStateET1_SK_,comdat
.Lfunc_end41:
	.size	_ZN2at6native12_GLOBAL__N_143distribution_elementwise_grid_stride_kernelImLi2EZZZNS0_9templates4cuda21random_from_to_kernelIPNS_17CUDAGeneratorImplEEEvRNS_18TensorIteratorBaseEmlT_ENKUlvE_clEvENKUlvE9_clEvEUlP25hiprandStatePhilox4_32_10E_ZNS1_27distribution_nullary_kernelItm15HIP_vector_typeIyLj2EES7_SF_ZZZNS5_IS7_EEvS9_mlSA_ENKSB_clEvENKSC_clEvEUlmE_EEvS9_T2_RKT3_T4_EUlimE0_EEvlNS_15PhiloxCudaStateET1_SK_, .Lfunc_end41-_ZN2at6native12_GLOBAL__N_143distribution_elementwise_grid_stride_kernelImLi2EZZZNS0_9templates4cuda21random_from_to_kernelIPNS_17CUDAGeneratorImplEEEvRNS_18TensorIteratorBaseEmlT_ENKUlvE_clEvENKUlvE9_clEvEUlP25hiprandStatePhilox4_32_10E_ZNS1_27distribution_nullary_kernelItm15HIP_vector_typeIyLj2EES7_SF_ZZZNS5_IS7_EEvS9_mlSA_ENKSB_clEvENKSC_clEvEUlmE_EEvS9_T2_RKT3_T4_EUlimE0_EEvlNS_15PhiloxCudaStateET1_SK_
                                        ; -- End function
	.section	.AMDGPU.csdata,"",@progbits
; Kernel info:
; codeLenInByte = 4592
; NumSgprs: 70
; NumVgprs: 46
; NumAgprs: 0
; TotalNumVgprs: 46
; ScratchSize: 0
; MemoryBound: 0
; FloatMode: 240
; IeeeMode: 1
; LDSByteSize: 0 bytes/workgroup (compile time only)
; SGPRBlocks: 8
; VGPRBlocks: 5
; NumSGPRsForWavesPerEU: 70
; NumVGPRsForWavesPerEU: 46
; AccumOffset: 48
; Occupancy: 8
; WaveLimiterHint : 1
; COMPUTE_PGM_RSRC2:SCRATCH_EN: 0
; COMPUTE_PGM_RSRC2:USER_SGPR: 6
; COMPUTE_PGM_RSRC2:TRAP_HANDLER: 0
; COMPUTE_PGM_RSRC2:TGID_X_EN: 1
; COMPUTE_PGM_RSRC2:TGID_Y_EN: 0
; COMPUTE_PGM_RSRC2:TGID_Z_EN: 0
; COMPUTE_PGM_RSRC2:TIDIG_COMP_CNT: 0
; COMPUTE_PGM_RSRC3_GFX90A:ACCUM_OFFSET: 11
; COMPUTE_PGM_RSRC3_GFX90A:TG_SPLIT: 0
	.section	.text._ZN2at6native12_GLOBAL__N_143distribution_elementwise_grid_stride_kernelIjLi4EZZZNS0_9templates4cuda21random_from_to_kernelIPNS_17CUDAGeneratorImplEEEvRNS_18TensorIteratorBaseEmlT_ENKUlvE_clEvENKUlvE9_clEvEUlP25hiprandStatePhilox4_32_10E0_ZNS1_27distribution_nullary_kernelItj15HIP_vector_typeIjLj4EES7_SF_ZZZNS5_IS7_EEvS9_mlSA_ENKSB_clEvENKSC_clEvEUljE_EEvS9_T2_RKT3_T4_EUlijE_EEvlNS_15PhiloxCudaStateET1_SK_,"axG",@progbits,_ZN2at6native12_GLOBAL__N_143distribution_elementwise_grid_stride_kernelIjLi4EZZZNS0_9templates4cuda21random_from_to_kernelIPNS_17CUDAGeneratorImplEEEvRNS_18TensorIteratorBaseEmlT_ENKUlvE_clEvENKUlvE9_clEvEUlP25hiprandStatePhilox4_32_10E0_ZNS1_27distribution_nullary_kernelItj15HIP_vector_typeIjLj4EES7_SF_ZZZNS5_IS7_EEvS9_mlSA_ENKSB_clEvENKSC_clEvEUljE_EEvS9_T2_RKT3_T4_EUlijE_EEvlNS_15PhiloxCudaStateET1_SK_,comdat
	.globl	_ZN2at6native12_GLOBAL__N_143distribution_elementwise_grid_stride_kernelIjLi4EZZZNS0_9templates4cuda21random_from_to_kernelIPNS_17CUDAGeneratorImplEEEvRNS_18TensorIteratorBaseEmlT_ENKUlvE_clEvENKUlvE9_clEvEUlP25hiprandStatePhilox4_32_10E0_ZNS1_27distribution_nullary_kernelItj15HIP_vector_typeIjLj4EES7_SF_ZZZNS5_IS7_EEvS9_mlSA_ENKSB_clEvENKSC_clEvEUljE_EEvS9_T2_RKT3_T4_EUlijE_EEvlNS_15PhiloxCudaStateET1_SK_ ; -- Begin function _ZN2at6native12_GLOBAL__N_143distribution_elementwise_grid_stride_kernelIjLi4EZZZNS0_9templates4cuda21random_from_to_kernelIPNS_17CUDAGeneratorImplEEEvRNS_18TensorIteratorBaseEmlT_ENKUlvE_clEvENKUlvE9_clEvEUlP25hiprandStatePhilox4_32_10E0_ZNS1_27distribution_nullary_kernelItj15HIP_vector_typeIjLj4EES7_SF_ZZZNS5_IS7_EEvS9_mlSA_ENKSB_clEvENKSC_clEvEUljE_EEvS9_T2_RKT3_T4_EUlijE_EEvlNS_15PhiloxCudaStateET1_SK_
	.p2align	8
	.type	_ZN2at6native12_GLOBAL__N_143distribution_elementwise_grid_stride_kernelIjLi4EZZZNS0_9templates4cuda21random_from_to_kernelIPNS_17CUDAGeneratorImplEEEvRNS_18TensorIteratorBaseEmlT_ENKUlvE_clEvENKUlvE9_clEvEUlP25hiprandStatePhilox4_32_10E0_ZNS1_27distribution_nullary_kernelItj15HIP_vector_typeIjLj4EES7_SF_ZZZNS5_IS7_EEvS9_mlSA_ENKSB_clEvENKSC_clEvEUljE_EEvS9_T2_RKT3_T4_EUlijE_EEvlNS_15PhiloxCudaStateET1_SK_,@function
_ZN2at6native12_GLOBAL__N_143distribution_elementwise_grid_stride_kernelIjLi4EZZZNS0_9templates4cuda21random_from_to_kernelIPNS_17CUDAGeneratorImplEEEvRNS_18TensorIteratorBaseEmlT_ENKUlvE_clEvENKUlvE9_clEvEUlP25hiprandStatePhilox4_32_10E0_ZNS1_27distribution_nullary_kernelItj15HIP_vector_typeIjLj4EES7_SF_ZZZNS5_IS7_EEvS9_mlSA_ENKSB_clEvENKSC_clEvEUljE_EEvS9_T2_RKT3_T4_EUlijE_EEvlNS_15PhiloxCudaStateET1_SK_: ; @_ZN2at6native12_GLOBAL__N_143distribution_elementwise_grid_stride_kernelIjLi4EZZZNS0_9templates4cuda21random_from_to_kernelIPNS_17CUDAGeneratorImplEEEvRNS_18TensorIteratorBaseEmlT_ENKUlvE_clEvENKUlvE9_clEvEUlP25hiprandStatePhilox4_32_10E0_ZNS1_27distribution_nullary_kernelItj15HIP_vector_typeIjLj4EES7_SF_ZZZNS5_IS7_EEvS9_mlSA_ENKSB_clEvENKSC_clEvEUljE_EEvS9_T2_RKT3_T4_EUlijE_EEvlNS_15PhiloxCudaStateET1_SK_
; %bb.0:
	s_load_dword s7, s[4:5], 0x20
	s_load_dwordx2 s[10:11], s[4:5], 0x10
	s_load_dwordx4 s[0:3], s[4:5], 0x0
	s_mov_b32 s8, 0
	s_waitcnt lgkmcnt(0)
	s_bitcmp0_b32 s7, 0
	v_pk_mov_b32 v[2:3], s[10:11], s[10:11] op_sel:[0,1]
	v_pk_mov_b32 v[14:15], s[2:3], s[2:3] op_sel:[0,1]
	s_cbranch_scc1 .LBB42_2
; %bb.1:
	v_pk_mov_b32 v[2:3], s[10:11], s[10:11] op_sel:[0,1]
	flat_load_dwordx2 v[2:3], v[2:3]
	v_pk_mov_b32 v[4:5], s[2:3], s[2:3] op_sel:[0,1]
	flat_load_dwordx2 v[14:15], v[4:5]
	s_load_dwordx2 s[2:3], s[4:5], 0x18
	s_waitcnt lgkmcnt(0)
	v_mov_b32_e32 v1, s3
	s_waitcnt vmcnt(0)
	v_add_co_u32_e32 v2, vcc, s2, v2
	v_addc_co_u32_e32 v3, vcc, v3, v1, vcc
.LBB42_2:
	s_load_dword s2, s[4:5], 0x5c
	s_load_dword s14, s[4:5], 0x50
	s_waitcnt lgkmcnt(0)
	s_and_b32 s7, s2, 0xffff
	s_add_u32 s10, s0, -1
	s_mul_i32 s16, s14, s7
	s_addc_u32 s9, s1, -1
	s_lshl_b32 s17, s16, 2
	s_cmp_lg_u64 s[8:9], 0
	s_mov_b64 s[2:3], -1
	s_cbranch_scc0 .LBB42_35
; %bb.3:
	v_cvt_f32_u32_e32 v1, s17
	v_cvt_f32_ubyte0_e32 v4, 0
	s_sub_u32 s8, 0, s17
	s_subb_u32 s11, 0, 0
	v_madmk_f32 v1, v4, 0x4f800000, v1
	v_rcp_f32_e32 v1, v1
	v_mul_f32_e32 v1, 0x5f7ffffc, v1
	v_mul_f32_e32 v4, 0x2f800000, v1
	v_trunc_f32_e32 v4, v4
	v_madmk_f32 v1, v4, 0xcf800000, v1
	v_cvt_u32_f32_e32 v4, v4
	v_cvt_u32_f32_e32 v1, v1
	v_readfirstlane_b32 s12, v4
	v_readfirstlane_b32 s13, v1
	s_mul_i32 s15, s8, s12
	s_mul_hi_u32 s19, s8, s13
	s_mul_i32 s18, s11, s13
	s_add_i32 s15, s19, s15
	s_add_i32 s15, s15, s18
	s_mul_i32 s20, s8, s13
	s_mul_hi_u32 s18, s13, s15
	s_mul_i32 s19, s13, s15
	s_mul_hi_u32 s13, s13, s20
	s_add_u32 s13, s13, s19
	s_addc_u32 s18, 0, s18
	s_mul_hi_u32 s21, s12, s20
	s_mul_i32 s20, s12, s20
	s_add_u32 s13, s13, s20
	s_mul_hi_u32 s19, s12, s15
	s_addc_u32 s13, s18, s21
	s_addc_u32 s18, s19, 0
	s_mul_i32 s15, s12, s15
	s_add_u32 s13, s13, s15
	s_addc_u32 s15, 0, s18
	v_add_co_u32_e32 v1, vcc, s13, v1
	s_cmp_lg_u64 vcc, 0
	s_addc_u32 s12, s12, s15
	v_readfirstlane_b32 s15, v1
	s_mul_i32 s13, s8, s12
	s_mul_hi_u32 s18, s8, s15
	s_add_i32 s13, s18, s13
	s_mul_i32 s11, s11, s15
	s_add_i32 s13, s13, s11
	s_mul_i32 s8, s8, s15
	s_mul_hi_u32 s18, s12, s8
	s_mul_i32 s19, s12, s8
	s_mul_i32 s21, s15, s13
	s_mul_hi_u32 s8, s15, s8
	s_mul_hi_u32 s20, s15, s13
	s_add_u32 s8, s8, s21
	s_addc_u32 s15, 0, s20
	s_add_u32 s8, s8, s19
	s_mul_hi_u32 s11, s12, s13
	s_addc_u32 s8, s15, s18
	s_addc_u32 s11, s11, 0
	s_mul_i32 s13, s12, s13
	s_add_u32 s8, s8, s13
	s_addc_u32 s11, 0, s11
	v_add_co_u32_e32 v1, vcc, s8, v1
	s_cmp_lg_u64 vcc, 0
	s_addc_u32 s11, s12, s11
	s_ashr_i32 s12, s9, 31
	s_add_u32 s8, s10, s12
	s_mov_b32 s13, s12
	s_addc_u32 s9, s9, s12
	s_xor_b64 s[8:9], s[8:9], s[12:13]
	v_readfirstlane_b32 s19, v1
	s_mul_i32 s18, s8, s11
	s_mul_hi_u32 s20, s8, s19
	s_mul_hi_u32 s15, s8, s11
	s_add_u32 s18, s20, s18
	s_addc_u32 s15, 0, s15
	s_mul_hi_u32 s21, s9, s19
	s_mul_i32 s19, s9, s19
	s_add_u32 s18, s18, s19
	s_mul_hi_u32 s20, s9, s11
	s_addc_u32 s15, s15, s21
	s_addc_u32 s18, s20, 0
	s_mul_i32 s11, s9, s11
	s_add_u32 s11, s15, s11
	s_addc_u32 s15, 0, s18
	s_add_u32 s18, s11, 1
	s_addc_u32 s19, s15, 0
	s_add_u32 s20, s11, 2
	s_mul_i32 s22, s17, s15
	s_mul_hi_u32 s23, s17, s11
	s_addc_u32 s21, s15, 0
	s_add_i32 s23, s23, s22
	s_mul_i32 s22, s17, s11
	v_mov_b32_e32 v1, s22
	v_sub_co_u32_e32 v1, vcc, s8, v1
	s_cmp_lg_u64 vcc, 0
	s_subb_u32 s8, s9, s23
	v_subrev_co_u32_e32 v4, vcc, s17, v1
	s_cmp_lg_u64 vcc, 0
	s_subb_u32 s9, s8, 0
	v_readfirstlane_b32 s22, v4
	s_cmp_ge_u32 s22, s17
	s_cselect_b32 s22, -1, 0
	s_cmp_eq_u32 s9, 0
	s_cselect_b32 s9, s22, -1
	s_cmp_lg_u32 s9, 0
	s_cselect_b32 s9, s21, s19
	v_readfirstlane_b32 s19, v1
	s_cselect_b32 s18, s20, s18
	s_cmp_ge_u32 s19, s17
	s_cselect_b32 s19, -1, 0
	s_cmp_eq_u32 s8, 0
	s_cselect_b32 s8, s19, -1
	s_cmp_lg_u32 s8, 0
	s_cselect_b32 s9, s9, s15
	s_cselect_b32 s8, s18, s11
	s_xor_b64 s[8:9], s[8:9], s[12:13]
	s_sub_u32 s8, s8, s12
	s_subb_u32 s9, s9, s12
	s_cbranch_execnz .LBB42_5
.LBB42_4:
	v_cvt_f32_u32_e32 v1, s17
	s_sub_i32 s2, 0, s17
	s_mov_b32 s9, 0
	v_rcp_iflag_f32_e32 v1, v1
	v_mul_f32_e32 v1, 0x4f7ffffe, v1
	v_cvt_u32_f32_e32 v1, v1
	v_readfirstlane_b32 s3, v1
	s_mul_i32 s2, s2, s3
	s_mul_hi_u32 s2, s3, s2
	s_add_i32 s3, s3, s2
	s_mul_hi_u32 s2, s10, s3
	s_mul_i32 s8, s2, s17
	s_sub_i32 s8, s10, s8
	s_add_i32 s3, s2, 1
	s_sub_i32 s10, s8, s17
	s_cmp_ge_u32 s8, s17
	s_cselect_b32 s2, s3, s2
	s_cselect_b32 s8, s10, s8
	s_add_i32 s3, s2, 1
	s_cmp_ge_u32 s8, s17
	s_cselect_b32 s8, s3, s2
.LBB42_5:
	v_mov_b32_e32 v1, 0
	v_mov_b32_e32 v4, s6
	v_mad_u64_u32 v[16:17], s[2:3], s7, v4, v[0:1]
	s_add_u32 s2, s8, 1
	s_addc_u32 s3, s9, 0
	s_mul_hi_u32 s8, s14, s7
	s_mul_i32 s3, s16, s3
	s_mul_hi_u32 s9, s16, s2
	s_add_i32 s3, s9, s3
	s_mul_i32 s8, s8, s2
	s_add_i32 s3, s3, s8
	s_mul_i32 s2, s16, s2
	s_lshl_b64 s[2:3], s[2:3], 2
	v_cmp_gt_i64_e32 vcc, s[2:3], v[16:17]
	s_and_saveexec_b64 s[8:9], vcc
	s_cbranch_execz .LBB42_34
; %bb.6:
	s_load_dwordx2 s[12:13], s[4:5], 0x30
	s_load_dword s15, s[4:5], 0x38
	s_load_dwordx4 s[8:11], s[4:5], 0x40
	v_mov_b32_e32 v4, v15
	s_mov_b32 s4, 0xdb3d7428
	v_add_co_u32_e32 v23, vcc, s4, v4
	s_mov_b32 s4, 0x5384540f
	v_add_co_u32_e32 v24, vcc, s4, v14
	;; [unrolled: 2-line block ×7, first 2 shown]
	s_mov_b32 s4, 0x9e3779b9
	v_alignbit_b32 v31, v3, v2, 2
	s_mov_b32 s18, 0xd2511f53
	v_add_co_u32_e32 v30, vcc, s4, v14
	v_mad_u64_u32 v[6:7], s[4:5], v31, s18, 0
	v_and_b32_e32 v20, 3, v2
	v_xor_b32_e32 v2, v7, v15
	v_xor_b32_e32 v2, v2, v17
	s_mov_b32 s19, 0xcd9e8d57
	v_mad_u64_u32 v[8:9], s[4:5], v2, s19, 0
	v_xor_b32_e32 v2, v30, v9
	v_mad_u64_u32 v[10:11], s[4:5], v16, s19, 0
	v_xor_b32_e32 v2, v2, v10
	;; [unrolled: 2-line block ×3, first 2 shown]
	v_lshrrev_b32_e32 v32, 2, v3
	v_xor_b32_e32 v2, v2, v32
	v_xor_b32_e32 v5, v29, v13
	v_mad_u64_u32 v[2:3], s[4:5], v2, s18, 0
	v_xor_b32_e32 v2, v5, v2
	v_mad_u64_u32 v[10:11], s[4:5], v2, s19, 0
	s_mov_b32 s4, 0xbb67ae85
	v_add_co_u32_e32 v33, vcc, s4, v4
	v_xor_b32_e32 v2, v33, v3
	v_xor_b32_e32 v2, v2, v6
	v_xor_b32_e32 v5, v28, v11
	v_mad_u64_u32 v[2:3], s[4:5], v2, s19, 0
	v_xor_b32_e32 v2, v5, v2
	v_mad_u64_u32 v[6:7], s[4:5], v2, s18, 0
	s_mov_b32 s4, 0x3c6ef372
	v_add_co_u32_e32 v34, vcc, s4, v14
	v_xor_b32_e32 v2, v34, v3
	;; [unrolled: 8-line block ×7, first 2 shown]
	v_xor_b32_e32 v2, v2, v12
	v_mad_u64_u32 v[2:3], s[4:5], v2, s19, 0
	s_mov_b32 s4, 0xf1bbcdc8
	v_add_co_u32_e32 v40, vcc, s4, v14
	v_xor_b32_e32 v3, v40, v3
	v_xor_b32_e32 v3, v3, v10
	v_mad_u64_u32 v[10:11], s[4:5], v3, s18, 0
	s_mul_i32 s4, s6, s7
	v_xor_b32_e32 v3, v11, v6
	v_add_u32_e32 v6, s4, v0
	s_waitcnt lgkmcnt(0)
	s_mul_i32 s4, s14, s15
	s_mul_i32 s4, s4, s7
	s_lshl_b32 s24, s4, 2
	s_mul_i32 s4, s14, 3
	s_add_i32 s4, s6, s4
	s_mul_i32 s4, s4, s7
	v_mul_lo_u32 v41, s15, v6
	v_add_u32_e32 v6, s4, v0
	s_lshl_b32 s4, s14, 1
	s_add_i32 s4, s6, s4
	s_mul_i32 s4, s4, s7
	v_mul_lo_u32 v42, s15, v6
	v_add_u32_e32 v6, s4, v0
	s_add_i32 s4, s6, s14
	s_mul_i32 s4, s4, s7
	s_mov_b32 s11, 0
	v_add_u32_e32 v21, 0x8ff34781, v14
	v_add_u32_e32 v22, 0x96a522ad, v15
	v_xor_b32_e32 v2, v9, v2
	v_add_u32_e32 v0, s4, v0
	v_xor_b32_e32 v2, v21, v2
	v_xor_b32_e32 v4, v22, v3
	v_mov_b32_e32 v3, v8
	v_mov_b32_e32 v5, v10
	s_lshl_b32 s20, s16, 1
	s_mov_b32 s21, s11
	s_mul_i32 s22, s16, 3
	s_mov_b32 s23, s11
	v_mul_lo_u32 v43, s15, v6
	v_mul_lo_u32 v44, s15, v0
	s_mov_b64 s[4:5], 0
	s_mov_b32 s25, s11
	v_mov_b32_e32 v45, v16
	v_mov_b32_e32 v46, v17
	s_branch .LBB42_9
.LBB42_7:                               ;   in Loop: Header=BB42_9 Depth=1
	s_or_b64 exec, exec, s[14:15]
	v_add_u32_e32 v2, s25, v42
	v_ashrrev_i32_e32 v3, 31, v2
	v_mov_b32_e32 v4, s13
	v_add_co_u32_e32 v2, vcc, s12, v2
	v_addc_co_u32_e32 v3, vcc, v4, v3, vcc
	v_add_u32_e32 v0, s10, v0
	global_store_short v[2:3], v0, off
.LBB42_8:                               ;   in Loop: Header=BB42_9 Depth=1
	s_or_b64 exec, exec, s[6:7]
	v_add_co_u32_e32 v16, vcc, s17, v16
	v_addc_co_u32_e32 v17, vcc, 0, v17, vcc
	v_mov_b32_e32 v9, v18
	s_add_i32 s25, s25, s24
	v_cmp_le_i64_e32 vcc, s[2:3], v[16:17]
	v_pk_mov_b32 v[2:3], v[6:7], v[6:7] op_sel:[0,1]
	s_or_b64 s[4:5], vcc, s[4:5]
	v_pk_mov_b32 v[4:5], v[8:9], v[8:9] op_sel:[0,1]
	s_barrier
	s_andn2_b64 exec, exec, s[4:5]
	s_cbranch_execz .LBB42_34
.LBB42_9:                               ; =>This Inner Loop Header: Depth=1
	v_add_co_u32_e32 v31, vcc, 1, v31
	v_cndmask_b32_e64 v0, 0, 1, vcc
	v_addc_co_u32_e32 v32, vcc, 0, v32, vcc
	v_cmp_eq_u32_e32 vcc, 0, v32
	v_cndmask_b32_e32 v0, 0, v0, vcc
	v_add_u32_e32 v45, v0, v45
	v_cmp_eq_u32_e32 vcc, 0, v45
	v_cndmask_b32_e32 v0, 0, v0, vcc
	v_mad_u64_u32 v[6:7], s[6:7], v31, s18, 0
	v_mad_u64_u32 v[8:9], s[6:7], v45, s19, 0
	v_add_u32_e32 v46, v0, v46
	v_xor_b32_e32 v0, v9, v14
	v_xor_b32_e32 v7, v7, v15
	v_xor_b32_e32 v0, v32, v0
	v_xor_b32_e32 v7, v46, v7
	v_mad_u64_u32 v[10:11], s[6:7], v0, s18, 0
	v_mad_u64_u32 v[12:13], s[6:7], v7, s19, 0
	v_xor_b32_e32 v0, v30, v13
	v_xor_b32_e32 v7, v33, v11
	v_xor_b32_e32 v0, v0, v8
	v_xor_b32_e32 v8, v7, v6
	v_mad_u64_u32 v[6:7], s[6:7], v0, s18, 0
	v_mad_u64_u32 v[8:9], s[6:7], v8, s19, 0
	;; [unrolled: 6-line block ×9, first 2 shown]
	v_xor_b32_e32 v0, v13, v6
	v_xor_b32_e32 v6, v21, v0
	;; [unrolled: 1-line block ×4, first 2 shown]
	v_mov_b32_e32 v7, v12
	v_mov_b32_e32 v8, v13
	v_cmp_lt_i32_e32 vcc, 1, v20
	s_and_saveexec_b64 s[6:7], vcc
	s_xor_b64 s[6:7], exec, s[6:7]
	s_cbranch_execnz .LBB42_12
; %bb.10:                               ;   in Loop: Header=BB42_9 Depth=1
	s_andn2_saveexec_b64 s[6:7], s[6:7]
	s_cbranch_execnz .LBB42_17
.LBB42_11:                              ;   in Loop: Header=BB42_9 Depth=1
	s_or_b64 exec, exec, s[6:7]
	v_cmp_gt_i64_e32 vcc, s[0:1], v[16:17]
	s_and_saveexec_b64 s[6:7], vcc
	s_cbranch_execnz .LBB42_20
	s_branch .LBB42_23
.LBB42_12:                              ;   in Loop: Header=BB42_9 Depth=1
	v_cmp_lt_i32_e32 vcc, 2, v20
	s_and_saveexec_b64 s[14:15], vcc
	s_xor_b64 s[14:15], exec, s[14:15]
; %bb.13:                               ;   in Loop: Header=BB42_9 Depth=1
	v_mov_b32_e32 v10, v5
	v_mov_b32_e32 v11, v6
	v_pk_mov_b32 v[2:3], v[10:11], v[10:11] op_sel:[0,1]
	v_pk_mov_b32 v[4:5], v[12:13], v[12:13] op_sel:[0,1]
                                        ; implicit-def: $vgpr12_vgpr13
; %bb.14:                               ;   in Loop: Header=BB42_9 Depth=1
	s_andn2_saveexec_b64 s[14:15], s[14:15]
; %bb.15:                               ;   in Loop: Header=BB42_9 Depth=1
	v_mov_b32_e32 v2, v4
	v_mov_b32_e32 v3, v5
	;; [unrolled: 1-line block ×4, first 2 shown]
; %bb.16:                               ;   in Loop: Header=BB42_9 Depth=1
	s_or_b64 exec, exec, s[14:15]
	s_andn2_saveexec_b64 s[6:7], s[6:7]
	s_cbranch_execz .LBB42_11
.LBB42_17:                              ;   in Loop: Header=BB42_9 Depth=1
	v_cmp_eq_u32_e32 vcc, 1, v20
	s_and_saveexec_b64 s[14:15], vcc
; %bb.18:                               ;   in Loop: Header=BB42_9 Depth=1
	v_mov_b32_e32 v2, v3
	v_mov_b32_e32 v3, v4
	;; [unrolled: 1-line block ×4, first 2 shown]
; %bb.19:                               ;   in Loop: Header=BB42_9 Depth=1
	s_or_b64 exec, exec, s[14:15]
	s_or_b64 exec, exec, s[6:7]
	v_cmp_gt_i64_e32 vcc, s[0:1], v[16:17]
	s_and_saveexec_b64 s[6:7], vcc
	s_cbranch_execz .LBB42_23
.LBB42_20:                              ;   in Loop: Header=BB42_9 Depth=1
	v_mov_b32_e32 v0, v2
	v_cmp_le_u64_e32 vcc, s[8:9], v[0:1]
	s_and_saveexec_b64 s[14:15], vcc
	s_cbranch_execz .LBB42_22
; %bb.21:                               ;   in Loop: Header=BB42_9 Depth=1
	v_cvt_f32_u32_e32 v2, s8
	s_sub_i32 s26, 0, s8
	v_rcp_iflag_f32_e32 v2, v2
	v_mul_f32_e32 v2, 0x4f7ffffe, v2
	v_cvt_u32_f32_e32 v2, v2
	v_mul_lo_u32 v9, s26, v2
	v_mul_hi_u32 v9, v2, v9
	v_add_u32_e32 v2, v2, v9
	v_mul_hi_u32 v2, v0, v2
	v_mul_lo_u32 v2, v2, s8
	v_sub_u32_e32 v0, v0, v2
	v_subrev_u32_e32 v2, s8, v0
	v_cmp_le_u32_e32 vcc, s8, v0
	v_cndmask_b32_e32 v0, v0, v2, vcc
	v_subrev_u32_e32 v2, s8, v0
	v_cmp_le_u32_e32 vcc, s8, v0
	v_cndmask_b32_e32 v0, v0, v2, vcc
.LBB42_22:                              ;   in Loop: Header=BB42_9 Depth=1
	s_or_b64 exec, exec, s[14:15]
	v_add_u32_e32 v2, s25, v41
	v_ashrrev_i32_e32 v9, 31, v2
	v_mov_b32_e32 v11, s13
	v_add_co_u32_e32 v10, vcc, s12, v2
	v_addc_co_u32_e32 v11, vcc, v11, v9, vcc
	v_add_u32_e32 v0, s10, v0
	global_store_short v[10:11], v0, off
.LBB42_23:                              ;   in Loop: Header=BB42_9 Depth=1
	s_or_b64 exec, exec, s[6:7]
	v_mov_b32_e32 v0, s11
	v_add_co_u32_e32 v10, vcc, s16, v16
	v_addc_co_u32_e32 v11, vcc, v0, v17, vcc
	v_cmp_gt_i64_e32 vcc, s[0:1], v[10:11]
	s_and_saveexec_b64 s[6:7], vcc
	s_cbranch_execz .LBB42_27
; %bb.24:                               ;   in Loop: Header=BB42_9 Depth=1
	v_mov_b32_e32 v0, v3
	v_cmp_le_u64_e32 vcc, s[8:9], v[0:1]
	s_and_saveexec_b64 s[14:15], vcc
	s_cbranch_execz .LBB42_26
; %bb.25:                               ;   in Loop: Header=BB42_9 Depth=1
	v_cvt_f32_u32_e32 v2, s8
	s_sub_i32 s26, 0, s8
	v_rcp_iflag_f32_e32 v2, v2
	v_mul_f32_e32 v2, 0x4f7ffffe, v2
	v_cvt_u32_f32_e32 v2, v2
	v_mul_lo_u32 v3, s26, v2
	v_mul_hi_u32 v3, v2, v3
	v_add_u32_e32 v2, v2, v3
	v_mul_hi_u32 v2, v0, v2
	v_mul_lo_u32 v2, v2, s8
	v_sub_u32_e32 v0, v0, v2
	v_subrev_u32_e32 v2, s8, v0
	v_cmp_le_u32_e32 vcc, s8, v0
	v_cndmask_b32_e32 v0, v0, v2, vcc
	v_subrev_u32_e32 v2, s8, v0
	v_cmp_le_u32_e32 vcc, s8, v0
	v_cndmask_b32_e32 v0, v0, v2, vcc
.LBB42_26:                              ;   in Loop: Header=BB42_9 Depth=1
	s_or_b64 exec, exec, s[14:15]
	v_add_u32_e32 v2, s25, v44
	v_ashrrev_i32_e32 v3, 31, v2
	v_mov_b32_e32 v9, s13
	v_add_co_u32_e32 v2, vcc, s12, v2
	v_addc_co_u32_e32 v3, vcc, v9, v3, vcc
	v_add_u32_e32 v0, s10, v0
	global_store_short v[2:3], v0, off
.LBB42_27:                              ;   in Loop: Header=BB42_9 Depth=1
	s_or_b64 exec, exec, s[6:7]
	v_mov_b32_e32 v0, s21
	v_add_co_u32_e32 v2, vcc, s20, v16
	v_addc_co_u32_e32 v3, vcc, v0, v17, vcc
	v_cmp_gt_i64_e32 vcc, s[0:1], v[2:3]
	s_and_saveexec_b64 s[6:7], vcc
	s_cbranch_execz .LBB42_31
; %bb.28:                               ;   in Loop: Header=BB42_9 Depth=1
	v_mov_b32_e32 v0, v4
	v_cmp_le_u64_e32 vcc, s[8:9], v[0:1]
	s_and_saveexec_b64 s[14:15], vcc
	s_cbranch_execz .LBB42_30
; %bb.29:                               ;   in Loop: Header=BB42_9 Depth=1
	v_cvt_f32_u32_e32 v2, s8
	s_sub_i32 s26, 0, s8
	v_rcp_iflag_f32_e32 v2, v2
	v_mul_f32_e32 v2, 0x4f7ffffe, v2
	v_cvt_u32_f32_e32 v2, v2
	v_mul_lo_u32 v3, s26, v2
	v_mul_hi_u32 v3, v2, v3
	v_add_u32_e32 v2, v2, v3
	v_mul_hi_u32 v2, v0, v2
	v_mul_lo_u32 v2, v2, s8
	v_sub_u32_e32 v0, v0, v2
	v_subrev_u32_e32 v2, s8, v0
	v_cmp_le_u32_e32 vcc, s8, v0
	v_cndmask_b32_e32 v0, v0, v2, vcc
	v_subrev_u32_e32 v2, s8, v0
	v_cmp_le_u32_e32 vcc, s8, v0
	v_cndmask_b32_e32 v0, v0, v2, vcc
.LBB42_30:                              ;   in Loop: Header=BB42_9 Depth=1
	s_or_b64 exec, exec, s[14:15]
	v_add_u32_e32 v2, s25, v43
	v_ashrrev_i32_e32 v3, 31, v2
	v_mov_b32_e32 v4, s13
	v_add_co_u32_e32 v2, vcc, s12, v2
	v_addc_co_u32_e32 v3, vcc, v4, v3, vcc
	v_add_u32_e32 v0, s10, v0
	global_store_short v[2:3], v0, off
.LBB42_31:                              ;   in Loop: Header=BB42_9 Depth=1
	s_or_b64 exec, exec, s[6:7]
	v_mov_b32_e32 v0, s23
	v_add_co_u32_e32 v2, vcc, s22, v16
	v_addc_co_u32_e32 v3, vcc, v0, v17, vcc
	v_cmp_gt_i64_e32 vcc, s[0:1], v[2:3]
	s_and_saveexec_b64 s[6:7], vcc
	s_cbranch_execz .LBB42_8
; %bb.32:                               ;   in Loop: Header=BB42_9 Depth=1
	v_mov_b32_e32 v0, v5
	v_cmp_le_u64_e32 vcc, s[8:9], v[0:1]
	s_and_saveexec_b64 s[14:15], vcc
	s_cbranch_execz .LBB42_7
; %bb.33:                               ;   in Loop: Header=BB42_9 Depth=1
	v_cvt_f32_u32_e32 v2, s8
	s_sub_i32 s26, 0, s8
	v_rcp_iflag_f32_e32 v2, v2
	v_mul_f32_e32 v2, 0x4f7ffffe, v2
	v_cvt_u32_f32_e32 v2, v2
	v_mul_lo_u32 v3, s26, v2
	v_mul_hi_u32 v3, v2, v3
	v_add_u32_e32 v2, v2, v3
	v_mul_hi_u32 v2, v0, v2
	v_mul_lo_u32 v2, v2, s8
	v_sub_u32_e32 v0, v0, v2
	v_subrev_u32_e32 v2, s8, v0
	v_cmp_le_u32_e32 vcc, s8, v0
	v_cndmask_b32_e32 v0, v0, v2, vcc
	v_subrev_u32_e32 v2, s8, v0
	v_cmp_le_u32_e32 vcc, s8, v0
	v_cndmask_b32_e32 v0, v0, v2, vcc
	s_branch .LBB42_7
.LBB42_34:
	s_endpgm
.LBB42_35:
                                        ; implicit-def: $sgpr8_sgpr9
	s_andn2_b64 vcc, exec, s[2:3]
	s_cbranch_vccz .LBB42_4
	s_branch .LBB42_5
	.section	.rodata,"a",@progbits
	.p2align	6, 0x0
	.amdhsa_kernel _ZN2at6native12_GLOBAL__N_143distribution_elementwise_grid_stride_kernelIjLi4EZZZNS0_9templates4cuda21random_from_to_kernelIPNS_17CUDAGeneratorImplEEEvRNS_18TensorIteratorBaseEmlT_ENKUlvE_clEvENKUlvE9_clEvEUlP25hiprandStatePhilox4_32_10E0_ZNS1_27distribution_nullary_kernelItj15HIP_vector_typeIjLj4EES7_SF_ZZZNS5_IS7_EEvS9_mlSA_ENKSB_clEvENKSC_clEvEUljE_EEvS9_T2_RKT3_T4_EUlijE_EEvlNS_15PhiloxCudaStateET1_SK_
		.amdhsa_group_segment_fixed_size 0
		.amdhsa_private_segment_fixed_size 0
		.amdhsa_kernarg_size 336
		.amdhsa_user_sgpr_count 6
		.amdhsa_user_sgpr_private_segment_buffer 1
		.amdhsa_user_sgpr_dispatch_ptr 0
		.amdhsa_user_sgpr_queue_ptr 0
		.amdhsa_user_sgpr_kernarg_segment_ptr 1
		.amdhsa_user_sgpr_dispatch_id 0
		.amdhsa_user_sgpr_flat_scratch_init 0
		.amdhsa_user_sgpr_kernarg_preload_length 0
		.amdhsa_user_sgpr_kernarg_preload_offset 0
		.amdhsa_user_sgpr_private_segment_size 0
		.amdhsa_uses_dynamic_stack 0
		.amdhsa_system_sgpr_private_segment_wavefront_offset 0
		.amdhsa_system_sgpr_workgroup_id_x 1
		.amdhsa_system_sgpr_workgroup_id_y 0
		.amdhsa_system_sgpr_workgroup_id_z 0
		.amdhsa_system_sgpr_workgroup_info 0
		.amdhsa_system_vgpr_workitem_id 0
		.amdhsa_next_free_vgpr 47
		.amdhsa_next_free_sgpr 27
		.amdhsa_accum_offset 48
		.amdhsa_reserve_vcc 1
		.amdhsa_reserve_flat_scratch 0
		.amdhsa_float_round_mode_32 0
		.amdhsa_float_round_mode_16_64 0
		.amdhsa_float_denorm_mode_32 3
		.amdhsa_float_denorm_mode_16_64 3
		.amdhsa_dx10_clamp 1
		.amdhsa_ieee_mode 1
		.amdhsa_fp16_overflow 0
		.amdhsa_tg_split 0
		.amdhsa_exception_fp_ieee_invalid_op 0
		.amdhsa_exception_fp_denorm_src 0
		.amdhsa_exception_fp_ieee_div_zero 0
		.amdhsa_exception_fp_ieee_overflow 0
		.amdhsa_exception_fp_ieee_underflow 0
		.amdhsa_exception_fp_ieee_inexact 0
		.amdhsa_exception_int_div_zero 0
	.end_amdhsa_kernel
	.section	.text._ZN2at6native12_GLOBAL__N_143distribution_elementwise_grid_stride_kernelIjLi4EZZZNS0_9templates4cuda21random_from_to_kernelIPNS_17CUDAGeneratorImplEEEvRNS_18TensorIteratorBaseEmlT_ENKUlvE_clEvENKUlvE9_clEvEUlP25hiprandStatePhilox4_32_10E0_ZNS1_27distribution_nullary_kernelItj15HIP_vector_typeIjLj4EES7_SF_ZZZNS5_IS7_EEvS9_mlSA_ENKSB_clEvENKSC_clEvEUljE_EEvS9_T2_RKT3_T4_EUlijE_EEvlNS_15PhiloxCudaStateET1_SK_,"axG",@progbits,_ZN2at6native12_GLOBAL__N_143distribution_elementwise_grid_stride_kernelIjLi4EZZZNS0_9templates4cuda21random_from_to_kernelIPNS_17CUDAGeneratorImplEEEvRNS_18TensorIteratorBaseEmlT_ENKUlvE_clEvENKUlvE9_clEvEUlP25hiprandStatePhilox4_32_10E0_ZNS1_27distribution_nullary_kernelItj15HIP_vector_typeIjLj4EES7_SF_ZZZNS5_IS7_EEvS9_mlSA_ENKSB_clEvENKSC_clEvEUljE_EEvS9_T2_RKT3_T4_EUlijE_EEvlNS_15PhiloxCudaStateET1_SK_,comdat
.Lfunc_end42:
	.size	_ZN2at6native12_GLOBAL__N_143distribution_elementwise_grid_stride_kernelIjLi4EZZZNS0_9templates4cuda21random_from_to_kernelIPNS_17CUDAGeneratorImplEEEvRNS_18TensorIteratorBaseEmlT_ENKUlvE_clEvENKUlvE9_clEvEUlP25hiprandStatePhilox4_32_10E0_ZNS1_27distribution_nullary_kernelItj15HIP_vector_typeIjLj4EES7_SF_ZZZNS5_IS7_EEvS9_mlSA_ENKSB_clEvENKSC_clEvEUljE_EEvS9_T2_RKT3_T4_EUlijE_EEvlNS_15PhiloxCudaStateET1_SK_, .Lfunc_end42-_ZN2at6native12_GLOBAL__N_143distribution_elementwise_grid_stride_kernelIjLi4EZZZNS0_9templates4cuda21random_from_to_kernelIPNS_17CUDAGeneratorImplEEEvRNS_18TensorIteratorBaseEmlT_ENKUlvE_clEvENKUlvE9_clEvEUlP25hiprandStatePhilox4_32_10E0_ZNS1_27distribution_nullary_kernelItj15HIP_vector_typeIjLj4EES7_SF_ZZZNS5_IS7_EEvS9_mlSA_ENKSB_clEvENKSC_clEvEUljE_EEvS9_T2_RKT3_T4_EUlijE_EEvlNS_15PhiloxCudaStateET1_SK_
                                        ; -- End function
	.section	.AMDGPU.csdata,"",@progbits
; Kernel info:
; codeLenInByte = 2796
; NumSgprs: 31
; NumVgprs: 47
; NumAgprs: 0
; TotalNumVgprs: 47
; ScratchSize: 0
; MemoryBound: 0
; FloatMode: 240
; IeeeMode: 1
; LDSByteSize: 0 bytes/workgroup (compile time only)
; SGPRBlocks: 3
; VGPRBlocks: 5
; NumSGPRsForWavesPerEU: 31
; NumVGPRsForWavesPerEU: 47
; AccumOffset: 48
; Occupancy: 8
; WaveLimiterHint : 0
; COMPUTE_PGM_RSRC2:SCRATCH_EN: 0
; COMPUTE_PGM_RSRC2:USER_SGPR: 6
; COMPUTE_PGM_RSRC2:TRAP_HANDLER: 0
; COMPUTE_PGM_RSRC2:TGID_X_EN: 1
; COMPUTE_PGM_RSRC2:TGID_Y_EN: 0
; COMPUTE_PGM_RSRC2:TGID_Z_EN: 0
; COMPUTE_PGM_RSRC2:TIDIG_COMP_CNT: 0
; COMPUTE_PGM_RSRC3_GFX90A:ACCUM_OFFSET: 11
; COMPUTE_PGM_RSRC3_GFX90A:TG_SPLIT: 0
	.section	.text._ZN2at6native12_GLOBAL__N_143distribution_elementwise_grid_stride_kernelIjLi4EZZZNS0_9templates4cuda21random_from_to_kernelIPNS_17CUDAGeneratorImplEEEvRNS_18TensorIteratorBaseEmlT_ENKUlvE_clEvENKUlvE9_clEvEUlP25hiprandStatePhilox4_32_10E0_ZNS1_27distribution_nullary_kernelItj15HIP_vector_typeIjLj4EES7_SF_ZZZNS5_IS7_EEvS9_mlSA_ENKSB_clEvENKSC_clEvEUljE_EEvS9_T2_RKT3_T4_EUlijE0_EEvlNS_15PhiloxCudaStateET1_SK_,"axG",@progbits,_ZN2at6native12_GLOBAL__N_143distribution_elementwise_grid_stride_kernelIjLi4EZZZNS0_9templates4cuda21random_from_to_kernelIPNS_17CUDAGeneratorImplEEEvRNS_18TensorIteratorBaseEmlT_ENKUlvE_clEvENKUlvE9_clEvEUlP25hiprandStatePhilox4_32_10E0_ZNS1_27distribution_nullary_kernelItj15HIP_vector_typeIjLj4EES7_SF_ZZZNS5_IS7_EEvS9_mlSA_ENKSB_clEvENKSC_clEvEUljE_EEvS9_T2_RKT3_T4_EUlijE0_EEvlNS_15PhiloxCudaStateET1_SK_,comdat
	.globl	_ZN2at6native12_GLOBAL__N_143distribution_elementwise_grid_stride_kernelIjLi4EZZZNS0_9templates4cuda21random_from_to_kernelIPNS_17CUDAGeneratorImplEEEvRNS_18TensorIteratorBaseEmlT_ENKUlvE_clEvENKUlvE9_clEvEUlP25hiprandStatePhilox4_32_10E0_ZNS1_27distribution_nullary_kernelItj15HIP_vector_typeIjLj4EES7_SF_ZZZNS5_IS7_EEvS9_mlSA_ENKSB_clEvENKSC_clEvEUljE_EEvS9_T2_RKT3_T4_EUlijE0_EEvlNS_15PhiloxCudaStateET1_SK_ ; -- Begin function _ZN2at6native12_GLOBAL__N_143distribution_elementwise_grid_stride_kernelIjLi4EZZZNS0_9templates4cuda21random_from_to_kernelIPNS_17CUDAGeneratorImplEEEvRNS_18TensorIteratorBaseEmlT_ENKUlvE_clEvENKUlvE9_clEvEUlP25hiprandStatePhilox4_32_10E0_ZNS1_27distribution_nullary_kernelItj15HIP_vector_typeIjLj4EES7_SF_ZZZNS5_IS7_EEvS9_mlSA_ENKSB_clEvENKSC_clEvEUljE_EEvS9_T2_RKT3_T4_EUlijE0_EEvlNS_15PhiloxCudaStateET1_SK_
	.p2align	8
	.type	_ZN2at6native12_GLOBAL__N_143distribution_elementwise_grid_stride_kernelIjLi4EZZZNS0_9templates4cuda21random_from_to_kernelIPNS_17CUDAGeneratorImplEEEvRNS_18TensorIteratorBaseEmlT_ENKUlvE_clEvENKUlvE9_clEvEUlP25hiprandStatePhilox4_32_10E0_ZNS1_27distribution_nullary_kernelItj15HIP_vector_typeIjLj4EES7_SF_ZZZNS5_IS7_EEvS9_mlSA_ENKSB_clEvENKSC_clEvEUljE_EEvS9_T2_RKT3_T4_EUlijE0_EEvlNS_15PhiloxCudaStateET1_SK_,@function
_ZN2at6native12_GLOBAL__N_143distribution_elementwise_grid_stride_kernelIjLi4EZZZNS0_9templates4cuda21random_from_to_kernelIPNS_17CUDAGeneratorImplEEEvRNS_18TensorIteratorBaseEmlT_ENKUlvE_clEvENKUlvE9_clEvEUlP25hiprandStatePhilox4_32_10E0_ZNS1_27distribution_nullary_kernelItj15HIP_vector_typeIjLj4EES7_SF_ZZZNS5_IS7_EEvS9_mlSA_ENKSB_clEvENKSC_clEvEUljE_EEvS9_T2_RKT3_T4_EUlijE0_EEvlNS_15PhiloxCudaStateET1_SK_: ; @_ZN2at6native12_GLOBAL__N_143distribution_elementwise_grid_stride_kernelIjLi4EZZZNS0_9templates4cuda21random_from_to_kernelIPNS_17CUDAGeneratorImplEEEvRNS_18TensorIteratorBaseEmlT_ENKUlvE_clEvENKUlvE9_clEvEUlP25hiprandStatePhilox4_32_10E0_ZNS1_27distribution_nullary_kernelItj15HIP_vector_typeIjLj4EES7_SF_ZZZNS5_IS7_EEvS9_mlSA_ENKSB_clEvENKSC_clEvEUljE_EEvS9_T2_RKT3_T4_EUlijE0_EEvlNS_15PhiloxCudaStateET1_SK_
; %bb.0:
	s_load_dword s2, s[4:5], 0x20
	s_load_dwordx2 s[0:1], s[4:5], 0x10
	s_load_dwordx4 s[24:27], s[4:5], 0x0
	s_waitcnt lgkmcnt(0)
	s_bitcmp0_b32 s2, 0
	s_mov_b32 s2, 0
	v_pk_mov_b32 v[2:3], s[0:1], s[0:1] op_sel:[0,1]
	v_pk_mov_b32 v[14:15], s[26:27], s[26:27] op_sel:[0,1]
	s_cbranch_scc1 .LBB43_2
; %bb.1:
	v_pk_mov_b32 v[2:3], s[0:1], s[0:1] op_sel:[0,1]
	flat_load_dwordx2 v[2:3], v[2:3]
	v_pk_mov_b32 v[4:5], s[26:27], s[26:27] op_sel:[0,1]
	flat_load_dwordx2 v[14:15], v[4:5]
	s_load_dwordx2 s[0:1], s[4:5], 0x18
	s_waitcnt lgkmcnt(0)
	v_mov_b32_e32 v1, s1
	s_waitcnt vmcnt(0)
	v_add_co_u32_e32 v2, vcc, s0, v2
	v_addc_co_u32_e32 v3, vcc, v3, v1, vcc
.LBB43_2:
	s_load_dword s0, s[4:5], 0x15c
	s_load_dword s7, s[4:5], 0x150
	s_waitcnt lgkmcnt(0)
	s_and_b32 s8, s0, 0xffff
	s_add_u32 s9, s24, -1
	s_mul_i32 s33, s7, s8
	s_addc_u32 s3, s25, -1
	s_lshl_b32 s62, s33, 2
	s_cmp_lg_u64 s[2:3], 0
	s_mov_b64 s[0:1], -1
	s_cbranch_scc0 .LBB43_91
; %bb.3:
	v_cvt_f32_u32_e32 v1, s62
	v_cvt_f32_ubyte0_e32 v4, 0
	s_sub_u32 s2, 0, s62
	s_subb_u32 s10, 0, 0
	v_madmk_f32 v1, v4, 0x4f800000, v1
	v_rcp_f32_e32 v1, v1
	v_mul_f32_e32 v1, 0x5f7ffffc, v1
	v_mul_f32_e32 v4, 0x2f800000, v1
	v_trunc_f32_e32 v4, v4
	v_madmk_f32 v1, v4, 0xcf800000, v1
	v_cvt_u32_f32_e32 v4, v4
	v_cvt_u32_f32_e32 v1, v1
	v_readfirstlane_b32 s11, v4
	v_readfirstlane_b32 s12, v1
	s_mul_i32 s13, s2, s11
	s_mul_hi_u32 s15, s2, s12
	s_mul_i32 s14, s10, s12
	s_add_i32 s13, s15, s13
	s_add_i32 s13, s13, s14
	s_mul_i32 s16, s2, s12
	s_mul_hi_u32 s14, s12, s13
	s_mul_i32 s15, s12, s13
	s_mul_hi_u32 s12, s12, s16
	s_add_u32 s12, s12, s15
	s_addc_u32 s14, 0, s14
	s_mul_hi_u32 s17, s11, s16
	s_mul_i32 s16, s11, s16
	s_add_u32 s12, s12, s16
	s_mul_hi_u32 s15, s11, s13
	s_addc_u32 s12, s14, s17
	s_addc_u32 s14, s15, 0
	s_mul_i32 s13, s11, s13
	s_add_u32 s12, s12, s13
	s_addc_u32 s13, 0, s14
	v_add_co_u32_e32 v1, vcc, s12, v1
	s_cmp_lg_u64 vcc, 0
	s_addc_u32 s11, s11, s13
	v_readfirstlane_b32 s13, v1
	s_mul_i32 s12, s2, s11
	s_mul_hi_u32 s14, s2, s13
	s_add_i32 s12, s14, s12
	s_mul_i32 s10, s10, s13
	s_add_i32 s12, s12, s10
	s_mul_i32 s2, s2, s13
	s_mul_hi_u32 s14, s11, s2
	s_mul_i32 s15, s11, s2
	s_mul_i32 s17, s13, s12
	s_mul_hi_u32 s2, s13, s2
	s_mul_hi_u32 s16, s13, s12
	s_add_u32 s2, s2, s17
	s_addc_u32 s13, 0, s16
	s_add_u32 s2, s2, s15
	s_mul_hi_u32 s10, s11, s12
	s_addc_u32 s2, s13, s14
	s_addc_u32 s10, s10, 0
	s_mul_i32 s12, s11, s12
	s_add_u32 s2, s2, s12
	s_addc_u32 s10, 0, s10
	v_add_co_u32_e32 v1, vcc, s2, v1
	s_cmp_lg_u64 vcc, 0
	s_addc_u32 s12, s11, s10
	s_ashr_i32 s10, s3, 31
	s_add_u32 s2, s9, s10
	s_mov_b32 s11, s10
	s_addc_u32 s3, s3, s10
	s_xor_b64 s[2:3], s[2:3], s[10:11]
	v_readfirstlane_b32 s15, v1
	s_mul_i32 s14, s2, s12
	s_mul_hi_u32 s16, s2, s15
	s_mul_hi_u32 s13, s2, s12
	s_add_u32 s14, s16, s14
	s_addc_u32 s13, 0, s13
	s_mul_hi_u32 s17, s3, s15
	s_mul_i32 s15, s3, s15
	s_add_u32 s14, s14, s15
	s_mul_hi_u32 s16, s3, s12
	s_addc_u32 s13, s13, s17
	s_addc_u32 s14, s16, 0
	s_mul_i32 s12, s3, s12
	s_add_u32 s12, s13, s12
	s_addc_u32 s13, 0, s14
	s_add_u32 s14, s12, 1
	s_addc_u32 s15, s13, 0
	s_add_u32 s16, s12, 2
	s_mul_i32 s18, s62, s13
	s_mul_hi_u32 s19, s62, s12
	s_addc_u32 s17, s13, 0
	s_add_i32 s19, s19, s18
	s_mul_i32 s18, s62, s12
	v_mov_b32_e32 v1, s18
	v_sub_co_u32_e32 v1, vcc, s2, v1
	s_cmp_lg_u64 vcc, 0
	s_subb_u32 s2, s3, s19
	v_subrev_co_u32_e32 v4, vcc, s62, v1
	s_cmp_lg_u64 vcc, 0
	s_subb_u32 s3, s2, 0
	v_readfirstlane_b32 s18, v4
	s_cmp_ge_u32 s18, s62
	s_cselect_b32 s18, -1, 0
	s_cmp_eq_u32 s3, 0
	s_cselect_b32 s3, s18, -1
	s_cmp_lg_u32 s3, 0
	s_cselect_b32 s3, s17, s15
	v_readfirstlane_b32 s15, v1
	s_cselect_b32 s14, s16, s14
	s_cmp_ge_u32 s15, s62
	s_cselect_b32 s15, -1, 0
	s_cmp_eq_u32 s2, 0
	s_cselect_b32 s2, s15, -1
	s_cmp_lg_u32 s2, 0
	s_cselect_b32 s3, s3, s13
	s_cselect_b32 s2, s14, s12
	s_xor_b64 s[2:3], s[2:3], s[10:11]
	s_sub_u32 s2, s2, s10
	s_subb_u32 s3, s3, s10
	s_cbranch_execnz .LBB43_5
.LBB43_4:
	v_cvt_f32_u32_e32 v1, s62
	s_sub_i32 s0, 0, s62
	s_mov_b32 s3, 0
	v_rcp_iflag_f32_e32 v1, v1
	v_mul_f32_e32 v1, 0x4f7ffffe, v1
	v_cvt_u32_f32_e32 v1, v1
	v_readfirstlane_b32 s1, v1
	s_mul_i32 s0, s0, s1
	s_mul_hi_u32 s0, s1, s0
	s_add_i32 s1, s1, s0
	s_mul_hi_u32 s0, s9, s1
	s_mul_i32 s2, s0, s62
	s_sub_i32 s2, s9, s2
	s_add_i32 s1, s0, 1
	s_sub_i32 s9, s2, s62
	s_cmp_ge_u32 s2, s62
	s_cselect_b32 s0, s1, s0
	s_cselect_b32 s2, s9, s2
	s_add_i32 s1, s0, 1
	s_cmp_ge_u32 s2, s62
	s_cselect_b32 s2, s1, s0
.LBB43_5:
	v_mov_b32_e32 v1, 0
	v_mov_b32_e32 v4, s6
	v_mad_u64_u32 v[16:17], s[0:1], s8, v4, v[0:1]
	s_add_u32 s0, s2, 1
	s_addc_u32 s1, s3, 0
	s_mul_hi_u32 s2, s7, s8
	s_mul_i32 s1, s33, s1
	s_mul_hi_u32 s3, s33, s0
	s_add_i32 s1, s3, s1
	s_mul_i32 s2, s2, s0
	s_add_i32 s1, s1, s2
	s_mul_i32 s0, s33, s0
	s_lshl_b64 s[26:27], s[0:1], 2
	v_cmp_gt_i64_e32 vcc, s[26:27], v[16:17]
	s_and_saveexec_b64 s[0:1], vcc
	s_cbranch_execz .LBB43_90
; %bb.6:
	s_mov_b32 s0, 0x5384540f
	v_mov_b32_e32 v0, v15
	v_add_co_u32_e32 v24, vcc, s0, v14
	s_mov_b32 s0, 0x646e171e
	v_add_co_u32_e32 v25, vcc, s0, v0
	s_mov_b32 s0, 0x1715609d
	;; [unrolled: 2-line block ×6, first 2 shown]
	v_alignbit_b32 v31, v3, v2, 2
	s_mov_b32 s64, 0xd2511f53
	v_add_co_u32_e32 v30, vcc, s0, v14
	v_mad_u64_u32 v[4:5], s[0:1], v31, s64, 0
	v_and_b32_e32 v20, 3, v2
	v_xor_b32_e32 v2, v5, v15
	v_xor_b32_e32 v2, v2, v17
	s_mov_b32 s65, 0xcd9e8d57
	v_mad_u64_u32 v[6:7], s[0:1], v2, s65, 0
	v_xor_b32_e32 v2, v30, v7
	v_mad_u64_u32 v[8:9], s[0:1], v16, s65, 0
	v_xor_b32_e32 v2, v2, v8
	;; [unrolled: 2-line block ×3, first 2 shown]
	v_lshrrev_b32_e32 v32, 2, v3
	v_xor_b32_e32 v2, v2, v32
	v_xor_b32_e32 v5, v29, v11
	v_mad_u64_u32 v[2:3], s[0:1], v2, s64, 0
	v_xor_b32_e32 v2, v5, v2
	v_mad_u64_u32 v[8:9], s[0:1], v2, s65, 0
	s_mov_b32 s0, 0xbb67ae85
	v_add_co_u32_e32 v33, vcc, s0, v0
	v_xor_b32_e32 v2, v33, v3
	v_xor_b32_e32 v2, v2, v4
	v_xor_b32_e32 v5, v28, v9
	v_mad_u64_u32 v[2:3], s[0:1], v2, s65, 0
	v_xor_b32_e32 v2, v5, v2
	v_mad_u64_u32 v[4:5], s[0:1], v2, s64, 0
	s_mov_b32 s0, 0x3c6ef372
	v_add_co_u32_e32 v34, vcc, s0, v14
	v_xor_b32_e32 v2, v34, v3
	;; [unrolled: 8-line block ×6, first 2 shown]
	v_add_co_u32_e32 v23, vcc, 0xdb3d7428, v0
	v_xor_b32_e32 v2, v2, v6
	v_xor_b32_e32 v5, v23, v5
	v_mad_u64_u32 v[2:3], s[0:1], v2, s64, 0
	v_xor_b32_e32 v2, v5, v2
	v_mad_u64_u32 v[6:7], s[0:1], v2, s65, 0
	s_mov_b32 s0, 0x1fd5c5a3
	v_add_co_u32_e32 v39, vcc, s0, v0
	v_xor_b32_e32 v0, v39, v3
	v_xor_b32_e32 v0, v0, v10
	v_mad_u64_u32 v[2:3], s[0:1], v0, s65, 0
	s_mov_b32 s0, 0xf1bbcdc8
	s_load_dwordx8 s[8:15], s[4:5], 0x30
	v_add_u32_e32 v21, 0x8ff34781, v14
	v_xor_b32_e32 v0, v7, v2
	v_add_co_u32_e32 v40, vcc, s0, v14
	v_xor_b32_e32 v2, v21, v0
	v_xor_b32_e32 v0, v40, v3
	;; [unrolled: 1-line block ×3, first 2 shown]
	s_add_u32 s34, s4, 48
	v_mad_u64_u32 v[8:9], s[0:1], v0, s64, 0
	s_addc_u32 s35, s5, 0
	s_waitcnt lgkmcnt(0)
	s_add_i32 s0, s8, -1
	s_cmp_gt_u32 s0, 1
	s_cselect_b64 s[40:41], -1, 0
	s_cmp_lg_u32 s8, 0
	s_cselect_b64 s[42:43], -1, 0
	s_add_u32 s44, s4, 0xf4
	s_addc_u32 s45, s5, 0
	s_min_u32 s1, s0, 15
	s_cmp_gt_u32 s8, 1
	s_cselect_b64 s[46:47], -1, 0
	s_load_dwordx2 s[48:49], s[4:5], 0x148
	s_load_dwordx2 s[50:51], s[4:5], 0xf4
	s_load_dwordx4 s[28:31], s[4:5], 0x138
	s_add_i32 s1, s1, 1
	s_mov_b32 s8, s13
	s_lshl_b32 s13, s33, 1
	s_and_b32 s67, s1, 3
	s_cmp_lg_u32 s0, 2
	s_cselect_b64 s[52:53], -1, 0
	s_and_b32 s68, s1, 28
	s_mov_b32 s63, 0
	v_add_u32_e32 v22, 0x96a522ad, v15
	v_xor_b32_e32 v0, v9, v4
	s_cmp_lg_u32 s67, 0
	v_xor_b32_e32 v4, v22, v0
	v_mov_b32_e32 v3, v6
	v_mov_b32_e32 v5, v8
	s_mov_b32 s15, s63
	s_waitcnt lgkmcnt(0)
	s_mul_i32 s49, s33, 3
	s_mov_b32 s66, s63
	s_mov_b64 s[54:55], 0
	s_cselect_b64 s[56:57], -1, 0
	v_mov_b32_e32 v41, v16
	v_mov_b32_e32 v42, v17
	s_branch .LBB43_9
.LBB43_7:                               ;   in Loop: Header=BB43_9 Depth=1
	s_or_b64 exec, exec, s[0:1]
	v_add_u32_e32 v0, s48, v0
	global_store_short v2, v0, s[28:29]
.LBB43_8:                               ;   in Loop: Header=BB43_9 Depth=1
	s_or_b64 exec, exec, s[36:37]
	v_add_co_u32_e32 v16, vcc, s62, v16
	v_addc_co_u32_e32 v17, vcc, 0, v17, vcc
	v_mov_b32_e32 v9, v18
	v_cmp_le_i64_e32 vcc, s[26:27], v[16:17]
	v_pk_mov_b32 v[2:3], v[6:7], v[6:7] op_sel:[0,1]
	s_or_b64 s[54:55], vcc, s[54:55]
	v_pk_mov_b32 v[4:5], v[8:9], v[8:9] op_sel:[0,1]
	s_barrier
	s_andn2_b64 exec, exec, s[54:55]
	s_cbranch_execz .LBB43_90
.LBB43_9:                               ; =>This Loop Header: Depth=1
                                        ;     Child Loop BB43_24 Depth 2
                                        ;     Child Loop BB43_30 Depth 2
	;; [unrolled: 1-line block ×8, first 2 shown]
	v_add_co_u32_e32 v31, vcc, 1, v31
	v_cndmask_b32_e64 v0, 0, 1, vcc
	v_addc_co_u32_e32 v32, vcc, 0, v32, vcc
	v_cmp_eq_u32_e32 vcc, 0, v32
	v_cndmask_b32_e32 v0, 0, v0, vcc
	v_add_u32_e32 v41, v0, v41
	v_cmp_eq_u32_e32 vcc, 0, v41
	v_cndmask_b32_e32 v0, 0, v0, vcc
	v_mad_u64_u32 v[6:7], s[0:1], v31, s64, 0
	v_mad_u64_u32 v[8:9], s[0:1], v41, s65, 0
	v_add_u32_e32 v42, v0, v42
	v_xor_b32_e32 v0, v9, v14
	v_xor_b32_e32 v7, v7, v15
	v_xor_b32_e32 v0, v32, v0
	v_xor_b32_e32 v7, v42, v7
	v_mad_u64_u32 v[10:11], s[0:1], v0, s64, 0
	v_mad_u64_u32 v[12:13], s[0:1], v7, s65, 0
	v_xor_b32_e32 v0, v30, v13
	v_xor_b32_e32 v7, v33, v11
	v_xor_b32_e32 v0, v0, v8
	v_xor_b32_e32 v8, v7, v6
	v_mad_u64_u32 v[6:7], s[0:1], v0, s64, 0
	v_mad_u64_u32 v[8:9], s[0:1], v8, s65, 0
	;; [unrolled: 6-line block ×9, first 2 shown]
	v_xor_b32_e32 v0, v13, v6
	v_xor_b32_e32 v6, v21, v0
	;; [unrolled: 1-line block ×4, first 2 shown]
	v_mov_b32_e32 v7, v12
	v_mov_b32_e32 v8, v13
	v_cmp_lt_i32_e32 vcc, 1, v20
	s_and_saveexec_b64 s[0:1], vcc
	s_xor_b64 s[0:1], exec, s[0:1]
	s_cbranch_execz .LBB43_15
; %bb.10:                               ;   in Loop: Header=BB43_9 Depth=1
	v_cmp_lt_i32_e32 vcc, 2, v20
	s_and_saveexec_b64 s[2:3], vcc
	s_xor_b64 s[2:3], exec, s[2:3]
; %bb.11:                               ;   in Loop: Header=BB43_9 Depth=1
	v_mov_b32_e32 v10, v5
	v_mov_b32_e32 v11, v6
	v_pk_mov_b32 v[2:3], v[10:11], v[10:11] op_sel:[0,1]
	v_pk_mov_b32 v[4:5], v[12:13], v[12:13] op_sel:[0,1]
                                        ; implicit-def: $vgpr12_vgpr13
; %bb.12:                               ;   in Loop: Header=BB43_9 Depth=1
	s_andn2_saveexec_b64 s[2:3], s[2:3]
; %bb.13:                               ;   in Loop: Header=BB43_9 Depth=1
	v_mov_b32_e32 v2, v4
	v_mov_b32_e32 v3, v5
	;; [unrolled: 1-line block ×4, first 2 shown]
; %bb.14:                               ;   in Loop: Header=BB43_9 Depth=1
	s_or_b64 exec, exec, s[2:3]
.LBB43_15:                              ;   in Loop: Header=BB43_9 Depth=1
	s_andn2_saveexec_b64 s[0:1], s[0:1]
	s_cbranch_execz .LBB43_19
; %bb.16:                               ;   in Loop: Header=BB43_9 Depth=1
	v_cmp_eq_u32_e32 vcc, 1, v20
	s_and_saveexec_b64 s[2:3], vcc
; %bb.17:                               ;   in Loop: Header=BB43_9 Depth=1
	v_mov_b32_e32 v2, v3
	v_mov_b32_e32 v3, v4
	v_mov_b32_e32 v4, v5
	v_mov_b32_e32 v5, v6
; %bb.18:                               ;   in Loop: Header=BB43_9 Depth=1
	s_or_b64 exec, exec, s[2:3]
.LBB43_19:                              ;   in Loop: Header=BB43_9 Depth=1
	s_or_b64 exec, exec, s[0:1]
	v_cndmask_b32_e64 v0, 0, 1, s[40:41]
	v_cmp_gt_i64_e32 vcc, s[24:25], v[16:17]
	v_cmp_ne_u32_e64 s[0:1], 1, v0
	s_and_saveexec_b64 s[2:3], vcc
	s_cbranch_execz .LBB43_37
; %bb.20:                               ;   in Loop: Header=BB43_9 Depth=1
	s_and_b64 vcc, exec, s[0:1]
	s_cbranch_vccnz .LBB43_26
; %bb.21:                               ;   in Loop: Header=BB43_9 Depth=1
	s_andn2_b64 vcc, exec, s[42:43]
	s_cbranch_vccnz .LBB43_27
; %bb.22:                               ;   in Loop: Header=BB43_9 Depth=1
	s_mov_b32 s6, 0
	s_andn2_b64 vcc, exec, s[52:53]
	v_mov_b32_e32 v10, 0
	s_cbranch_vccnz .LBB43_28
; %bb.23:                               ;   in Loop: Header=BB43_9 Depth=1
	s_mov_b32 s69, 0
	v_mov_b32_e32 v10, 0
	s_mov_b64 s[58:59], s[34:35]
	s_mov_b64 s[60:61], s[44:45]
	v_mov_b32_e32 v0, v16
.LBB43_24:                              ;   Parent Loop BB43_9 Depth=1
                                        ; =>  This Inner Loop Header: Depth=2
	s_load_dwordx8 s[16:23], s[58:59], 0x4
	s_load_dwordx4 s[4:7], s[58:59], 0x24
	s_load_dwordx4 s[36:39], s[60:61], 0x0
	s_add_u32 s58, s58, 48
	s_addc_u32 s59, s59, 0
	s_waitcnt lgkmcnt(0)
	v_mul_hi_u32 v9, s17, v0
	v_add_u32_e32 v9, v0, v9
	v_lshrrev_b32_e32 v9, s18, v9
	v_mul_lo_u32 v11, v9, s16
	v_mul_hi_u32 v12, s20, v9
	v_sub_u32_e32 v0, v0, v11
	v_add_u32_e32 v11, v9, v12
	v_lshrrev_b32_e32 v11, s21, v11
	v_mul_lo_u32 v12, v11, s19
	v_mul_hi_u32 v13, s23, v11
	v_sub_u32_e32 v9, v9, v12
	v_add_u32_e32 v12, v11, v13
	v_mul_lo_u32 v0, v0, s36
	v_mul_lo_u32 v9, v9, s37
	v_lshrrev_b32_e32 v12, s4, v12
	v_add3_u32 v9, v0, v10, v9
	v_mul_lo_u32 v0, v12, s22
	v_mul_hi_u32 v10, s6, v12
	v_sub_u32_e32 v0, v11, v0
	v_add_u32_e32 v10, v12, v10
	v_mul_lo_u32 v11, v0, s38
	v_lshrrev_b32_e32 v0, s7, v10
	s_add_i32 s69, s69, 4
	v_mul_lo_u32 v10, v0, s5
	s_add_u32 s60, s60, 16
	v_sub_u32_e32 v10, v12, v10
	s_addc_u32 s61, s61, 0
	v_mul_lo_u32 v10, v10, s39
	s_cmp_lg_u32 s68, s69
	v_add3_u32 v10, v11, v9, v10
	s_cbranch_scc1 .LBB43_24
; %bb.25:                               ;   in Loop: Header=BB43_9 Depth=1
	s_mov_b32 s6, s68
	s_andn2_b64 vcc, exec, s[56:57]
	s_cbranch_vccz .LBB43_29
	s_branch .LBB43_31
.LBB43_26:                              ;   in Loop: Header=BB43_9 Depth=1
                                        ; implicit-def: $vgpr10
	s_branch .LBB43_32
.LBB43_27:                              ;   in Loop: Header=BB43_9 Depth=1
	v_mov_b32_e32 v10, 0
	s_branch .LBB43_31
.LBB43_28:                              ;   in Loop: Header=BB43_9 Depth=1
	v_mov_b32_e32 v0, v16
	s_andn2_b64 vcc, exec, s[56:57]
	s_cbranch_vccnz .LBB43_31
.LBB43_29:                              ;   in Loop: Header=BB43_9 Depth=1
	s_lshl_b32 s4, s6, 2
	s_add_u32 s4, s44, s4
	s_addc_u32 s5, s45, 0
	s_mul_i32 s6, s6, 12
	s_add_u32 s6, s34, s6
	s_addc_u32 s7, s35, 0
	s_mov_b32 s16, s67
.LBB43_30:                              ;   Parent Loop BB43_9 Depth=1
                                        ; =>  This Inner Loop Header: Depth=2
	s_load_dwordx2 s[18:19], s[6:7], 0x4
	s_load_dword s17, s[6:7], 0xc
	s_load_dword s20, s[4:5], 0x0
	s_add_u32 s6, s6, 12
	s_addc_u32 s7, s7, 0
	s_waitcnt lgkmcnt(0)
	v_mul_hi_u32 v9, s19, v0
	v_add_u32_e32 v9, v0, v9
	v_lshrrev_b32_e32 v9, s17, v9
	s_add_u32 s4, s4, 4
	v_mul_lo_u32 v11, v9, s18
	s_addc_u32 s5, s5, 0
	s_add_i32 s16, s16, -1
	v_sub_u32_e32 v11, v0, v11
	s_cmp_lg_u32 s16, 0
	v_mov_b32_e32 v0, v9
	v_mad_u64_u32 v[10:11], s[18:19], v11, s20, v[10:11]
	s_cbranch_scc1 .LBB43_30
.LBB43_31:                              ;   in Loop: Header=BB43_9 Depth=1
	s_cbranch_execnz .LBB43_34
.LBB43_32:                              ;   in Loop: Header=BB43_9 Depth=1
	v_mul_hi_u32 v0, v16, s10
	v_add_u32_e32 v0, v0, v16
	v_lshrrev_b32_e32 v0, s11, v0
	v_mul_lo_u32 v9, v0, s9
	v_sub_u32_e32 v9, v16, v9
	s_andn2_b64 vcc, exec, s[46:47]
	v_mul_lo_u32 v10, v9, s50
	s_cbranch_vccnz .LBB43_34
; %bb.33:                               ;   in Loop: Header=BB43_9 Depth=1
	v_mul_hi_u32 v9, s8, v0
	v_add_u32_e32 v9, v0, v9
	v_lshrrev_b32_e32 v9, s14, v9
	v_mul_lo_u32 v9, v9, s12
	v_sub_u32_e32 v0, v0, v9
	v_mad_u64_u32 v[10:11], s[4:5], v0, s51, v[10:11]
.LBB43_34:                              ;   in Loop: Header=BB43_9 Depth=1
	v_mov_b32_e32 v0, v2
	v_cmp_le_u64_e32 vcc, s[30:31], v[0:1]
	s_and_saveexec_b64 s[4:5], vcc
	s_cbranch_execz .LBB43_36
; %bb.35:                               ;   in Loop: Header=BB43_9 Depth=1
	v_cvt_f32_u32_e32 v2, s30
	s_sub_i32 s6, 0, s30
	v_rcp_iflag_f32_e32 v2, v2
	v_mul_f32_e32 v2, 0x4f7ffffe, v2
	v_cvt_u32_f32_e32 v2, v2
	v_mul_lo_u32 v9, s6, v2
	v_mul_hi_u32 v9, v2, v9
	v_add_u32_e32 v2, v2, v9
	v_mul_hi_u32 v2, v0, v2
	v_mul_lo_u32 v2, v2, s30
	v_sub_u32_e32 v0, v0, v2
	v_subrev_u32_e32 v2, s30, v0
	v_cmp_le_u32_e32 vcc, s30, v0
	v_cndmask_b32_e32 v0, v0, v2, vcc
	v_subrev_u32_e32 v2, s30, v0
	v_cmp_le_u32_e32 vcc, s30, v0
	v_cndmask_b32_e32 v0, v0, v2, vcc
.LBB43_36:                              ;   in Loop: Header=BB43_9 Depth=1
	s_or_b64 exec, exec, s[4:5]
	v_add_u32_e32 v0, s48, v0
	global_store_short v10, v0, s[28:29]
.LBB43_37:                              ;   in Loop: Header=BB43_9 Depth=1
	s_or_b64 exec, exec, s[2:3]
	v_mov_b32_e32 v0, s63
	v_add_co_u32_e32 v12, vcc, s33, v16
	v_addc_co_u32_e32 v13, vcc, v17, v0, vcc
	v_cmp_gt_i64_e32 vcc, s[24:25], v[12:13]
	s_and_saveexec_b64 s[2:3], vcc
	s_cbranch_execz .LBB43_55
; %bb.38:                               ;   in Loop: Header=BB43_9 Depth=1
	s_and_b64 vcc, exec, s[0:1]
	s_cbranch_vccnz .LBB43_44
; %bb.39:                               ;   in Loop: Header=BB43_9 Depth=1
	s_andn2_b64 vcc, exec, s[42:43]
	s_cbranch_vccnz .LBB43_45
; %bb.40:                               ;   in Loop: Header=BB43_9 Depth=1
	s_mov_b32 s6, 0
	s_andn2_b64 vcc, exec, s[52:53]
	v_mov_b32_e32 v10, 0
	s_cbranch_vccnz .LBB43_46
; %bb.41:                               ;   in Loop: Header=BB43_9 Depth=1
	s_mov_b32 s69, 0
	v_mov_b32_e32 v10, 0
	s_mov_b64 s[58:59], s[34:35]
	s_mov_b64 s[60:61], s[44:45]
	v_mov_b32_e32 v0, v12
.LBB43_42:                              ;   Parent Loop BB43_9 Depth=1
                                        ; =>  This Inner Loop Header: Depth=2
	s_load_dwordx8 s[16:23], s[58:59], 0x4
	s_load_dwordx4 s[4:7], s[58:59], 0x24
	s_load_dwordx4 s[36:39], s[60:61], 0x0
	s_add_u32 s58, s58, 48
	s_addc_u32 s59, s59, 0
	s_waitcnt lgkmcnt(0)
	v_mul_hi_u32 v2, s17, v0
	v_add_u32_e32 v2, v0, v2
	v_lshrrev_b32_e32 v2, s18, v2
	v_mul_lo_u32 v9, v2, s16
	v_mul_hi_u32 v11, s20, v2
	v_sub_u32_e32 v0, v0, v9
	v_add_u32_e32 v9, v2, v11
	v_lshrrev_b32_e32 v9, s21, v9
	v_mul_lo_u32 v11, v9, s19
	v_mul_hi_u32 v13, s23, v9
	v_sub_u32_e32 v2, v2, v11
	v_add_u32_e32 v11, v9, v13
	v_mul_lo_u32 v0, v0, s36
	v_mul_lo_u32 v2, v2, s37
	v_lshrrev_b32_e32 v11, s4, v11
	v_add3_u32 v2, v0, v10, v2
	v_mul_lo_u32 v0, v11, s22
	v_mul_hi_u32 v10, s6, v11
	v_sub_u32_e32 v0, v9, v0
	v_add_u32_e32 v9, v11, v10
	v_mul_lo_u32 v10, v0, s38
	v_lshrrev_b32_e32 v0, s7, v9
	s_add_i32 s69, s69, 4
	v_mul_lo_u32 v9, v0, s5
	s_add_u32 s60, s60, 16
	v_sub_u32_e32 v9, v11, v9
	s_addc_u32 s61, s61, 0
	v_mul_lo_u32 v9, v9, s39
	s_cmp_eq_u32 s68, s69
	v_add3_u32 v10, v10, v2, v9
	s_cbranch_scc0 .LBB43_42
; %bb.43:                               ;   in Loop: Header=BB43_9 Depth=1
	s_mov_b32 s6, s68
	s_andn2_b64 vcc, exec, s[56:57]
	s_cbranch_vccz .LBB43_47
	s_branch .LBB43_49
.LBB43_44:                              ;   in Loop: Header=BB43_9 Depth=1
                                        ; implicit-def: $vgpr10
	s_branch .LBB43_50
.LBB43_45:                              ;   in Loop: Header=BB43_9 Depth=1
	v_mov_b32_e32 v10, 0
	s_branch .LBB43_49
.LBB43_46:                              ;   in Loop: Header=BB43_9 Depth=1
	v_mov_b32_e32 v0, v12
	s_andn2_b64 vcc, exec, s[56:57]
	s_cbranch_vccnz .LBB43_49
.LBB43_47:                              ;   in Loop: Header=BB43_9 Depth=1
	s_lshl_b32 s4, s6, 2
	s_add_u32 s4, s44, s4
	s_addc_u32 s5, s45, 0
	s_mul_i32 s6, s6, 12
	s_add_u32 s6, s34, s6
	s_addc_u32 s7, s35, 0
	s_mov_b32 s16, s67
.LBB43_48:                              ;   Parent Loop BB43_9 Depth=1
                                        ; =>  This Inner Loop Header: Depth=2
	s_load_dwordx2 s[18:19], s[6:7], 0x4
	s_load_dword s17, s[6:7], 0xc
	s_load_dword s20, s[4:5], 0x0
	s_add_u32 s6, s6, 12
	s_addc_u32 s7, s7, 0
	s_waitcnt lgkmcnt(0)
	v_mul_hi_u32 v2, s19, v0
	v_add_u32_e32 v2, v0, v2
	v_lshrrev_b32_e32 v2, s17, v2
	s_add_u32 s4, s4, 4
	v_mul_lo_u32 v9, v2, s18
	s_addc_u32 s5, s5, 0
	s_add_i32 s16, s16, -1
	v_sub_u32_e32 v9, v0, v9
	s_cmp_lg_u32 s16, 0
	v_mov_b32_e32 v0, v2
	v_mad_u64_u32 v[10:11], s[18:19], v9, s20, v[10:11]
	s_cbranch_scc1 .LBB43_48
.LBB43_49:                              ;   in Loop: Header=BB43_9 Depth=1
	s_cbranch_execnz .LBB43_52
.LBB43_50:                              ;   in Loop: Header=BB43_9 Depth=1
	v_mul_hi_u32 v0, v12, s10
	v_add_u32_e32 v0, v0, v12
	v_lshrrev_b32_e32 v0, s11, v0
	v_mul_lo_u32 v2, v0, s9
	v_sub_u32_e32 v2, v12, v2
	s_andn2_b64 vcc, exec, s[46:47]
	v_mul_lo_u32 v10, v2, s50
	s_cbranch_vccnz .LBB43_52
; %bb.51:                               ;   in Loop: Header=BB43_9 Depth=1
	v_mul_hi_u32 v2, s8, v0
	v_add_u32_e32 v2, v0, v2
	v_lshrrev_b32_e32 v2, s14, v2
	v_mul_lo_u32 v2, v2, s12
	v_sub_u32_e32 v0, v0, v2
	v_mad_u64_u32 v[10:11], s[4:5], v0, s51, v[10:11]
.LBB43_52:                              ;   in Loop: Header=BB43_9 Depth=1
	v_mov_b32_e32 v0, v3
	v_cmp_le_u64_e32 vcc, s[30:31], v[0:1]
	s_and_saveexec_b64 s[4:5], vcc
	s_cbranch_execz .LBB43_54
; %bb.53:                               ;   in Loop: Header=BB43_9 Depth=1
	v_cvt_f32_u32_e32 v2, s30
	s_sub_i32 s6, 0, s30
	v_rcp_iflag_f32_e32 v2, v2
	v_mul_f32_e32 v2, 0x4f7ffffe, v2
	v_cvt_u32_f32_e32 v2, v2
	v_mul_lo_u32 v3, s6, v2
	v_mul_hi_u32 v3, v2, v3
	v_add_u32_e32 v2, v2, v3
	v_mul_hi_u32 v2, v0, v2
	v_mul_lo_u32 v2, v2, s30
	v_sub_u32_e32 v0, v0, v2
	v_subrev_u32_e32 v2, s30, v0
	v_cmp_le_u32_e32 vcc, s30, v0
	v_cndmask_b32_e32 v0, v0, v2, vcc
	v_subrev_u32_e32 v2, s30, v0
	v_cmp_le_u32_e32 vcc, s30, v0
	v_cndmask_b32_e32 v0, v0, v2, vcc
.LBB43_54:                              ;   in Loop: Header=BB43_9 Depth=1
	s_or_b64 exec, exec, s[4:5]
	v_add_u32_e32 v0, s48, v0
	global_store_short v10, v0, s[28:29]
.LBB43_55:                              ;   in Loop: Header=BB43_9 Depth=1
	s_or_b64 exec, exec, s[2:3]
	v_mov_b32_e32 v0, s15
	v_add_co_u32_e32 v10, vcc, s13, v16
	v_addc_co_u32_e32 v11, vcc, v17, v0, vcc
	v_cmp_gt_i64_e32 vcc, s[24:25], v[10:11]
	s_and_saveexec_b64 s[2:3], vcc
	s_cbranch_execz .LBB43_73
; %bb.56:                               ;   in Loop: Header=BB43_9 Depth=1
	s_and_b64 vcc, exec, s[0:1]
	s_cbranch_vccnz .LBB43_62
; %bb.57:                               ;   in Loop: Header=BB43_9 Depth=1
	s_andn2_b64 vcc, exec, s[42:43]
	s_cbranch_vccnz .LBB43_63
; %bb.58:                               ;   in Loop: Header=BB43_9 Depth=1
	s_mov_b32 s6, 0
	s_andn2_b64 vcc, exec, s[52:53]
	v_mov_b32_e32 v2, 0
	s_cbranch_vccnz .LBB43_64
; %bb.59:                               ;   in Loop: Header=BB43_9 Depth=1
	s_mov_b32 s69, 0
	v_mov_b32_e32 v2, 0
	s_mov_b64 s[58:59], s[34:35]
	s_mov_b64 s[60:61], s[44:45]
	v_mov_b32_e32 v0, v10
.LBB43_60:                              ;   Parent Loop BB43_9 Depth=1
                                        ; =>  This Inner Loop Header: Depth=2
	s_load_dwordx8 s[16:23], s[58:59], 0x4
	s_load_dwordx4 s[4:7], s[58:59], 0x24
	s_load_dwordx4 s[36:39], s[60:61], 0x0
	s_add_u32 s58, s58, 48
	s_addc_u32 s59, s59, 0
	s_waitcnt lgkmcnt(0)
	v_mul_hi_u32 v3, s17, v0
	v_add_u32_e32 v3, v0, v3
	v_lshrrev_b32_e32 v3, s18, v3
	v_mul_lo_u32 v9, v3, s16
	v_mul_hi_u32 v11, s20, v3
	v_sub_u32_e32 v0, v0, v9
	v_add_u32_e32 v9, v3, v11
	v_lshrrev_b32_e32 v9, s21, v9
	v_mul_lo_u32 v11, v9, s19
	v_mul_hi_u32 v12, s23, v9
	v_sub_u32_e32 v3, v3, v11
	v_add_u32_e32 v11, v9, v12
	v_mul_lo_u32 v0, v0, s36
	v_mul_lo_u32 v3, v3, s37
	v_lshrrev_b32_e32 v11, s4, v11
	v_add3_u32 v2, v0, v2, v3
	v_mul_lo_u32 v0, v11, s22
	v_mul_hi_u32 v3, s6, v11
	v_sub_u32_e32 v0, v9, v0
	v_add_u32_e32 v3, v11, v3
	v_mul_lo_u32 v9, v0, s38
	v_lshrrev_b32_e32 v0, s7, v3
	s_add_i32 s69, s69, 4
	v_mul_lo_u32 v3, v0, s5
	s_add_u32 s60, s60, 16
	v_sub_u32_e32 v3, v11, v3
	s_addc_u32 s61, s61, 0
	v_mul_lo_u32 v3, v3, s39
	s_cmp_eq_u32 s68, s69
	v_add3_u32 v2, v9, v2, v3
	s_cbranch_scc0 .LBB43_60
; %bb.61:                               ;   in Loop: Header=BB43_9 Depth=1
	s_mov_b32 s6, s68
	s_andn2_b64 vcc, exec, s[56:57]
	s_cbranch_vccz .LBB43_65
	s_branch .LBB43_67
.LBB43_62:                              ;   in Loop: Header=BB43_9 Depth=1
                                        ; implicit-def: $vgpr2
	s_branch .LBB43_68
.LBB43_63:                              ;   in Loop: Header=BB43_9 Depth=1
	v_mov_b32_e32 v2, 0
	s_branch .LBB43_67
.LBB43_64:                              ;   in Loop: Header=BB43_9 Depth=1
	v_mov_b32_e32 v0, v10
	s_andn2_b64 vcc, exec, s[56:57]
	s_cbranch_vccnz .LBB43_67
.LBB43_65:                              ;   in Loop: Header=BB43_9 Depth=1
	s_lshl_b32 s4, s6, 2
	s_add_u32 s4, s44, s4
	s_addc_u32 s5, s45, 0
	s_mul_i32 s6, s6, 12
	s_add_u32 s6, s34, s6
	s_addc_u32 s7, s35, 0
	s_mov_b32 s16, s67
.LBB43_66:                              ;   Parent Loop BB43_9 Depth=1
                                        ; =>  This Inner Loop Header: Depth=2
	s_load_dwordx2 s[18:19], s[6:7], 0x4
	s_load_dword s17, s[6:7], 0xc
	s_load_dword s20, s[4:5], 0x0
	s_add_u32 s6, s6, 12
	s_addc_u32 s7, s7, 0
	s_waitcnt lgkmcnt(0)
	v_mul_hi_u32 v3, s19, v0
	v_add_u32_e32 v3, v0, v3
	v_lshrrev_b32_e32 v3, s17, v3
	s_add_u32 s4, s4, 4
	v_mul_lo_u32 v9, v3, s18
	s_addc_u32 s5, s5, 0
	s_add_i32 s16, s16, -1
	v_sub_u32_e32 v9, v0, v9
	s_cmp_lg_u32 s16, 0
	v_mov_b32_e32 v0, v3
	v_mad_u64_u32 v[2:3], s[18:19], v9, s20, v[2:3]
	s_cbranch_scc1 .LBB43_66
.LBB43_67:                              ;   in Loop: Header=BB43_9 Depth=1
	s_cbranch_execnz .LBB43_70
.LBB43_68:                              ;   in Loop: Header=BB43_9 Depth=1
	v_mul_hi_u32 v0, v10, s10
	v_add_u32_e32 v0, v0, v10
	v_lshrrev_b32_e32 v0, s11, v0
	v_mul_lo_u32 v2, v0, s9
	v_sub_u32_e32 v2, v10, v2
	s_andn2_b64 vcc, exec, s[46:47]
	v_mul_lo_u32 v2, v2, s50
	s_cbranch_vccnz .LBB43_70
; %bb.69:                               ;   in Loop: Header=BB43_9 Depth=1
	v_mul_hi_u32 v3, s8, v0
	v_add_u32_e32 v3, v0, v3
	v_lshrrev_b32_e32 v3, s14, v3
	v_mul_lo_u32 v3, v3, s12
	v_sub_u32_e32 v0, v0, v3
	v_mad_u64_u32 v[2:3], s[4:5], v0, s51, v[2:3]
.LBB43_70:                              ;   in Loop: Header=BB43_9 Depth=1
	v_mov_b32_e32 v0, v4
	v_cmp_le_u64_e32 vcc, s[30:31], v[0:1]
	s_and_saveexec_b64 s[4:5], vcc
	s_cbranch_execz .LBB43_72
; %bb.71:                               ;   in Loop: Header=BB43_9 Depth=1
	v_cvt_f32_u32_e32 v3, s30
	s_sub_i32 s6, 0, s30
	v_rcp_iflag_f32_e32 v3, v3
	v_mul_f32_e32 v3, 0x4f7ffffe, v3
	v_cvt_u32_f32_e32 v3, v3
	v_mul_lo_u32 v4, s6, v3
	v_mul_hi_u32 v4, v3, v4
	v_add_u32_e32 v3, v3, v4
	v_mul_hi_u32 v3, v0, v3
	v_mul_lo_u32 v3, v3, s30
	v_sub_u32_e32 v0, v0, v3
	v_subrev_u32_e32 v3, s30, v0
	v_cmp_le_u32_e32 vcc, s30, v0
	v_cndmask_b32_e32 v0, v0, v3, vcc
	v_subrev_u32_e32 v3, s30, v0
	v_cmp_le_u32_e32 vcc, s30, v0
	v_cndmask_b32_e32 v0, v0, v3, vcc
.LBB43_72:                              ;   in Loop: Header=BB43_9 Depth=1
	s_or_b64 exec, exec, s[4:5]
	v_add_u32_e32 v0, s48, v0
	global_store_short v2, v0, s[28:29]
.LBB43_73:                              ;   in Loop: Header=BB43_9 Depth=1
	s_or_b64 exec, exec, s[2:3]
	v_mov_b32_e32 v0, s66
	v_add_co_u32_e32 v10, vcc, s49, v16
	v_addc_co_u32_e32 v11, vcc, v17, v0, vcc
	v_cmp_gt_i64_e32 vcc, s[24:25], v[10:11]
	s_and_saveexec_b64 s[36:37], vcc
	s_cbranch_execz .LBB43_8
; %bb.74:                               ;   in Loop: Header=BB43_9 Depth=1
	s_and_b64 vcc, exec, s[0:1]
	s_cbranch_vccnz .LBB43_80
; %bb.75:                               ;   in Loop: Header=BB43_9 Depth=1
	s_andn2_b64 vcc, exec, s[42:43]
	s_cbranch_vccnz .LBB43_81
; %bb.76:                               ;   in Loop: Header=BB43_9 Depth=1
	s_mov_b32 s2, 0
	s_andn2_b64 vcc, exec, s[52:53]
	v_mov_b32_e32 v2, 0
	s_cbranch_vccnz .LBB43_82
; %bb.77:                               ;   in Loop: Header=BB43_9 Depth=1
	s_mov_b32 s60, 0
	v_mov_b32_e32 v2, 0
	s_mov_b64 s[38:39], s[34:35]
	s_mov_b64 s[58:59], s[44:45]
	v_mov_b32_e32 v0, v10
.LBB43_78:                              ;   Parent Loop BB43_9 Depth=1
                                        ; =>  This Inner Loop Header: Depth=2
	s_load_dwordx8 s[0:7], s[38:39], 0x4
	s_load_dwordx4 s[16:19], s[38:39], 0x24
	s_load_dwordx4 s[20:23], s[58:59], 0x0
	s_add_u32 s38, s38, 48
	s_addc_u32 s39, s39, 0
	s_waitcnt lgkmcnt(0)
	v_mul_hi_u32 v3, s1, v0
	v_add_u32_e32 v3, v0, v3
	v_lshrrev_b32_e32 v3, s2, v3
	v_mul_lo_u32 v4, v3, s0
	v_mul_hi_u32 v9, s4, v3
	v_sub_u32_e32 v0, v0, v4
	v_add_u32_e32 v4, v3, v9
	v_lshrrev_b32_e32 v4, s5, v4
	v_mul_lo_u32 v9, v4, s3
	v_mul_hi_u32 v11, s7, v4
	v_sub_u32_e32 v3, v3, v9
	v_add_u32_e32 v9, v4, v11
	v_mul_lo_u32 v0, v0, s20
	v_mul_lo_u32 v3, v3, s21
	v_lshrrev_b32_e32 v9, s16, v9
	v_add3_u32 v2, v0, v2, v3
	v_mul_lo_u32 v0, v9, s6
	v_mul_hi_u32 v3, s18, v9
	v_sub_u32_e32 v0, v4, v0
	v_add_u32_e32 v3, v9, v3
	v_mul_lo_u32 v4, v0, s22
	v_lshrrev_b32_e32 v0, s19, v3
	s_add_i32 s60, s60, 4
	v_mul_lo_u32 v3, v0, s17
	s_add_u32 s58, s58, 16
	v_sub_u32_e32 v3, v9, v3
	s_addc_u32 s59, s59, 0
	v_mul_lo_u32 v3, v3, s23
	s_cmp_eq_u32 s68, s60
	v_add3_u32 v2, v4, v2, v3
	s_cbranch_scc0 .LBB43_78
; %bb.79:                               ;   in Loop: Header=BB43_9 Depth=1
	s_mov_b32 s2, s68
	s_andn2_b64 vcc, exec, s[56:57]
	s_cbranch_vccz .LBB43_83
	s_branch .LBB43_85
.LBB43_80:                              ;   in Loop: Header=BB43_9 Depth=1
                                        ; implicit-def: $vgpr2
	s_branch .LBB43_86
.LBB43_81:                              ;   in Loop: Header=BB43_9 Depth=1
	v_mov_b32_e32 v2, 0
	s_branch .LBB43_85
.LBB43_82:                              ;   in Loop: Header=BB43_9 Depth=1
	v_mov_b32_e32 v0, v10
	s_andn2_b64 vcc, exec, s[56:57]
	s_cbranch_vccnz .LBB43_85
.LBB43_83:                              ;   in Loop: Header=BB43_9 Depth=1
	s_lshl_b32 s0, s2, 2
	s_add_u32 s0, s44, s0
	s_addc_u32 s1, s45, 0
	s_mul_i32 s2, s2, 12
	s_add_u32 s2, s34, s2
	s_addc_u32 s3, s35, 0
	s_mov_b32 s4, s67
.LBB43_84:                              ;   Parent Loop BB43_9 Depth=1
                                        ; =>  This Inner Loop Header: Depth=2
	s_load_dwordx2 s[6:7], s[2:3], 0x4
	s_load_dword s5, s[2:3], 0xc
	s_load_dword s16, s[0:1], 0x0
	s_add_u32 s2, s2, 12
	s_addc_u32 s3, s3, 0
	s_waitcnt lgkmcnt(0)
	v_mul_hi_u32 v3, s7, v0
	v_add_u32_e32 v3, v0, v3
	v_lshrrev_b32_e32 v3, s5, v3
	s_add_u32 s0, s0, 4
	v_mul_lo_u32 v4, v3, s6
	s_addc_u32 s1, s1, 0
	s_add_i32 s4, s4, -1
	v_sub_u32_e32 v4, v0, v4
	s_cmp_lg_u32 s4, 0
	v_mov_b32_e32 v0, v3
	v_mad_u64_u32 v[2:3], s[6:7], v4, s16, v[2:3]
	s_cbranch_scc1 .LBB43_84
.LBB43_85:                              ;   in Loop: Header=BB43_9 Depth=1
	s_cbranch_execnz .LBB43_88
.LBB43_86:                              ;   in Loop: Header=BB43_9 Depth=1
	v_mul_hi_u32 v0, v10, s10
	v_add_u32_e32 v0, v0, v10
	v_lshrrev_b32_e32 v0, s11, v0
	v_mul_lo_u32 v2, v0, s9
	v_sub_u32_e32 v2, v10, v2
	s_andn2_b64 vcc, exec, s[46:47]
	v_mul_lo_u32 v2, v2, s50
	s_cbranch_vccnz .LBB43_88
; %bb.87:                               ;   in Loop: Header=BB43_9 Depth=1
	v_mul_hi_u32 v3, s8, v0
	v_add_u32_e32 v3, v0, v3
	v_lshrrev_b32_e32 v3, s14, v3
	v_mul_lo_u32 v3, v3, s12
	v_sub_u32_e32 v0, v0, v3
	v_mad_u64_u32 v[2:3], s[0:1], v0, s51, v[2:3]
.LBB43_88:                              ;   in Loop: Header=BB43_9 Depth=1
	v_mov_b32_e32 v0, v5
	v_cmp_le_u64_e32 vcc, s[30:31], v[0:1]
	s_and_saveexec_b64 s[0:1], vcc
	s_cbranch_execz .LBB43_7
; %bb.89:                               ;   in Loop: Header=BB43_9 Depth=1
	v_cvt_f32_u32_e32 v3, s30
	s_sub_i32 s2, 0, s30
	v_rcp_iflag_f32_e32 v3, v3
	v_mul_f32_e32 v3, 0x4f7ffffe, v3
	v_cvt_u32_f32_e32 v3, v3
	v_mul_lo_u32 v4, s2, v3
	v_mul_hi_u32 v4, v3, v4
	v_add_u32_e32 v3, v3, v4
	v_mul_hi_u32 v3, v0, v3
	v_mul_lo_u32 v3, v3, s30
	v_sub_u32_e32 v0, v0, v3
	v_subrev_u32_e32 v3, s30, v0
	v_cmp_le_u32_e32 vcc, s30, v0
	v_cndmask_b32_e32 v0, v0, v3, vcc
	v_subrev_u32_e32 v3, s30, v0
	v_cmp_le_u32_e32 vcc, s30, v0
	v_cndmask_b32_e32 v0, v0, v3, vcc
	s_branch .LBB43_7
.LBB43_90:
	s_endpgm
.LBB43_91:
                                        ; implicit-def: $sgpr2_sgpr3
	s_andn2_b64 vcc, exec, s[0:1]
	s_cbranch_vccz .LBB43_4
	s_branch .LBB43_5
	.section	.rodata,"a",@progbits
	.p2align	6, 0x0
	.amdhsa_kernel _ZN2at6native12_GLOBAL__N_143distribution_elementwise_grid_stride_kernelIjLi4EZZZNS0_9templates4cuda21random_from_to_kernelIPNS_17CUDAGeneratorImplEEEvRNS_18TensorIteratorBaseEmlT_ENKUlvE_clEvENKUlvE9_clEvEUlP25hiprandStatePhilox4_32_10E0_ZNS1_27distribution_nullary_kernelItj15HIP_vector_typeIjLj4EES7_SF_ZZZNS5_IS7_EEvS9_mlSA_ENKSB_clEvENKSC_clEvEUljE_EEvS9_T2_RKT3_T4_EUlijE0_EEvlNS_15PhiloxCudaStateET1_SK_
		.amdhsa_group_segment_fixed_size 0
		.amdhsa_private_segment_fixed_size 0
		.amdhsa_kernarg_size 592
		.amdhsa_user_sgpr_count 6
		.amdhsa_user_sgpr_private_segment_buffer 1
		.amdhsa_user_sgpr_dispatch_ptr 0
		.amdhsa_user_sgpr_queue_ptr 0
		.amdhsa_user_sgpr_kernarg_segment_ptr 1
		.amdhsa_user_sgpr_dispatch_id 0
		.amdhsa_user_sgpr_flat_scratch_init 0
		.amdhsa_user_sgpr_kernarg_preload_length 0
		.amdhsa_user_sgpr_kernarg_preload_offset 0
		.amdhsa_user_sgpr_private_segment_size 0
		.amdhsa_uses_dynamic_stack 0
		.amdhsa_system_sgpr_private_segment_wavefront_offset 0
		.amdhsa_system_sgpr_workgroup_id_x 1
		.amdhsa_system_sgpr_workgroup_id_y 0
		.amdhsa_system_sgpr_workgroup_id_z 0
		.amdhsa_system_sgpr_workgroup_info 0
		.amdhsa_system_vgpr_workitem_id 0
		.amdhsa_next_free_vgpr 43
		.amdhsa_next_free_sgpr 70
		.amdhsa_accum_offset 44
		.amdhsa_reserve_vcc 1
		.amdhsa_reserve_flat_scratch 0
		.amdhsa_float_round_mode_32 0
		.amdhsa_float_round_mode_16_64 0
		.amdhsa_float_denorm_mode_32 3
		.amdhsa_float_denorm_mode_16_64 3
		.amdhsa_dx10_clamp 1
		.amdhsa_ieee_mode 1
		.amdhsa_fp16_overflow 0
		.amdhsa_tg_split 0
		.amdhsa_exception_fp_ieee_invalid_op 0
		.amdhsa_exception_fp_denorm_src 0
		.amdhsa_exception_fp_ieee_div_zero 0
		.amdhsa_exception_fp_ieee_overflow 0
		.amdhsa_exception_fp_ieee_underflow 0
		.amdhsa_exception_fp_ieee_inexact 0
		.amdhsa_exception_int_div_zero 0
	.end_amdhsa_kernel
	.section	.text._ZN2at6native12_GLOBAL__N_143distribution_elementwise_grid_stride_kernelIjLi4EZZZNS0_9templates4cuda21random_from_to_kernelIPNS_17CUDAGeneratorImplEEEvRNS_18TensorIteratorBaseEmlT_ENKUlvE_clEvENKUlvE9_clEvEUlP25hiprandStatePhilox4_32_10E0_ZNS1_27distribution_nullary_kernelItj15HIP_vector_typeIjLj4EES7_SF_ZZZNS5_IS7_EEvS9_mlSA_ENKSB_clEvENKSC_clEvEUljE_EEvS9_T2_RKT3_T4_EUlijE0_EEvlNS_15PhiloxCudaStateET1_SK_,"axG",@progbits,_ZN2at6native12_GLOBAL__N_143distribution_elementwise_grid_stride_kernelIjLi4EZZZNS0_9templates4cuda21random_from_to_kernelIPNS_17CUDAGeneratorImplEEEvRNS_18TensorIteratorBaseEmlT_ENKUlvE_clEvENKUlvE9_clEvEUlP25hiprandStatePhilox4_32_10E0_ZNS1_27distribution_nullary_kernelItj15HIP_vector_typeIjLj4EES7_SF_ZZZNS5_IS7_EEvS9_mlSA_ENKSB_clEvENKSC_clEvEUljE_EEvS9_T2_RKT3_T4_EUlijE0_EEvlNS_15PhiloxCudaStateET1_SK_,comdat
.Lfunc_end43:
	.size	_ZN2at6native12_GLOBAL__N_143distribution_elementwise_grid_stride_kernelIjLi4EZZZNS0_9templates4cuda21random_from_to_kernelIPNS_17CUDAGeneratorImplEEEvRNS_18TensorIteratorBaseEmlT_ENKUlvE_clEvENKUlvE9_clEvEUlP25hiprandStatePhilox4_32_10E0_ZNS1_27distribution_nullary_kernelItj15HIP_vector_typeIjLj4EES7_SF_ZZZNS5_IS7_EEvS9_mlSA_ENKSB_clEvENKSC_clEvEUljE_EEvS9_T2_RKT3_T4_EUlijE0_EEvlNS_15PhiloxCudaStateET1_SK_, .Lfunc_end43-_ZN2at6native12_GLOBAL__N_143distribution_elementwise_grid_stride_kernelIjLi4EZZZNS0_9templates4cuda21random_from_to_kernelIPNS_17CUDAGeneratorImplEEEvRNS_18TensorIteratorBaseEmlT_ENKUlvE_clEvENKUlvE9_clEvEUlP25hiprandStatePhilox4_32_10E0_ZNS1_27distribution_nullary_kernelItj15HIP_vector_typeIjLj4EES7_SF_ZZZNS5_IS7_EEvS9_mlSA_ENKSB_clEvENKSC_clEvEUljE_EEvS9_T2_RKT3_T4_EUlijE0_EEvlNS_15PhiloxCudaStateET1_SK_
                                        ; -- End function
	.section	.AMDGPU.csdata,"",@progbits
; Kernel info:
; codeLenInByte = 4756
; NumSgprs: 74
; NumVgprs: 43
; NumAgprs: 0
; TotalNumVgprs: 43
; ScratchSize: 0
; MemoryBound: 0
; FloatMode: 240
; IeeeMode: 1
; LDSByteSize: 0 bytes/workgroup (compile time only)
; SGPRBlocks: 9
; VGPRBlocks: 5
; NumSGPRsForWavesPerEU: 74
; NumVGPRsForWavesPerEU: 43
; AccumOffset: 44
; Occupancy: 8
; WaveLimiterHint : 1
; COMPUTE_PGM_RSRC2:SCRATCH_EN: 0
; COMPUTE_PGM_RSRC2:USER_SGPR: 6
; COMPUTE_PGM_RSRC2:TRAP_HANDLER: 0
; COMPUTE_PGM_RSRC2:TGID_X_EN: 1
; COMPUTE_PGM_RSRC2:TGID_Y_EN: 0
; COMPUTE_PGM_RSRC2:TGID_Z_EN: 0
; COMPUTE_PGM_RSRC2:TIDIG_COMP_CNT: 0
; COMPUTE_PGM_RSRC3_GFX90A:ACCUM_OFFSET: 10
; COMPUTE_PGM_RSRC3_GFX90A:TG_SPLIT: 0
	.section	.text._ZN2at6native12_GLOBAL__N_143distribution_elementwise_grid_stride_kernelImLi2EZZZNS0_9templates4cuda21random_from_to_kernelIPNS_17CUDAGeneratorImplEEEvRNS_18TensorIteratorBaseEmlT_ENKUlvE_clEvENKUlvE10_clEvEUlP25hiprandStatePhilox4_32_10E_ZNS1_27distribution_nullary_kernelIjm15HIP_vector_typeIyLj2EES7_SF_ZZZNS5_IS7_EEvS9_mlSA_ENKSB_clEvENKSC_clEvEUlmE_EEvS9_T2_RKT3_T4_EUlimE_EEvlNS_15PhiloxCudaStateET1_SK_,"axG",@progbits,_ZN2at6native12_GLOBAL__N_143distribution_elementwise_grid_stride_kernelImLi2EZZZNS0_9templates4cuda21random_from_to_kernelIPNS_17CUDAGeneratorImplEEEvRNS_18TensorIteratorBaseEmlT_ENKUlvE_clEvENKUlvE10_clEvEUlP25hiprandStatePhilox4_32_10E_ZNS1_27distribution_nullary_kernelIjm15HIP_vector_typeIyLj2EES7_SF_ZZZNS5_IS7_EEvS9_mlSA_ENKSB_clEvENKSC_clEvEUlmE_EEvS9_T2_RKT3_T4_EUlimE_EEvlNS_15PhiloxCudaStateET1_SK_,comdat
	.globl	_ZN2at6native12_GLOBAL__N_143distribution_elementwise_grid_stride_kernelImLi2EZZZNS0_9templates4cuda21random_from_to_kernelIPNS_17CUDAGeneratorImplEEEvRNS_18TensorIteratorBaseEmlT_ENKUlvE_clEvENKUlvE10_clEvEUlP25hiprandStatePhilox4_32_10E_ZNS1_27distribution_nullary_kernelIjm15HIP_vector_typeIyLj2EES7_SF_ZZZNS5_IS7_EEvS9_mlSA_ENKSB_clEvENKSC_clEvEUlmE_EEvS9_T2_RKT3_T4_EUlimE_EEvlNS_15PhiloxCudaStateET1_SK_ ; -- Begin function _ZN2at6native12_GLOBAL__N_143distribution_elementwise_grid_stride_kernelImLi2EZZZNS0_9templates4cuda21random_from_to_kernelIPNS_17CUDAGeneratorImplEEEvRNS_18TensorIteratorBaseEmlT_ENKUlvE_clEvENKUlvE10_clEvEUlP25hiprandStatePhilox4_32_10E_ZNS1_27distribution_nullary_kernelIjm15HIP_vector_typeIyLj2EES7_SF_ZZZNS5_IS7_EEvS9_mlSA_ENKSB_clEvENKSC_clEvEUlmE_EEvS9_T2_RKT3_T4_EUlimE_EEvlNS_15PhiloxCudaStateET1_SK_
	.p2align	8
	.type	_ZN2at6native12_GLOBAL__N_143distribution_elementwise_grid_stride_kernelImLi2EZZZNS0_9templates4cuda21random_from_to_kernelIPNS_17CUDAGeneratorImplEEEvRNS_18TensorIteratorBaseEmlT_ENKUlvE_clEvENKUlvE10_clEvEUlP25hiprandStatePhilox4_32_10E_ZNS1_27distribution_nullary_kernelIjm15HIP_vector_typeIyLj2EES7_SF_ZZZNS5_IS7_EEvS9_mlSA_ENKSB_clEvENKSC_clEvEUlmE_EEvS9_T2_RKT3_T4_EUlimE_EEvlNS_15PhiloxCudaStateET1_SK_,@function
_ZN2at6native12_GLOBAL__N_143distribution_elementwise_grid_stride_kernelImLi2EZZZNS0_9templates4cuda21random_from_to_kernelIPNS_17CUDAGeneratorImplEEEvRNS_18TensorIteratorBaseEmlT_ENKUlvE_clEvENKUlvE10_clEvEUlP25hiprandStatePhilox4_32_10E_ZNS1_27distribution_nullary_kernelIjm15HIP_vector_typeIyLj2EES7_SF_ZZZNS5_IS7_EEvS9_mlSA_ENKSB_clEvENKSC_clEvEUlmE_EEvS9_T2_RKT3_T4_EUlimE_EEvlNS_15PhiloxCudaStateET1_SK_: ; @_ZN2at6native12_GLOBAL__N_143distribution_elementwise_grid_stride_kernelImLi2EZZZNS0_9templates4cuda21random_from_to_kernelIPNS_17CUDAGeneratorImplEEEvRNS_18TensorIteratorBaseEmlT_ENKUlvE_clEvENKUlvE10_clEvEUlP25hiprandStatePhilox4_32_10E_ZNS1_27distribution_nullary_kernelIjm15HIP_vector_typeIyLj2EES7_SF_ZZZNS5_IS7_EEvS9_mlSA_ENKSB_clEvENKSC_clEvEUlmE_EEvS9_T2_RKT3_T4_EUlimE_EEvlNS_15PhiloxCudaStateET1_SK_
; %bb.0:
	s_load_dword s2, s[4:5], 0x20
	s_load_dwordx2 s[0:1], s[4:5], 0x10
	s_load_dwordx4 s[8:11], s[4:5], 0x0
	s_waitcnt lgkmcnt(0)
	s_bitcmp0_b32 s2, 0
	s_mov_b32 s2, 0
	v_pk_mov_b32 v[2:3], s[0:1], s[0:1] op_sel:[0,1]
	v_pk_mov_b32 v[14:15], s[10:11], s[10:11] op_sel:[0,1]
	s_cbranch_scc1 .LBB44_2
; %bb.1:
	v_pk_mov_b32 v[2:3], s[0:1], s[0:1] op_sel:[0,1]
	flat_load_dwordx2 v[2:3], v[2:3]
	v_pk_mov_b32 v[4:5], s[10:11], s[10:11] op_sel:[0,1]
	flat_load_dwordx2 v[14:15], v[4:5]
	s_load_dwordx2 s[0:1], s[4:5], 0x18
	s_waitcnt lgkmcnt(0)
	v_mov_b32_e32 v1, s1
	s_waitcnt vmcnt(0)
	v_add_co_u32_e32 v2, vcc, s0, v2
	v_addc_co_u32_e32 v3, vcc, v3, v1, vcc
.LBB44_2:
	s_load_dword s0, s[4:5], 0x5c
	s_load_dword s16, s[4:5], 0x50
	s_waitcnt lgkmcnt(0)
	s_and_b32 s7, s0, 0xffff
	s_add_u32 s10, s8, -1
	s_mul_i32 s18, s16, s7
	s_addc_u32 s3, s9, -1
	s_lshl_b32 s19, s18, 1
	s_cmp_lg_u64 s[2:3], 0
	s_mov_b64 s[0:1], -1
	s_cbranch_scc0 .LBB44_31
; %bb.3:
	v_cvt_f32_u32_e32 v1, s19
	v_cvt_f32_ubyte0_e32 v4, 0
	s_sub_u32 s2, 0, s19
	s_subb_u32 s11, 0, 0
	v_madmk_f32 v1, v4, 0x4f800000, v1
	v_rcp_f32_e32 v1, v1
	v_mul_f32_e32 v1, 0x5f7ffffc, v1
	v_mul_f32_e32 v4, 0x2f800000, v1
	v_trunc_f32_e32 v4, v4
	v_madmk_f32 v1, v4, 0xcf800000, v1
	v_cvt_u32_f32_e32 v4, v4
	v_cvt_u32_f32_e32 v1, v1
	v_readfirstlane_b32 s12, v4
	v_readfirstlane_b32 s13, v1
	s_mul_i32 s14, s2, s12
	s_mul_hi_u32 s17, s2, s13
	s_mul_i32 s15, s11, s13
	s_add_i32 s14, s17, s14
	s_add_i32 s14, s14, s15
	s_mul_i32 s20, s2, s13
	s_mul_hi_u32 s15, s13, s14
	s_mul_i32 s17, s13, s14
	s_mul_hi_u32 s13, s13, s20
	s_add_u32 s13, s13, s17
	s_addc_u32 s15, 0, s15
	s_mul_hi_u32 s21, s12, s20
	s_mul_i32 s20, s12, s20
	s_add_u32 s13, s13, s20
	s_mul_hi_u32 s17, s12, s14
	s_addc_u32 s13, s15, s21
	s_addc_u32 s15, s17, 0
	s_mul_i32 s14, s12, s14
	s_add_u32 s13, s13, s14
	s_addc_u32 s14, 0, s15
	v_add_co_u32_e32 v1, vcc, s13, v1
	s_cmp_lg_u64 vcc, 0
	s_addc_u32 s12, s12, s14
	v_readfirstlane_b32 s14, v1
	s_mul_i32 s13, s2, s12
	s_mul_hi_u32 s15, s2, s14
	s_add_i32 s13, s15, s13
	s_mul_i32 s11, s11, s14
	s_add_i32 s13, s13, s11
	s_mul_i32 s2, s2, s14
	s_mul_hi_u32 s15, s12, s2
	s_mul_i32 s17, s12, s2
	s_mul_i32 s21, s14, s13
	s_mul_hi_u32 s2, s14, s2
	s_mul_hi_u32 s20, s14, s13
	s_add_u32 s2, s2, s21
	s_addc_u32 s14, 0, s20
	s_add_u32 s2, s2, s17
	s_mul_hi_u32 s11, s12, s13
	s_addc_u32 s2, s14, s15
	s_addc_u32 s11, s11, 0
	s_mul_i32 s13, s12, s13
	s_add_u32 s2, s2, s13
	s_addc_u32 s11, 0, s11
	v_add_co_u32_e32 v1, vcc, s2, v1
	s_cmp_lg_u64 vcc, 0
	s_addc_u32 s11, s12, s11
	s_ashr_i32 s12, s3, 31
	s_add_u32 s2, s10, s12
	s_mov_b32 s13, s12
	s_addc_u32 s3, s3, s12
	s_xor_b64 s[2:3], s[2:3], s[12:13]
	v_readfirstlane_b32 s17, v1
	s_mul_i32 s15, s2, s11
	s_mul_hi_u32 s20, s2, s17
	s_mul_hi_u32 s14, s2, s11
	s_add_u32 s15, s20, s15
	s_addc_u32 s14, 0, s14
	s_mul_hi_u32 s21, s3, s17
	s_mul_i32 s17, s3, s17
	s_add_u32 s15, s15, s17
	s_mul_hi_u32 s20, s3, s11
	s_addc_u32 s14, s14, s21
	s_addc_u32 s15, s20, 0
	s_mul_i32 s11, s3, s11
	s_add_u32 s11, s14, s11
	s_addc_u32 s14, 0, s15
	s_add_u32 s15, s11, 1
	s_addc_u32 s17, s14, 0
	s_add_u32 s20, s11, 2
	s_mul_i32 s22, s19, s14
	s_mul_hi_u32 s23, s19, s11
	s_addc_u32 s21, s14, 0
	s_add_i32 s23, s23, s22
	s_mul_i32 s22, s19, s11
	v_mov_b32_e32 v1, s22
	v_sub_co_u32_e32 v1, vcc, s2, v1
	s_cmp_lg_u64 vcc, 0
	s_subb_u32 s2, s3, s23
	v_subrev_co_u32_e32 v4, vcc, s19, v1
	s_cmp_lg_u64 vcc, 0
	s_subb_u32 s3, s2, 0
	v_readfirstlane_b32 s22, v4
	s_cmp_ge_u32 s22, s19
	s_cselect_b32 s22, -1, 0
	s_cmp_eq_u32 s3, 0
	s_cselect_b32 s3, s22, -1
	s_cmp_lg_u32 s3, 0
	s_cselect_b32 s3, s21, s17
	v_readfirstlane_b32 s17, v1
	s_cselect_b32 s15, s20, s15
	s_cmp_ge_u32 s17, s19
	s_cselect_b32 s17, -1, 0
	s_cmp_eq_u32 s2, 0
	s_cselect_b32 s2, s17, -1
	s_cmp_lg_u32 s2, 0
	s_cselect_b32 s3, s3, s14
	s_cselect_b32 s2, s15, s11
	s_xor_b64 s[2:3], s[2:3], s[12:13]
	s_sub_u32 s2, s2, s12
	s_subb_u32 s3, s3, s12
	s_cbranch_execnz .LBB44_5
.LBB44_4:
	v_cvt_f32_u32_e32 v1, s19
	s_sub_i32 s0, 0, s19
	s_mov_b32 s3, 0
	v_rcp_iflag_f32_e32 v1, v1
	v_mul_f32_e32 v1, 0x4f7ffffe, v1
	v_cvt_u32_f32_e32 v1, v1
	v_readfirstlane_b32 s1, v1
	s_mul_i32 s0, s0, s1
	s_mul_hi_u32 s0, s1, s0
	s_add_i32 s1, s1, s0
	s_mul_hi_u32 s0, s10, s1
	s_mul_i32 s2, s0, s19
	s_sub_i32 s2, s10, s2
	s_add_i32 s1, s0, 1
	s_sub_i32 s10, s2, s19
	s_cmp_ge_u32 s2, s19
	s_cselect_b32 s0, s1, s0
	s_cselect_b32 s2, s10, s2
	s_add_i32 s1, s0, 1
	s_cmp_ge_u32 s2, s19
	s_cselect_b32 s2, s1, s0
.LBB44_5:
	v_mov_b32_e32 v16, 0
	v_mov_b32_e32 v1, v16
	;; [unrolled: 1-line block ×3, first 2 shown]
	v_mad_u64_u32 v[18:19], s[0:1], s7, v4, v[0:1]
	s_add_u32 s0, s2, 1
	s_addc_u32 s1, s3, 0
	s_mul_hi_u32 s2, s16, s7
	s_mul_i32 s1, s18, s1
	s_mul_hi_u32 s3, s18, s0
	s_add_i32 s1, s3, s1
	s_mul_i32 s2, s2, s0
	s_add_i32 s1, s1, s2
	s_mul_i32 s0, s18, s0
	s_lshl_b64 s[2:3], s[0:1], 1
	v_cmp_gt_i64_e32 vcc, s[2:3], v[18:19]
	s_and_saveexec_b64 s[0:1], vcc
	s_cbranch_execz .LBB44_30
; %bb.6:
	v_mov_b32_e32 v4, v15
	s_mov_b32 s0, 0xdb3d7428
	v_add_co_u32_e32 v23, vcc, s0, v4
	s_mov_b32 s0, 0x5384540f
	v_add_co_u32_e32 v24, vcc, s0, v14
	;; [unrolled: 2-line block ×7, first 2 shown]
	s_mov_b32 s0, 0x9e3779b9
	v_alignbit_b32 v31, v3, v2, 2
	s_mov_b32 s20, 0xd2511f53
	v_add_co_u32_e32 v30, vcc, s0, v14
	v_mad_u64_u32 v[6:7], s[0:1], v31, s20, 0
	v_xor_b32_e32 v1, v7, v15
	v_xor_b32_e32 v1, v1, v19
	s_mov_b32 s21, 0xcd9e8d57
	v_mad_u64_u32 v[8:9], s[0:1], v1, s21, 0
	v_xor_b32_e32 v1, v30, v9
	v_mad_u64_u32 v[10:11], s[0:1], v18, s21, 0
	v_and_b32_e32 v20, 3, v2
	v_xor_b32_e32 v1, v1, v10
	v_xor_b32_e32 v2, v14, v11
	v_lshrrev_b32_e32 v32, 2, v3
	v_mad_u64_u32 v[12:13], s[0:1], v1, s20, 0
	v_xor_b32_e32 v2, v2, v32
	v_xor_b32_e32 v1, v29, v13
	v_mad_u64_u32 v[2:3], s[0:1], v2, s20, 0
	v_xor_b32_e32 v1, v1, v2
	v_mad_u64_u32 v[10:11], s[0:1], v1, s21, 0
	s_mov_b32 s0, 0xbb67ae85
	v_add_co_u32_e32 v33, vcc, s0, v4
	v_xor_b32_e32 v2, v33, v3
	v_xor_b32_e32 v2, v2, v6
	v_xor_b32_e32 v1, v28, v11
	v_mad_u64_u32 v[2:3], s[0:1], v2, s21, 0
	v_xor_b32_e32 v1, v1, v2
	v_mad_u64_u32 v[6:7], s[0:1], v1, s20, 0
	s_mov_b32 s0, 0x3c6ef372
	v_add_co_u32_e32 v34, vcc, s0, v14
	v_xor_b32_e32 v2, v34, v3
	;; [unrolled: 8-line block ×7, first 2 shown]
	v_xor_b32_e32 v1, v1, v12
	v_mad_u64_u32 v[2:3], s[0:1], v1, s21, 0
	s_mov_b32 s0, 0xf1bbcdc8
	v_add_u32_e32 v21, 0x8ff34781, v14
	v_xor_b32_e32 v1, v9, v2
	v_add_co_u32_e32 v40, vcc, s0, v14
	s_load_dwordx2 s[10:11], s[4:5], 0x30
	s_load_dword s17, s[4:5], 0x38
	s_load_dwordx4 s[12:15], s[4:5], 0x40
	v_xor_b32_e32 v2, v21, v1
	v_xor_b32_e32 v1, v40, v3
	;; [unrolled: 1-line block ×3, first 2 shown]
	v_mad_u64_u32 v[10:11], s[0:1], v1, s20, 0
	v_add_u32_e32 v22, 0x96a522ad, v15
	v_xor_b32_e32 v1, v11, v6
	s_mul_i32 s0, s6, s7
	v_xor_b32_e32 v4, v22, v1
	v_add_u32_e32 v1, s0, v0
	s_waitcnt lgkmcnt(0)
	s_mul_i32 s0, s16, s17
	s_mul_i32 s0, s0, s7
	s_lshl_b32 s22, s0, 1
	s_add_i32 s0, s6, s16
	s_mul_i32 s0, s0, s7
	s_mov_b32 s15, 0
	v_add_u32_e32 v0, s0, v0
	v_mov_b32_e32 v3, v8
	v_mov_b32_e32 v5, v10
	v_mul_lo_u32 v41, s17, v1
	v_mul_lo_u32 v42, s17, v0
	s_mov_b64 s[4:5], 0
	s_mov_b32 s23, s15
	v_mov_b32_e32 v43, v18
	v_mov_b32_e32 v44, v19
	s_branch .LBB44_9
.LBB44_7:                               ;   in Loop: Header=BB44_9 Depth=1
	s_or_b64 exec, exec, s[0:1]
	v_add_u32_e32 v1, s23, v42
	v_ashrrev_i32_e32 v3, 31, v1
	v_mov_b32_e32 v4, s11
	v_add_co_u32_e32 v2, vcc, s10, v1
	v_addc_co_u32_e32 v3, vcc, v4, v3, vcc
	v_add_u32_e32 v1, s14, v10
	global_store_dword v[2:3], v1, off
.LBB44_8:                               ;   in Loop: Header=BB44_9 Depth=1
	s_or_b64 exec, exec, s[6:7]
	v_add_co_u32_e32 v18, vcc, s19, v18
	v_addc_co_u32_e32 v19, vcc, 0, v19, vcc
	v_mov_b32_e32 v9, v0
	s_add_i32 s23, s23, s22
	v_cmp_le_i64_e32 vcc, s[2:3], v[18:19]
	v_pk_mov_b32 v[2:3], v[6:7], v[6:7] op_sel:[0,1]
	s_or_b64 s[4:5], vcc, s[4:5]
	v_pk_mov_b32 v[4:5], v[8:9], v[8:9] op_sel:[0,1]
	s_barrier
	s_andn2_b64 exec, exec, s[4:5]
	s_cbranch_execz .LBB44_30
.LBB44_9:                               ; =>This Inner Loop Header: Depth=1
	v_add_co_u32_e32 v31, vcc, 1, v31
	v_cndmask_b32_e64 v0, 0, 1, vcc
	v_addc_co_u32_e32 v32, vcc, 0, v32, vcc
	v_cmp_eq_u32_e32 vcc, 0, v32
	v_cndmask_b32_e32 v0, 0, v0, vcc
	v_add_u32_e32 v43, v0, v43
	v_cmp_eq_u32_e32 vcc, 0, v43
	v_cndmask_b32_e32 v0, 0, v0, vcc
	v_add_u32_e32 v44, v0, v44
	v_mad_u64_u32 v[0:1], s[0:1], v31, s20, 0
	v_mad_u64_u32 v[6:7], s[0:1], v43, s21, 0
	v_xor_b32_e32 v1, v1, v15
	v_xor_b32_e32 v7, v7, v14
	v_xor_b32_e32 v1, v44, v1
	v_xor_b32_e32 v7, v32, v7
	v_mad_u64_u32 v[10:11], s[0:1], v1, s21, 0
	v_mad_u64_u32 v[8:9], s[0:1], v7, s20, 0
	v_xor_b32_e32 v1, v30, v11
	v_xor_b32_e32 v1, v1, v6
	v_xor_b32_e32 v6, v33, v9
	v_xor_b32_e32 v6, v6, v0
	;; [unrolled: 6-line block ×10, first 2 shown]
	v_mov_b32_e32 v7, v12
	v_mov_b32_e32 v8, v13
	v_cmp_lt_i32_e32 vcc, 1, v20
	s_and_saveexec_b64 s[0:1], vcc
	s_xor_b64 s[0:1], exec, s[0:1]
	s_cbranch_execnz .LBB44_12
; %bb.10:                               ;   in Loop: Header=BB44_9 Depth=1
	s_andn2_saveexec_b64 s[0:1], s[0:1]
	s_cbranch_execnz .LBB44_17
.LBB44_11:                              ;   in Loop: Header=BB44_9 Depth=1
	s_or_b64 exec, exec, s[0:1]
	v_cmp_gt_i64_e32 vcc, s[8:9], v[18:19]
	s_and_saveexec_b64 s[6:7], vcc
	s_cbranch_execnz .LBB44_20
	s_branch .LBB44_25
.LBB44_12:                              ;   in Loop: Header=BB44_9 Depth=1
	v_cmp_lt_i32_e32 vcc, 2, v20
	s_and_saveexec_b64 s[6:7], vcc
	s_xor_b64 s[6:7], exec, s[6:7]
; %bb.13:                               ;   in Loop: Header=BB44_9 Depth=1
	v_mov_b32_e32 v10, v5
	v_mov_b32_e32 v11, v6
	v_pk_mov_b32 v[2:3], v[10:11], v[10:11] op_sel:[0,1]
	v_pk_mov_b32 v[4:5], v[12:13], v[12:13] op_sel:[0,1]
                                        ; implicit-def: $vgpr12_vgpr13
; %bb.14:                               ;   in Loop: Header=BB44_9 Depth=1
	s_andn2_saveexec_b64 s[6:7], s[6:7]
; %bb.15:                               ;   in Loop: Header=BB44_9 Depth=1
	v_mov_b32_e32 v2, v4
	v_mov_b32_e32 v3, v5
	;; [unrolled: 1-line block ×4, first 2 shown]
; %bb.16:                               ;   in Loop: Header=BB44_9 Depth=1
	s_or_b64 exec, exec, s[6:7]
	s_andn2_saveexec_b64 s[0:1], s[0:1]
	s_cbranch_execz .LBB44_11
.LBB44_17:                              ;   in Loop: Header=BB44_9 Depth=1
	v_cmp_eq_u32_e32 vcc, 1, v20
	s_and_saveexec_b64 s[6:7], vcc
; %bb.18:                               ;   in Loop: Header=BB44_9 Depth=1
	v_mov_b32_e32 v2, v3
	v_mov_b32_e32 v3, v4
	;; [unrolled: 1-line block ×4, first 2 shown]
; %bb.19:                               ;   in Loop: Header=BB44_9 Depth=1
	s_or_b64 exec, exec, s[6:7]
	s_or_b64 exec, exec, s[0:1]
	v_cmp_gt_i64_e32 vcc, s[8:9], v[18:19]
	s_and_saveexec_b64 s[6:7], vcc
	s_cbranch_execz .LBB44_25
.LBB44_20:                              ;   in Loop: Header=BB44_9 Depth=1
	v_or_b32_e32 v17, s13, v2
	v_cmp_ne_u64_e32 vcc, 0, v[16:17]
                                        ; implicit-def: $vgpr10_vgpr11
	s_and_saveexec_b64 s[0:1], vcc
	s_xor_b64 s[16:17], exec, s[0:1]
	s_cbranch_execz .LBB44_22
; %bb.21:                               ;   in Loop: Header=BB44_9 Depth=1
	v_cvt_f32_u32_e32 v1, s12
	v_cvt_f32_u32_e32 v9, s13
	s_sub_u32 s0, 0, s12
	s_subb_u32 s1, 0, s13
	v_mac_f32_e32 v1, 0x4f800000, v9
	v_rcp_f32_e32 v1, v1
	v_mul_f32_e32 v1, 0x5f7ffffc, v1
	v_mul_f32_e32 v9, 0x2f800000, v1
	v_trunc_f32_e32 v9, v9
	v_mac_f32_e32 v1, 0xcf800000, v9
	v_cvt_u32_f32_e32 v9, v9
	v_cvt_u32_f32_e32 v1, v1
	v_mul_lo_u32 v10, s0, v9
	v_mul_hi_u32 v12, s0, v1
	v_mul_lo_u32 v11, s1, v1
	v_add_u32_e32 v10, v12, v10
	v_mul_lo_u32 v13, s0, v1
	v_add_u32_e32 v10, v10, v11
	v_mul_hi_u32 v12, v1, v13
	v_mul_lo_u32 v17, v1, v10
	v_mul_hi_u32 v11, v1, v10
	v_add_co_u32_e32 v12, vcc, v12, v17
	v_addc_co_u32_e32 v11, vcc, 0, v11, vcc
	v_mul_hi_u32 v45, v9, v13
	v_mul_lo_u32 v13, v9, v13
	v_add_co_u32_e32 v12, vcc, v12, v13
	v_mul_hi_u32 v17, v9, v10
	v_addc_co_u32_e32 v11, vcc, v11, v45, vcc
	v_addc_co_u32_e32 v12, vcc, 0, v17, vcc
	v_mul_lo_u32 v10, v9, v10
	v_add_co_u32_e32 v10, vcc, v11, v10
	v_addc_co_u32_e32 v11, vcc, 0, v12, vcc
	v_add_co_u32_e32 v1, vcc, v1, v10
	v_addc_co_u32_e32 v9, vcc, v9, v11, vcc
	v_mul_lo_u32 v10, s0, v9
	v_mul_hi_u32 v11, s0, v1
	v_add_u32_e32 v10, v11, v10
	v_mul_lo_u32 v11, s1, v1
	v_add_u32_e32 v10, v10, v11
	v_mul_lo_u32 v12, s0, v1
	v_mul_hi_u32 v13, v9, v12
	v_mul_lo_u32 v17, v9, v12
	v_mul_lo_u32 v46, v1, v10
	v_mul_hi_u32 v12, v1, v12
	v_mul_hi_u32 v45, v1, v10
	v_add_co_u32_e32 v12, vcc, v12, v46
	v_addc_co_u32_e32 v45, vcc, 0, v45, vcc
	v_add_co_u32_e32 v12, vcc, v12, v17
	v_mul_hi_u32 v11, v9, v10
	v_addc_co_u32_e32 v12, vcc, v45, v13, vcc
	v_addc_co_u32_e32 v11, vcc, 0, v11, vcc
	v_mul_lo_u32 v10, v9, v10
	v_add_co_u32_e32 v10, vcc, v12, v10
	v_addc_co_u32_e32 v11, vcc, 0, v11, vcc
	v_add_co_u32_e32 v1, vcc, v1, v10
	v_addc_co_u32_e32 v9, vcc, v9, v11, vcc
	v_mad_u64_u32 v[10:11], s[0:1], v3, v9, 0
	v_mul_hi_u32 v12, v3, v1
	v_add_co_u32_e32 v17, vcc, v12, v10
	v_addc_co_u32_e32 v45, vcc, 0, v11, vcc
	v_mad_u64_u32 v[12:13], s[0:1], v2, v1, 0
	v_add_co_u32_e32 v1, vcc, v17, v12
	v_mad_u64_u32 v[10:11], s[0:1], v2, v9, 0
	v_addc_co_u32_e32 v1, vcc, v45, v13, vcc
	v_addc_co_u32_e32 v9, vcc, 0, v11, vcc
	v_add_co_u32_e32 v1, vcc, v1, v10
	v_addc_co_u32_e32 v9, vcc, 0, v9, vcc
	v_mul_lo_u32 v12, s13, v1
	v_mul_lo_u32 v9, s12, v9
	v_mad_u64_u32 v[10:11], s[0:1], s12, v1, 0
	v_add3_u32 v1, v11, v9, v12
	v_sub_u32_e32 v9, v2, v1
	v_mov_b32_e32 v11, s13
	v_sub_co_u32_e32 v10, vcc, v3, v10
	v_subb_co_u32_e64 v9, s[0:1], v9, v11, vcc
	v_subrev_co_u32_e64 v11, s[0:1], s12, v10
	v_subbrev_co_u32_e64 v9, s[0:1], 0, v9, s[0:1]
	v_cmp_le_u32_e64 s[0:1], s13, v9
	v_subb_co_u32_e32 v1, vcc, v2, v1, vcc
	v_cndmask_b32_e64 v12, 0, -1, s[0:1]
	v_cmp_le_u32_e64 s[0:1], s12, v11
	v_cmp_le_u32_e32 vcc, s13, v1
	v_cndmask_b32_e64 v13, 0, -1, s[0:1]
	v_cmp_eq_u32_e64 s[0:1], s13, v9
	v_cndmask_b32_e64 v2, 0, -1, vcc
	v_cmp_le_u32_e32 vcc, s12, v10
	v_cndmask_b32_e64 v9, v12, v13, s[0:1]
	v_cndmask_b32_e64 v13, 0, -1, vcc
	v_cmp_eq_u32_e32 vcc, s13, v1
	v_subrev_co_u32_e64 v12, s[0:1], s12, v11
	v_cndmask_b32_e32 v1, v2, v13, vcc
	v_cmp_ne_u32_e32 vcc, 0, v9
	v_cndmask_b32_e32 v2, v11, v12, vcc
	v_cmp_ne_u32_e32 vcc, 0, v1
	v_cndmask_b32_e32 v10, v10, v2, vcc
.LBB44_22:                              ;   in Loop: Header=BB44_9 Depth=1
	s_andn2_saveexec_b64 s[0:1], s[16:17]
	s_cbranch_execz .LBB44_24
; %bb.23:                               ;   in Loop: Header=BB44_9 Depth=1
	v_cvt_f32_u32_e32 v1, s12
	s_sub_i32 s16, 0, s12
	v_rcp_iflag_f32_e32 v1, v1
	v_mul_f32_e32 v1, 0x4f7ffffe, v1
	v_cvt_u32_f32_e32 v1, v1
	v_mul_lo_u32 v2, s16, v1
	v_mul_hi_u32 v2, v1, v2
	v_add_u32_e32 v1, v1, v2
	v_mul_hi_u32 v1, v3, v1
	v_mul_lo_u32 v1, v1, s12
	v_sub_u32_e32 v1, v3, v1
	v_subrev_u32_e32 v2, s12, v1
	v_cmp_le_u32_e32 vcc, s12, v1
	v_cndmask_b32_e32 v1, v1, v2, vcc
	v_subrev_u32_e32 v2, s12, v1
	v_cmp_le_u32_e32 vcc, s12, v1
	v_cndmask_b32_e32 v10, v1, v2, vcc
.LBB44_24:                              ;   in Loop: Header=BB44_9 Depth=1
	s_or_b64 exec, exec, s[0:1]
	v_add_u32_e32 v1, s23, v41
	v_ashrrev_i32_e32 v3, 31, v1
	v_mov_b32_e32 v9, s11
	v_add_co_u32_e32 v2, vcc, s10, v1
	v_addc_co_u32_e32 v3, vcc, v9, v3, vcc
	v_add_u32_e32 v1, s14, v10
	global_store_dword v[2:3], v1, off
.LBB44_25:                              ;   in Loop: Header=BB44_9 Depth=1
	s_or_b64 exec, exec, s[6:7]
	v_mov_b32_e32 v1, s15
	v_add_co_u32_e32 v2, vcc, s18, v18
	v_addc_co_u32_e32 v3, vcc, v1, v19, vcc
	v_cmp_gt_i64_e32 vcc, s[8:9], v[2:3]
	s_and_saveexec_b64 s[6:7], vcc
	s_cbranch_execz .LBB44_8
; %bb.26:                               ;   in Loop: Header=BB44_9 Depth=1
	v_or_b32_e32 v17, s13, v4
	v_cmp_ne_u64_e32 vcc, 0, v[16:17]
                                        ; implicit-def: $vgpr10_vgpr11
	s_and_saveexec_b64 s[0:1], vcc
	s_xor_b64 s[16:17], exec, s[0:1]
	s_cbranch_execz .LBB44_28
; %bb.27:                               ;   in Loop: Header=BB44_9 Depth=1
	v_cvt_f32_u32_e32 v1, s12
	v_cvt_f32_u32_e32 v2, s13
	s_sub_u32 s0, 0, s12
	s_subb_u32 s1, 0, s13
	v_mac_f32_e32 v1, 0x4f800000, v2
	v_rcp_f32_e32 v1, v1
	v_mul_f32_e32 v1, 0x5f7ffffc, v1
	v_mul_f32_e32 v2, 0x2f800000, v1
	v_trunc_f32_e32 v2, v2
	v_mac_f32_e32 v1, 0xcf800000, v2
	v_cvt_u32_f32_e32 v2, v2
	v_cvt_u32_f32_e32 v1, v1
	v_mul_lo_u32 v3, s0, v2
	v_mul_hi_u32 v10, s0, v1
	v_mul_lo_u32 v9, s1, v1
	v_add_u32_e32 v3, v10, v3
	v_mul_lo_u32 v11, s0, v1
	v_add_u32_e32 v3, v3, v9
	v_mul_hi_u32 v10, v1, v11
	v_mul_lo_u32 v12, v1, v3
	v_mul_hi_u32 v9, v1, v3
	v_add_co_u32_e32 v10, vcc, v10, v12
	v_addc_co_u32_e32 v9, vcc, 0, v9, vcc
	v_mul_hi_u32 v13, v2, v11
	v_mul_lo_u32 v11, v2, v11
	v_add_co_u32_e32 v10, vcc, v10, v11
	v_mul_hi_u32 v12, v2, v3
	v_addc_co_u32_e32 v9, vcc, v9, v13, vcc
	v_addc_co_u32_e32 v10, vcc, 0, v12, vcc
	v_mul_lo_u32 v3, v2, v3
	v_add_co_u32_e32 v3, vcc, v9, v3
	v_addc_co_u32_e32 v9, vcc, 0, v10, vcc
	v_add_co_u32_e32 v1, vcc, v1, v3
	v_addc_co_u32_e32 v2, vcc, v2, v9, vcc
	v_mul_lo_u32 v3, s0, v2
	v_mul_hi_u32 v9, s0, v1
	v_add_u32_e32 v3, v9, v3
	v_mul_lo_u32 v9, s1, v1
	v_add_u32_e32 v3, v3, v9
	v_mul_lo_u32 v10, s0, v1
	v_mul_hi_u32 v11, v2, v10
	v_mul_lo_u32 v12, v2, v10
	v_mul_lo_u32 v17, v1, v3
	v_mul_hi_u32 v10, v1, v10
	v_mul_hi_u32 v13, v1, v3
	v_add_co_u32_e32 v10, vcc, v10, v17
	v_addc_co_u32_e32 v13, vcc, 0, v13, vcc
	v_add_co_u32_e32 v10, vcc, v10, v12
	v_mul_hi_u32 v9, v2, v3
	v_addc_co_u32_e32 v10, vcc, v13, v11, vcc
	v_addc_co_u32_e32 v9, vcc, 0, v9, vcc
	v_mul_lo_u32 v3, v2, v3
	v_add_co_u32_e32 v3, vcc, v10, v3
	v_addc_co_u32_e32 v9, vcc, 0, v9, vcc
	v_add_co_u32_e32 v1, vcc, v1, v3
	v_addc_co_u32_e32 v9, vcc, v2, v9, vcc
	v_mad_u64_u32 v[2:3], s[0:1], v5, v9, 0
	v_mul_hi_u32 v10, v5, v1
	v_add_co_u32_e32 v12, vcc, v10, v2
	v_addc_co_u32_e32 v13, vcc, 0, v3, vcc
	v_mad_u64_u32 v[10:11], s[0:1], v4, v1, 0
	v_add_co_u32_e32 v1, vcc, v12, v10
	v_mad_u64_u32 v[2:3], s[0:1], v4, v9, 0
	v_addc_co_u32_e32 v1, vcc, v13, v11, vcc
	v_addc_co_u32_e32 v3, vcc, 0, v3, vcc
	v_add_co_u32_e32 v1, vcc, v1, v2
	v_addc_co_u32_e32 v2, vcc, 0, v3, vcc
	v_mul_lo_u32 v9, s13, v1
	v_mul_lo_u32 v10, s12, v2
	v_mad_u64_u32 v[2:3], s[0:1], s12, v1, 0
	v_add3_u32 v1, v3, v10, v9
	v_sub_u32_e32 v3, v4, v1
	v_mov_b32_e32 v9, s13
	v_sub_co_u32_e32 v2, vcc, v5, v2
	v_subb_co_u32_e64 v3, s[0:1], v3, v9, vcc
	v_subrev_co_u32_e64 v5, s[0:1], s12, v2
	v_subbrev_co_u32_e64 v3, s[0:1], 0, v3, s[0:1]
	v_cmp_le_u32_e64 s[0:1], s13, v3
	v_subb_co_u32_e32 v1, vcc, v4, v1, vcc
	v_cndmask_b32_e64 v9, 0, -1, s[0:1]
	v_cmp_le_u32_e64 s[0:1], s12, v5
	v_cmp_le_u32_e32 vcc, s13, v1
	v_cndmask_b32_e64 v10, 0, -1, s[0:1]
	v_cmp_eq_u32_e64 s[0:1], s13, v3
	v_cndmask_b32_e64 v4, 0, -1, vcc
	v_cmp_le_u32_e32 vcc, s12, v2
	v_cndmask_b32_e64 v3, v9, v10, s[0:1]
	v_cndmask_b32_e64 v10, 0, -1, vcc
	v_cmp_eq_u32_e32 vcc, s13, v1
	v_subrev_co_u32_e64 v9, s[0:1], s12, v5
	v_cndmask_b32_e32 v1, v4, v10, vcc
	v_cmp_ne_u32_e32 vcc, 0, v3
	v_cndmask_b32_e32 v3, v5, v9, vcc
	v_cmp_ne_u32_e32 vcc, 0, v1
	v_cndmask_b32_e32 v10, v2, v3, vcc
                                        ; implicit-def: $vgpr2_vgpr3_vgpr4_vgpr5
.LBB44_28:                              ;   in Loop: Header=BB44_9 Depth=1
	s_andn2_saveexec_b64 s[0:1], s[16:17]
	s_cbranch_execz .LBB44_7
; %bb.29:                               ;   in Loop: Header=BB44_9 Depth=1
	v_cvt_f32_u32_e32 v1, s12
	s_sub_i32 s16, 0, s12
	v_rcp_iflag_f32_e32 v1, v1
	v_mul_f32_e32 v1, 0x4f7ffffe, v1
	v_cvt_u32_f32_e32 v1, v1
	v_mul_lo_u32 v2, s16, v1
	v_mul_hi_u32 v2, v1, v2
	v_add_u32_e32 v1, v1, v2
	v_mul_hi_u32 v1, v5, v1
	v_mul_lo_u32 v1, v1, s12
	v_sub_u32_e32 v1, v5, v1
	v_subrev_u32_e32 v2, s12, v1
	v_cmp_le_u32_e32 vcc, s12, v1
	v_cndmask_b32_e32 v1, v1, v2, vcc
	v_subrev_u32_e32 v2, s12, v1
	v_cmp_le_u32_e32 vcc, s12, v1
	v_cndmask_b32_e32 v10, v1, v2, vcc
	s_branch .LBB44_7
.LBB44_30:
	s_endpgm
.LBB44_31:
                                        ; implicit-def: $sgpr2_sgpr3
	s_andn2_b64 vcc, exec, s[0:1]
	s_cbranch_vccz .LBB44_4
	s_branch .LBB44_5
	.section	.rodata,"a",@progbits
	.p2align	6, 0x0
	.amdhsa_kernel _ZN2at6native12_GLOBAL__N_143distribution_elementwise_grid_stride_kernelImLi2EZZZNS0_9templates4cuda21random_from_to_kernelIPNS_17CUDAGeneratorImplEEEvRNS_18TensorIteratorBaseEmlT_ENKUlvE_clEvENKUlvE10_clEvEUlP25hiprandStatePhilox4_32_10E_ZNS1_27distribution_nullary_kernelIjm15HIP_vector_typeIyLj2EES7_SF_ZZZNS5_IS7_EEvS9_mlSA_ENKSB_clEvENKSC_clEvEUlmE_EEvS9_T2_RKT3_T4_EUlimE_EEvlNS_15PhiloxCudaStateET1_SK_
		.amdhsa_group_segment_fixed_size 0
		.amdhsa_private_segment_fixed_size 0
		.amdhsa_kernarg_size 336
		.amdhsa_user_sgpr_count 6
		.amdhsa_user_sgpr_private_segment_buffer 1
		.amdhsa_user_sgpr_dispatch_ptr 0
		.amdhsa_user_sgpr_queue_ptr 0
		.amdhsa_user_sgpr_kernarg_segment_ptr 1
		.amdhsa_user_sgpr_dispatch_id 0
		.amdhsa_user_sgpr_flat_scratch_init 0
		.amdhsa_user_sgpr_kernarg_preload_length 0
		.amdhsa_user_sgpr_kernarg_preload_offset 0
		.amdhsa_user_sgpr_private_segment_size 0
		.amdhsa_uses_dynamic_stack 0
		.amdhsa_system_sgpr_private_segment_wavefront_offset 0
		.amdhsa_system_sgpr_workgroup_id_x 1
		.amdhsa_system_sgpr_workgroup_id_y 0
		.amdhsa_system_sgpr_workgroup_id_z 0
		.amdhsa_system_sgpr_workgroup_info 0
		.amdhsa_system_vgpr_workitem_id 0
		.amdhsa_next_free_vgpr 48
		.amdhsa_next_free_sgpr 24
		.amdhsa_accum_offset 48
		.amdhsa_reserve_vcc 1
		.amdhsa_reserve_flat_scratch 0
		.amdhsa_float_round_mode_32 0
		.amdhsa_float_round_mode_16_64 0
		.amdhsa_float_denorm_mode_32 3
		.amdhsa_float_denorm_mode_16_64 3
		.amdhsa_dx10_clamp 1
		.amdhsa_ieee_mode 1
		.amdhsa_fp16_overflow 0
		.amdhsa_tg_split 0
		.amdhsa_exception_fp_ieee_invalid_op 0
		.amdhsa_exception_fp_denorm_src 0
		.amdhsa_exception_fp_ieee_div_zero 0
		.amdhsa_exception_fp_ieee_overflow 0
		.amdhsa_exception_fp_ieee_underflow 0
		.amdhsa_exception_fp_ieee_inexact 0
		.amdhsa_exception_int_div_zero 0
	.end_amdhsa_kernel
	.section	.text._ZN2at6native12_GLOBAL__N_143distribution_elementwise_grid_stride_kernelImLi2EZZZNS0_9templates4cuda21random_from_to_kernelIPNS_17CUDAGeneratorImplEEEvRNS_18TensorIteratorBaseEmlT_ENKUlvE_clEvENKUlvE10_clEvEUlP25hiprandStatePhilox4_32_10E_ZNS1_27distribution_nullary_kernelIjm15HIP_vector_typeIyLj2EES7_SF_ZZZNS5_IS7_EEvS9_mlSA_ENKSB_clEvENKSC_clEvEUlmE_EEvS9_T2_RKT3_T4_EUlimE_EEvlNS_15PhiloxCudaStateET1_SK_,"axG",@progbits,_ZN2at6native12_GLOBAL__N_143distribution_elementwise_grid_stride_kernelImLi2EZZZNS0_9templates4cuda21random_from_to_kernelIPNS_17CUDAGeneratorImplEEEvRNS_18TensorIteratorBaseEmlT_ENKUlvE_clEvENKUlvE10_clEvEUlP25hiprandStatePhilox4_32_10E_ZNS1_27distribution_nullary_kernelIjm15HIP_vector_typeIyLj2EES7_SF_ZZZNS5_IS7_EEvS9_mlSA_ENKSB_clEvENKSC_clEvEUlmE_EEvS9_T2_RKT3_T4_EUlimE_EEvlNS_15PhiloxCudaStateET1_SK_,comdat
.Lfunc_end44:
	.size	_ZN2at6native12_GLOBAL__N_143distribution_elementwise_grid_stride_kernelImLi2EZZZNS0_9templates4cuda21random_from_to_kernelIPNS_17CUDAGeneratorImplEEEvRNS_18TensorIteratorBaseEmlT_ENKUlvE_clEvENKUlvE10_clEvEUlP25hiprandStatePhilox4_32_10E_ZNS1_27distribution_nullary_kernelIjm15HIP_vector_typeIyLj2EES7_SF_ZZZNS5_IS7_EEvS9_mlSA_ENKSB_clEvENKSC_clEvEUlmE_EEvS9_T2_RKT3_T4_EUlimE_EEvlNS_15PhiloxCudaStateET1_SK_, .Lfunc_end44-_ZN2at6native12_GLOBAL__N_143distribution_elementwise_grid_stride_kernelImLi2EZZZNS0_9templates4cuda21random_from_to_kernelIPNS_17CUDAGeneratorImplEEEvRNS_18TensorIteratorBaseEmlT_ENKUlvE_clEvENKUlvE10_clEvEUlP25hiprandStatePhilox4_32_10E_ZNS1_27distribution_nullary_kernelIjm15HIP_vector_typeIyLj2EES7_SF_ZZZNS5_IS7_EEvS9_mlSA_ENKSB_clEvENKSC_clEvEUlmE_EEvS9_T2_RKT3_T4_EUlimE_EEvlNS_15PhiloxCudaStateET1_SK_
                                        ; -- End function
	.section	.AMDGPU.csdata,"",@progbits
; Kernel info:
; codeLenInByte = 3552
; NumSgprs: 28
; NumVgprs: 48
; NumAgprs: 0
; TotalNumVgprs: 48
; ScratchSize: 0
; MemoryBound: 0
; FloatMode: 240
; IeeeMode: 1
; LDSByteSize: 0 bytes/workgroup (compile time only)
; SGPRBlocks: 3
; VGPRBlocks: 5
; NumSGPRsForWavesPerEU: 28
; NumVGPRsForWavesPerEU: 48
; AccumOffset: 48
; Occupancy: 8
; WaveLimiterHint : 0
; COMPUTE_PGM_RSRC2:SCRATCH_EN: 0
; COMPUTE_PGM_RSRC2:USER_SGPR: 6
; COMPUTE_PGM_RSRC2:TRAP_HANDLER: 0
; COMPUTE_PGM_RSRC2:TGID_X_EN: 1
; COMPUTE_PGM_RSRC2:TGID_Y_EN: 0
; COMPUTE_PGM_RSRC2:TGID_Z_EN: 0
; COMPUTE_PGM_RSRC2:TIDIG_COMP_CNT: 0
; COMPUTE_PGM_RSRC3_GFX90A:ACCUM_OFFSET: 11
; COMPUTE_PGM_RSRC3_GFX90A:TG_SPLIT: 0
	.section	.text._ZN2at6native12_GLOBAL__N_143distribution_elementwise_grid_stride_kernelImLi2EZZZNS0_9templates4cuda21random_from_to_kernelIPNS_17CUDAGeneratorImplEEEvRNS_18TensorIteratorBaseEmlT_ENKUlvE_clEvENKUlvE10_clEvEUlP25hiprandStatePhilox4_32_10E_ZNS1_27distribution_nullary_kernelIjm15HIP_vector_typeIyLj2EES7_SF_ZZZNS5_IS7_EEvS9_mlSA_ENKSB_clEvENKSC_clEvEUlmE_EEvS9_T2_RKT3_T4_EUlimE0_EEvlNS_15PhiloxCudaStateET1_SK_,"axG",@progbits,_ZN2at6native12_GLOBAL__N_143distribution_elementwise_grid_stride_kernelImLi2EZZZNS0_9templates4cuda21random_from_to_kernelIPNS_17CUDAGeneratorImplEEEvRNS_18TensorIteratorBaseEmlT_ENKUlvE_clEvENKUlvE10_clEvEUlP25hiprandStatePhilox4_32_10E_ZNS1_27distribution_nullary_kernelIjm15HIP_vector_typeIyLj2EES7_SF_ZZZNS5_IS7_EEvS9_mlSA_ENKSB_clEvENKSC_clEvEUlmE_EEvS9_T2_RKT3_T4_EUlimE0_EEvlNS_15PhiloxCudaStateET1_SK_,comdat
	.globl	_ZN2at6native12_GLOBAL__N_143distribution_elementwise_grid_stride_kernelImLi2EZZZNS0_9templates4cuda21random_from_to_kernelIPNS_17CUDAGeneratorImplEEEvRNS_18TensorIteratorBaseEmlT_ENKUlvE_clEvENKUlvE10_clEvEUlP25hiprandStatePhilox4_32_10E_ZNS1_27distribution_nullary_kernelIjm15HIP_vector_typeIyLj2EES7_SF_ZZZNS5_IS7_EEvS9_mlSA_ENKSB_clEvENKSC_clEvEUlmE_EEvS9_T2_RKT3_T4_EUlimE0_EEvlNS_15PhiloxCudaStateET1_SK_ ; -- Begin function _ZN2at6native12_GLOBAL__N_143distribution_elementwise_grid_stride_kernelImLi2EZZZNS0_9templates4cuda21random_from_to_kernelIPNS_17CUDAGeneratorImplEEEvRNS_18TensorIteratorBaseEmlT_ENKUlvE_clEvENKUlvE10_clEvEUlP25hiprandStatePhilox4_32_10E_ZNS1_27distribution_nullary_kernelIjm15HIP_vector_typeIyLj2EES7_SF_ZZZNS5_IS7_EEvS9_mlSA_ENKSB_clEvENKSC_clEvEUlmE_EEvS9_T2_RKT3_T4_EUlimE0_EEvlNS_15PhiloxCudaStateET1_SK_
	.p2align	8
	.type	_ZN2at6native12_GLOBAL__N_143distribution_elementwise_grid_stride_kernelImLi2EZZZNS0_9templates4cuda21random_from_to_kernelIPNS_17CUDAGeneratorImplEEEvRNS_18TensorIteratorBaseEmlT_ENKUlvE_clEvENKUlvE10_clEvEUlP25hiprandStatePhilox4_32_10E_ZNS1_27distribution_nullary_kernelIjm15HIP_vector_typeIyLj2EES7_SF_ZZZNS5_IS7_EEvS9_mlSA_ENKSB_clEvENKSC_clEvEUlmE_EEvS9_T2_RKT3_T4_EUlimE0_EEvlNS_15PhiloxCudaStateET1_SK_,@function
_ZN2at6native12_GLOBAL__N_143distribution_elementwise_grid_stride_kernelImLi2EZZZNS0_9templates4cuda21random_from_to_kernelIPNS_17CUDAGeneratorImplEEEvRNS_18TensorIteratorBaseEmlT_ENKUlvE_clEvENKUlvE10_clEvEUlP25hiprandStatePhilox4_32_10E_ZNS1_27distribution_nullary_kernelIjm15HIP_vector_typeIyLj2EES7_SF_ZZZNS5_IS7_EEvS9_mlSA_ENKSB_clEvENKSC_clEvEUlmE_EEvS9_T2_RKT3_T4_EUlimE0_EEvlNS_15PhiloxCudaStateET1_SK_: ; @_ZN2at6native12_GLOBAL__N_143distribution_elementwise_grid_stride_kernelImLi2EZZZNS0_9templates4cuda21random_from_to_kernelIPNS_17CUDAGeneratorImplEEEvRNS_18TensorIteratorBaseEmlT_ENKUlvE_clEvENKUlvE10_clEvEUlP25hiprandStatePhilox4_32_10E_ZNS1_27distribution_nullary_kernelIjm15HIP_vector_typeIyLj2EES7_SF_ZZZNS5_IS7_EEvS9_mlSA_ENKSB_clEvENKSC_clEvEUlmE_EEvS9_T2_RKT3_T4_EUlimE0_EEvlNS_15PhiloxCudaStateET1_SK_
; %bb.0:
	s_load_dword s2, s[4:5], 0x20
	s_load_dwordx2 s[0:1], s[4:5], 0x10
	s_load_dwordx4 s[24:27], s[4:5], 0x0
	s_waitcnt lgkmcnt(0)
	s_bitcmp0_b32 s2, 0
	s_mov_b32 s2, 0
	v_pk_mov_b32 v[2:3], s[0:1], s[0:1] op_sel:[0,1]
	v_pk_mov_b32 v[12:13], s[26:27], s[26:27] op_sel:[0,1]
	s_cbranch_scc1 .LBB45_2
; %bb.1:
	v_pk_mov_b32 v[2:3], s[0:1], s[0:1] op_sel:[0,1]
	flat_load_dwordx2 v[2:3], v[2:3]
	v_pk_mov_b32 v[4:5], s[26:27], s[26:27] op_sel:[0,1]
	flat_load_dwordx2 v[12:13], v[4:5]
	s_load_dwordx2 s[0:1], s[4:5], 0x18
	s_waitcnt lgkmcnt(0)
	v_mov_b32_e32 v1, s1
	s_waitcnt vmcnt(0)
	v_add_co_u32_e32 v2, vcc, s0, v2
	v_addc_co_u32_e32 v3, vcc, v3, v1, vcc
.LBB45_2:
	s_load_dword s0, s[4:5], 0x15c
	s_load_dword s7, s[4:5], 0x150
	s_waitcnt lgkmcnt(0)
	s_and_b32 s8, s0, 0xffff
	s_add_u32 s9, s24, -1
	s_mul_i32 s33, s7, s8
	s_addc_u32 s3, s25, -1
	s_lshl_b32 s62, s33, 1
	s_cmp_lg_u64 s[2:3], 0
	s_mov_b64 s[0:1], -1
	s_cbranch_scc0 .LBB45_59
; %bb.3:
	v_cvt_f32_u32_e32 v1, s62
	v_cvt_f32_ubyte0_e32 v4, 0
	s_sub_u32 s2, 0, s62
	s_subb_u32 s10, 0, 0
	v_madmk_f32 v1, v4, 0x4f800000, v1
	v_rcp_f32_e32 v1, v1
	v_mul_f32_e32 v1, 0x5f7ffffc, v1
	v_mul_f32_e32 v4, 0x2f800000, v1
	v_trunc_f32_e32 v4, v4
	v_madmk_f32 v1, v4, 0xcf800000, v1
	v_cvt_u32_f32_e32 v4, v4
	v_cvt_u32_f32_e32 v1, v1
	v_readfirstlane_b32 s11, v4
	v_readfirstlane_b32 s12, v1
	s_mul_i32 s13, s2, s11
	s_mul_hi_u32 s15, s2, s12
	s_mul_i32 s14, s10, s12
	s_add_i32 s13, s15, s13
	s_add_i32 s13, s13, s14
	s_mul_i32 s16, s2, s12
	s_mul_hi_u32 s14, s12, s13
	s_mul_i32 s15, s12, s13
	s_mul_hi_u32 s12, s12, s16
	s_add_u32 s12, s12, s15
	s_addc_u32 s14, 0, s14
	s_mul_hi_u32 s17, s11, s16
	s_mul_i32 s16, s11, s16
	s_add_u32 s12, s12, s16
	s_mul_hi_u32 s15, s11, s13
	s_addc_u32 s12, s14, s17
	s_addc_u32 s14, s15, 0
	s_mul_i32 s13, s11, s13
	s_add_u32 s12, s12, s13
	s_addc_u32 s13, 0, s14
	v_add_co_u32_e32 v1, vcc, s12, v1
	s_cmp_lg_u64 vcc, 0
	s_addc_u32 s11, s11, s13
	v_readfirstlane_b32 s13, v1
	s_mul_i32 s12, s2, s11
	s_mul_hi_u32 s14, s2, s13
	s_add_i32 s12, s14, s12
	s_mul_i32 s10, s10, s13
	s_add_i32 s12, s12, s10
	s_mul_i32 s2, s2, s13
	s_mul_hi_u32 s14, s11, s2
	s_mul_i32 s15, s11, s2
	s_mul_i32 s17, s13, s12
	s_mul_hi_u32 s2, s13, s2
	s_mul_hi_u32 s16, s13, s12
	s_add_u32 s2, s2, s17
	s_addc_u32 s13, 0, s16
	s_add_u32 s2, s2, s15
	s_mul_hi_u32 s10, s11, s12
	s_addc_u32 s2, s13, s14
	s_addc_u32 s10, s10, 0
	s_mul_i32 s12, s11, s12
	s_add_u32 s2, s2, s12
	s_addc_u32 s10, 0, s10
	v_add_co_u32_e32 v1, vcc, s2, v1
	s_cmp_lg_u64 vcc, 0
	s_addc_u32 s12, s11, s10
	s_ashr_i32 s10, s3, 31
	s_add_u32 s2, s9, s10
	s_mov_b32 s11, s10
	s_addc_u32 s3, s3, s10
	s_xor_b64 s[2:3], s[2:3], s[10:11]
	v_readfirstlane_b32 s15, v1
	s_mul_i32 s14, s2, s12
	s_mul_hi_u32 s16, s2, s15
	s_mul_hi_u32 s13, s2, s12
	s_add_u32 s14, s16, s14
	s_addc_u32 s13, 0, s13
	s_mul_hi_u32 s17, s3, s15
	s_mul_i32 s15, s3, s15
	s_add_u32 s14, s14, s15
	s_mul_hi_u32 s16, s3, s12
	s_addc_u32 s13, s13, s17
	s_addc_u32 s14, s16, 0
	s_mul_i32 s12, s3, s12
	s_add_u32 s12, s13, s12
	s_addc_u32 s13, 0, s14
	s_add_u32 s14, s12, 1
	s_addc_u32 s15, s13, 0
	s_add_u32 s16, s12, 2
	s_mul_i32 s18, s62, s13
	s_mul_hi_u32 s19, s62, s12
	s_addc_u32 s17, s13, 0
	s_add_i32 s19, s19, s18
	s_mul_i32 s18, s62, s12
	v_mov_b32_e32 v1, s18
	v_sub_co_u32_e32 v1, vcc, s2, v1
	s_cmp_lg_u64 vcc, 0
	s_subb_u32 s2, s3, s19
	v_subrev_co_u32_e32 v4, vcc, s62, v1
	s_cmp_lg_u64 vcc, 0
	s_subb_u32 s3, s2, 0
	v_readfirstlane_b32 s18, v4
	s_cmp_ge_u32 s18, s62
	s_cselect_b32 s18, -1, 0
	s_cmp_eq_u32 s3, 0
	s_cselect_b32 s3, s18, -1
	s_cmp_lg_u32 s3, 0
	s_cselect_b32 s3, s17, s15
	v_readfirstlane_b32 s15, v1
	s_cselect_b32 s14, s16, s14
	s_cmp_ge_u32 s15, s62
	s_cselect_b32 s15, -1, 0
	s_cmp_eq_u32 s2, 0
	s_cselect_b32 s2, s15, -1
	s_cmp_lg_u32 s2, 0
	s_cselect_b32 s3, s3, s13
	s_cselect_b32 s2, s14, s12
	s_xor_b64 s[2:3], s[2:3], s[10:11]
	s_sub_u32 s2, s2, s10
	s_subb_u32 s3, s3, s10
	s_cbranch_execnz .LBB45_5
.LBB45_4:
	v_cvt_f32_u32_e32 v1, s62
	s_sub_i32 s0, 0, s62
	s_mov_b32 s3, 0
	v_rcp_iflag_f32_e32 v1, v1
	v_mul_f32_e32 v1, 0x4f7ffffe, v1
	v_cvt_u32_f32_e32 v1, v1
	v_readfirstlane_b32 s1, v1
	s_mul_i32 s0, s0, s1
	s_mul_hi_u32 s0, s1, s0
	s_add_i32 s1, s1, s0
	s_mul_hi_u32 s0, s9, s1
	s_mul_i32 s2, s0, s62
	s_sub_i32 s2, s9, s2
	s_add_i32 s1, s0, 1
	s_sub_i32 s9, s2, s62
	s_cmp_ge_u32 s2, s62
	s_cselect_b32 s0, s1, s0
	s_cselect_b32 s2, s9, s2
	s_add_i32 s1, s0, 1
	s_cmp_ge_u32 s2, s62
	s_cselect_b32 s2, s1, s0
.LBB45_5:
	v_mov_b32_e32 v14, 0
	v_mov_b32_e32 v1, v14
	;; [unrolled: 1-line block ×3, first 2 shown]
	v_mad_u64_u32 v[16:17], s[0:1], s8, v4, v[0:1]
	s_add_u32 s0, s2, 1
	s_addc_u32 s1, s3, 0
	s_mul_hi_u32 s2, s7, s8
	s_mul_i32 s1, s33, s1
	s_mul_hi_u32 s3, s33, s0
	s_add_i32 s1, s3, s1
	s_mul_i32 s2, s2, s0
	s_add_i32 s1, s1, s2
	s_mul_i32 s0, s33, s0
	s_lshl_b64 s[26:27], s[0:1], 1
	v_cmp_gt_i64_e32 vcc, s[26:27], v[16:17]
	s_and_saveexec_b64 s[0:1], vcc
	s_cbranch_execz .LBB45_58
; %bb.6:
	s_mov_b32 s0, 0x5384540f
	v_mov_b32_e32 v0, v13
	v_add_co_u32_e32 v24, vcc, s0, v12
	s_mov_b32 s0, 0x646e171e
	v_add_co_u32_e32 v25, vcc, s0, v0
	s_mov_b32 s0, 0x1715609d
	;; [unrolled: 2-line block ×6, first 2 shown]
	v_alignbit_b32 v31, v3, v2, 2
	s_mov_b32 s64, 0xd2511f53
	v_add_co_u32_e32 v30, vcc, s0, v12
	v_mad_u64_u32 v[4:5], s[0:1], v31, s64, 0
	v_xor_b32_e32 v1, v5, v13
	v_xor_b32_e32 v1, v1, v17
	s_mov_b32 s65, 0xcd9e8d57
	v_mad_u64_u32 v[6:7], s[0:1], v1, s65, 0
	v_xor_b32_e32 v1, v30, v7
	v_mad_u64_u32 v[8:9], s[0:1], v16, s65, 0
	v_and_b32_e32 v20, 3, v2
	v_xor_b32_e32 v1, v1, v8
	v_xor_b32_e32 v2, v12, v9
	v_lshrrev_b32_e32 v32, 2, v3
	v_mad_u64_u32 v[10:11], s[0:1], v1, s64, 0
	v_xor_b32_e32 v2, v2, v32
	v_xor_b32_e32 v1, v29, v11
	v_mad_u64_u32 v[2:3], s[0:1], v2, s64, 0
	v_xor_b32_e32 v1, v1, v2
	v_mad_u64_u32 v[8:9], s[0:1], v1, s65, 0
	s_mov_b32 s0, 0xbb67ae85
	v_add_co_u32_e32 v33, vcc, s0, v0
	v_xor_b32_e32 v2, v33, v3
	v_xor_b32_e32 v2, v2, v4
	v_xor_b32_e32 v1, v28, v9
	v_mad_u64_u32 v[2:3], s[0:1], v2, s65, 0
	v_xor_b32_e32 v1, v1, v2
	v_mad_u64_u32 v[4:5], s[0:1], v1, s64, 0
	s_mov_b32 s0, 0x3c6ef372
	v_add_co_u32_e32 v34, vcc, s0, v12
	v_xor_b32_e32 v2, v34, v3
	;; [unrolled: 8-line block ×6, first 2 shown]
	v_add_co_u32_e32 v23, vcc, 0xdb3d7428, v0
	v_xor_b32_e32 v2, v2, v6
	v_xor_b32_e32 v1, v23, v5
	v_mad_u64_u32 v[2:3], s[0:1], v2, s64, 0
	v_xor_b32_e32 v1, v1, v2
	v_mad_u64_u32 v[6:7], s[0:1], v1, s65, 0
	s_mov_b32 s0, 0x1fd5c5a3
	v_add_co_u32_e32 v39, vcc, s0, v0
	v_xor_b32_e32 v0, v39, v3
	v_xor_b32_e32 v0, v0, v10
	v_mad_u64_u32 v[0:1], s[0:1], v0, s65, 0
	s_mov_b32 s0, 0xf1bbcdc8
	s_load_dwordx8 s[8:15], s[4:5], 0x30
	v_add_co_u32_e32 v40, vcc, s0, v12
	v_xor_b32_e32 v1, v40, v1
	v_xor_b32_e32 v1, v1, v8
	s_add_u32 s34, s4, 48
	v_mad_u64_u32 v[8:9], s[0:1], v1, s64, 0
	s_addc_u32 s35, s5, 0
	s_waitcnt lgkmcnt(0)
	s_add_i32 s0, s8, -1
	s_cmp_gt_u32 s0, 1
	s_cselect_b64 s[40:41], -1, 0
	s_cmp_lg_u32 s8, 0
	s_cselect_b64 s[42:43], -1, 0
	s_add_u32 s44, s4, 0xf4
	s_addc_u32 s45, s5, 0
	s_min_u32 s1, s0, 15
	s_cmp_gt_u32 s8, 1
	s_cselect_b64 s[46:47], -1, 0
	s_load_dwordx2 s[48:49], s[4:5], 0x148
	s_load_dwordx2 s[50:51], s[4:5], 0xf4
	s_load_dwordx4 s[28:31], s[4:5], 0x138
	s_add_i32 s1, s1, 1
	s_mov_b32 s8, s13
	s_and_b32 s13, s1, 3
	s_cmp_lg_u32 s0, 2
	s_cselect_b64 s[52:53], -1, 0
	s_and_b32 s15, s1, 28
	v_add_u32_e32 v21, 0x8ff34781, v12
	v_add_u32_e32 v22, 0x96a522ad, v13
	v_xor_b32_e32 v0, v7, v0
	v_xor_b32_e32 v1, v9, v4
	s_cmp_lg_u32 s13, 0
	s_mov_b32 s63, 0
	v_xor_b32_e32 v0, v21, v0
	v_xor_b32_e32 v2, v22, v1
	v_mov_b32_e32 v1, v6
	v_mov_b32_e32 v3, v8
	s_mov_b64 s[54:55], 0
	s_cselect_b64 s[56:57], -1, 0
	v_mov_b32_e32 v41, v16
	v_mov_b32_e32 v42, v17
	s_branch .LBB45_9
.LBB45_7:                               ;   in Loop: Header=BB45_9 Depth=1
	s_or_b64 exec, exec, s[0:1]
	v_add_u32_e32 v0, s48, v10
	global_store_dword v8, v0, s[28:29]
.LBB45_8:                               ;   in Loop: Header=BB45_9 Depth=1
	s_or_b64 exec, exec, s[36:37]
	v_add_co_u32_e32 v16, vcc, s62, v16
	v_addc_co_u32_e32 v17, vcc, 0, v17, vcc
	v_mov_b32_e32 v7, v18
	v_cmp_le_i64_e32 vcc, s[26:27], v[16:17]
	v_pk_mov_b32 v[0:1], v[4:5], v[4:5] op_sel:[0,1]
	s_or_b64 s[54:55], vcc, s[54:55]
	v_pk_mov_b32 v[2:3], v[6:7], v[6:7] op_sel:[0,1]
	s_waitcnt lgkmcnt(0)
	s_barrier
	s_andn2_b64 exec, exec, s[54:55]
	s_cbranch_execz .LBB45_58
.LBB45_9:                               ; =>This Loop Header: Depth=1
                                        ;     Child Loop BB45_24 Depth 2
                                        ;     Child Loop BB45_30 Depth 2
	;; [unrolled: 1-line block ×4, first 2 shown]
	v_add_co_u32_e32 v31, vcc, 1, v31
	v_cndmask_b32_e64 v4, 0, 1, vcc
	v_addc_co_u32_e32 v32, vcc, 0, v32, vcc
	v_cmp_eq_u32_e32 vcc, 0, v32
	v_cndmask_b32_e32 v4, 0, v4, vcc
	v_add_u32_e32 v41, v4, v41
	v_cmp_eq_u32_e32 vcc, 0, v41
	v_cndmask_b32_e32 v4, 0, v4, vcc
	v_add_u32_e32 v42, v4, v42
	v_mad_u64_u32 v[4:5], s[0:1], v31, s64, 0
	v_mad_u64_u32 v[6:7], s[0:1], v41, s65, 0
	v_xor_b32_e32 v5, v5, v13
	v_xor_b32_e32 v7, v7, v12
	v_xor_b32_e32 v5, v42, v5
	v_xor_b32_e32 v7, v32, v7
	v_mad_u64_u32 v[10:11], s[0:1], v5, s65, 0
	v_mad_u64_u32 v[8:9], s[0:1], v7, s64, 0
	v_xor_b32_e32 v5, v30, v11
	v_xor_b32_e32 v5, v5, v6
	v_xor_b32_e32 v6, v33, v9
	v_xor_b32_e32 v6, v6, v4
	;; [unrolled: 6-line block ×10, first 2 shown]
	v_mov_b32_e32 v5, v10
	v_mov_b32_e32 v6, v11
	v_cmp_lt_i32_e32 vcc, 1, v20
	s_and_saveexec_b64 s[0:1], vcc
	s_xor_b64 s[0:1], exec, s[0:1]
	s_cbranch_execz .LBB45_15
; %bb.10:                               ;   in Loop: Header=BB45_9 Depth=1
	v_cmp_lt_i32_e32 vcc, 2, v20
	s_and_saveexec_b64 s[2:3], vcc
	s_xor_b64 s[2:3], exec, s[2:3]
; %bb.11:                               ;   in Loop: Header=BB45_9 Depth=1
	v_mov_b32_e32 v8, v3
	v_mov_b32_e32 v9, v4
	v_pk_mov_b32 v[0:1], v[8:9], v[8:9] op_sel:[0,1]
	v_pk_mov_b32 v[2:3], v[10:11], v[10:11] op_sel:[0,1]
                                        ; implicit-def: $vgpr10_vgpr11
; %bb.12:                               ;   in Loop: Header=BB45_9 Depth=1
	s_andn2_saveexec_b64 s[2:3], s[2:3]
; %bb.13:                               ;   in Loop: Header=BB45_9 Depth=1
	v_mov_b32_e32 v0, v2
	v_mov_b32_e32 v1, v3
	;; [unrolled: 1-line block ×4, first 2 shown]
; %bb.14:                               ;   in Loop: Header=BB45_9 Depth=1
	s_or_b64 exec, exec, s[2:3]
.LBB45_15:                              ;   in Loop: Header=BB45_9 Depth=1
	s_andn2_saveexec_b64 s[0:1], s[0:1]
	s_cbranch_execz .LBB45_19
; %bb.16:                               ;   in Loop: Header=BB45_9 Depth=1
	v_cmp_eq_u32_e32 vcc, 1, v20
	s_and_saveexec_b64 s[2:3], vcc
; %bb.17:                               ;   in Loop: Header=BB45_9 Depth=1
	v_mov_b32_e32 v0, v1
	v_mov_b32_e32 v1, v2
	;; [unrolled: 1-line block ×4, first 2 shown]
; %bb.18:                               ;   in Loop: Header=BB45_9 Depth=1
	s_or_b64 exec, exec, s[2:3]
.LBB45_19:                              ;   in Loop: Header=BB45_9 Depth=1
	s_or_b64 exec, exec, s[0:1]
	v_cndmask_b32_e64 v7, 0, 1, s[40:41]
	v_cmp_gt_i64_e32 vcc, s[24:25], v[16:17]
	v_cmp_ne_u32_e64 s[0:1], 1, v7
	s_and_saveexec_b64 s[58:59], vcc
	s_cbranch_execz .LBB45_39
; %bb.20:                               ;   in Loop: Header=BB45_9 Depth=1
	s_and_b64 vcc, exec, s[0:1]
	s_cbranch_vccnz .LBB45_26
; %bb.21:                               ;   in Loop: Header=BB45_9 Depth=1
	s_andn2_b64 vcc, exec, s[42:43]
	s_cbranch_vccnz .LBB45_27
; %bb.22:                               ;   in Loop: Header=BB45_9 Depth=1
	s_mov_b32 s4, 0
	s_andn2_b64 vcc, exec, s[52:53]
	v_mov_b32_e32 v8, 0
	s_cbranch_vccnz .LBB45_28
; %bb.23:                               ;   in Loop: Header=BB45_9 Depth=1
	s_waitcnt lgkmcnt(0)
	s_mov_b32 s49, 0
	v_mov_b32_e32 v8, 0
	s_mov_b64 s[2:3], s[34:35]
	s_mov_b64 s[60:61], s[44:45]
	v_mov_b32_e32 v7, v16
.LBB45_24:                              ;   Parent Loop BB45_9 Depth=1
                                        ; =>  This Inner Loop Header: Depth=2
	s_load_dwordx8 s[16:23], s[2:3], 0x4
	s_load_dwordx4 s[4:7], s[2:3], 0x24
	s_load_dwordx4 s[36:39], s[60:61], 0x0
	s_add_u32 s2, s2, 48
	s_addc_u32 s3, s3, 0
	s_waitcnt lgkmcnt(0)
	v_mul_hi_u32 v9, s17, v7
	v_add_u32_e32 v9, v7, v9
	v_lshrrev_b32_e32 v9, s18, v9
	v_mul_lo_u32 v10, v9, s16
	v_mul_hi_u32 v11, s20, v9
	v_sub_u32_e32 v7, v7, v10
	v_add_u32_e32 v10, v9, v11
	v_lshrrev_b32_e32 v10, s21, v10
	v_mul_lo_u32 v11, v10, s19
	v_mul_hi_u32 v15, s23, v10
	v_sub_u32_e32 v9, v9, v11
	v_add_u32_e32 v11, v10, v15
	v_mul_lo_u32 v7, v7, s36
	v_mul_lo_u32 v9, v9, s37
	v_lshrrev_b32_e32 v11, s4, v11
	v_add3_u32 v8, v7, v8, v9
	v_mul_lo_u32 v7, v11, s22
	v_mul_hi_u32 v9, s6, v11
	v_sub_u32_e32 v7, v10, v7
	v_add_u32_e32 v9, v11, v9
	v_mul_lo_u32 v10, v7, s38
	v_lshrrev_b32_e32 v7, s7, v9
	s_add_i32 s49, s49, 4
	v_mul_lo_u32 v9, v7, s5
	s_add_u32 s60, s60, 16
	v_sub_u32_e32 v9, v11, v9
	s_addc_u32 s61, s61, 0
	v_mul_lo_u32 v9, v9, s39
	s_cmp_lg_u32 s15, s49
	v_add3_u32 v8, v10, v8, v9
	s_cbranch_scc1 .LBB45_24
; %bb.25:                               ;   in Loop: Header=BB45_9 Depth=1
	s_mov_b32 s4, s15
	s_andn2_b64 vcc, exec, s[56:57]
	s_cbranch_vccz .LBB45_29
	s_branch .LBB45_31
.LBB45_26:                              ;   in Loop: Header=BB45_9 Depth=1
                                        ; implicit-def: $vgpr8
	s_branch .LBB45_32
.LBB45_27:                              ;   in Loop: Header=BB45_9 Depth=1
	v_mov_b32_e32 v8, 0
	s_branch .LBB45_31
.LBB45_28:                              ;   in Loop: Header=BB45_9 Depth=1
	v_mov_b32_e32 v7, v16
	s_andn2_b64 vcc, exec, s[56:57]
	s_cbranch_vccnz .LBB45_31
.LBB45_29:                              ;   in Loop: Header=BB45_9 Depth=1
	s_lshl_b32 s2, s4, 2
	s_add_u32 s2, s44, s2
	s_addc_u32 s3, s45, 0
	s_mul_i32 s4, s4, 12
	s_add_u32 s4, s34, s4
	s_addc_u32 s5, s35, 0
	s_mov_b32 s6, s13
.LBB45_30:                              ;   Parent Loop BB45_9 Depth=1
                                        ; =>  This Inner Loop Header: Depth=2
	s_load_dwordx2 s[16:17], s[4:5], 0x4
	s_load_dword s7, s[4:5], 0xc
	s_load_dword s18, s[2:3], 0x0
	s_add_u32 s4, s4, 12
	s_addc_u32 s5, s5, 0
	s_waitcnt lgkmcnt(0)
	v_mul_hi_u32 v9, s17, v7
	v_add_u32_e32 v9, v7, v9
	v_lshrrev_b32_e32 v9, s7, v9
	s_add_u32 s2, s2, 4
	v_mul_lo_u32 v10, v9, s16
	s_addc_u32 s3, s3, 0
	s_add_i32 s6, s6, -1
	v_sub_u32_e32 v10, v7, v10
	s_cmp_lg_u32 s6, 0
	v_mov_b32_e32 v7, v9
	v_mad_u64_u32 v[8:9], s[16:17], v10, s18, v[8:9]
	s_cbranch_scc1 .LBB45_30
.LBB45_31:                              ;   in Loop: Header=BB45_9 Depth=1
	s_cbranch_execnz .LBB45_34
.LBB45_32:                              ;   in Loop: Header=BB45_9 Depth=1
	v_mul_hi_u32 v7, v16, s10
	v_add_u32_e32 v7, v7, v16
	v_lshrrev_b32_e32 v7, s11, v7
	v_mul_lo_u32 v8, v7, s9
	v_sub_u32_e32 v8, v16, v8
	s_andn2_b64 vcc, exec, s[46:47]
	s_waitcnt lgkmcnt(0)
	v_mul_lo_u32 v8, v8, s50
	s_cbranch_vccnz .LBB45_34
; %bb.33:                               ;   in Loop: Header=BB45_9 Depth=1
	v_mul_hi_u32 v9, s8, v7
	v_add_u32_e32 v9, v7, v9
	v_lshrrev_b32_e32 v9, s14, v9
	v_mul_lo_u32 v9, v9, s12
	v_sub_u32_e32 v7, v7, v9
	v_mad_u64_u32 v[8:9], s[2:3], v7, s51, v[8:9]
.LBB45_34:                              ;   in Loop: Header=BB45_9 Depth=1
	s_waitcnt lgkmcnt(0)
	v_or_b32_e32 v15, s31, v0
	v_cmp_ne_u64_e32 vcc, 0, v[14:15]
                                        ; implicit-def: $vgpr10_vgpr11
	s_and_saveexec_b64 s[2:3], vcc
	s_xor_b64 s[4:5], exec, s[2:3]
	s_cbranch_execz .LBB45_36
; %bb.35:                               ;   in Loop: Header=BB45_9 Depth=1
	v_cvt_f32_u32_e32 v7, s30
	v_cvt_f32_u32_e32 v9, s31
	s_sub_u32 s2, 0, s30
	s_subb_u32 s3, 0, s31
	v_mac_f32_e32 v7, 0x4f800000, v9
	v_rcp_f32_e32 v7, v7
	v_mul_f32_e32 v7, 0x5f7ffffc, v7
	v_mul_f32_e32 v9, 0x2f800000, v7
	v_trunc_f32_e32 v9, v9
	v_mac_f32_e32 v7, 0xcf800000, v9
	v_cvt_u32_f32_e32 v9, v9
	v_cvt_u32_f32_e32 v7, v7
	v_mul_lo_u32 v10, s2, v9
	v_mul_hi_u32 v15, s2, v7
	v_mul_lo_u32 v11, s3, v7
	v_add_u32_e32 v10, v15, v10
	v_mul_lo_u32 v19, s2, v7
	v_add_u32_e32 v10, v10, v11
	v_mul_hi_u32 v15, v7, v19
	v_mul_lo_u32 v43, v7, v10
	v_mul_hi_u32 v11, v7, v10
	v_add_co_u32_e32 v15, vcc, v15, v43
	v_addc_co_u32_e32 v11, vcc, 0, v11, vcc
	v_mul_hi_u32 v44, v9, v19
	v_mul_lo_u32 v19, v9, v19
	v_add_co_u32_e32 v15, vcc, v15, v19
	v_mul_hi_u32 v43, v9, v10
	v_addc_co_u32_e32 v11, vcc, v11, v44, vcc
	v_addc_co_u32_e32 v15, vcc, 0, v43, vcc
	v_mul_lo_u32 v10, v9, v10
	v_add_co_u32_e32 v10, vcc, v11, v10
	v_addc_co_u32_e32 v11, vcc, 0, v15, vcc
	v_add_co_u32_e32 v7, vcc, v7, v10
	v_addc_co_u32_e32 v9, vcc, v9, v11, vcc
	v_mul_lo_u32 v10, s2, v9
	v_mul_hi_u32 v11, s2, v7
	v_add_u32_e32 v10, v11, v10
	v_mul_lo_u32 v11, s3, v7
	v_add_u32_e32 v10, v10, v11
	v_mul_lo_u32 v15, s2, v7
	v_mul_hi_u32 v19, v9, v15
	v_mul_lo_u32 v43, v9, v15
	v_mul_lo_u32 v45, v7, v10
	v_mul_hi_u32 v15, v7, v15
	v_mul_hi_u32 v44, v7, v10
	v_add_co_u32_e32 v15, vcc, v15, v45
	v_addc_co_u32_e32 v44, vcc, 0, v44, vcc
	v_add_co_u32_e32 v15, vcc, v15, v43
	v_mul_hi_u32 v11, v9, v10
	v_addc_co_u32_e32 v15, vcc, v44, v19, vcc
	v_addc_co_u32_e32 v11, vcc, 0, v11, vcc
	v_mul_lo_u32 v10, v9, v10
	v_add_co_u32_e32 v10, vcc, v15, v10
	v_addc_co_u32_e32 v11, vcc, 0, v11, vcc
	v_add_co_u32_e32 v7, vcc, v7, v10
	v_addc_co_u32_e32 v9, vcc, v9, v11, vcc
	v_mad_u64_u32 v[10:11], s[2:3], v1, v9, 0
	v_mul_hi_u32 v15, v1, v7
	v_add_co_u32_e32 v15, vcc, v15, v10
	v_addc_co_u32_e32 v19, vcc, 0, v11, vcc
	v_mad_u64_u32 v[44:45], s[2:3], v0, v7, 0
	v_add_co_u32_e32 v7, vcc, v15, v44
	v_mad_u64_u32 v[10:11], s[2:3], v0, v9, 0
	v_addc_co_u32_e32 v7, vcc, v19, v45, vcc
	v_addc_co_u32_e32 v9, vcc, 0, v11, vcc
	v_add_co_u32_e32 v7, vcc, v7, v10
	v_addc_co_u32_e32 v9, vcc, 0, v9, vcc
	v_mul_lo_u32 v15, s31, v7
	v_mul_lo_u32 v9, s30, v9
	v_mad_u64_u32 v[10:11], s[2:3], s30, v7, 0
	v_add3_u32 v7, v11, v9, v15
	v_sub_u32_e32 v9, v0, v7
	v_mov_b32_e32 v11, s31
	v_sub_co_u32_e32 v10, vcc, v1, v10
	v_subb_co_u32_e64 v9, s[2:3], v9, v11, vcc
	v_subrev_co_u32_e64 v11, s[2:3], s30, v10
	v_subbrev_co_u32_e64 v9, s[2:3], 0, v9, s[2:3]
	v_cmp_le_u32_e64 s[2:3], s31, v9
	v_subb_co_u32_e32 v0, vcc, v0, v7, vcc
	v_cndmask_b32_e64 v15, 0, -1, s[2:3]
	v_cmp_le_u32_e64 s[2:3], s30, v11
	v_cmp_le_u32_e32 vcc, s31, v0
	v_cndmask_b32_e64 v19, 0, -1, s[2:3]
	v_cmp_eq_u32_e64 s[2:3], s31, v9
	v_cndmask_b32_e64 v7, 0, -1, vcc
	v_cmp_le_u32_e32 vcc, s30, v10
	v_cndmask_b32_e64 v9, v15, v19, s[2:3]
	v_cndmask_b32_e64 v19, 0, -1, vcc
	v_cmp_eq_u32_e32 vcc, s31, v0
	v_subrev_co_u32_e64 v15, s[2:3], s30, v11
	v_cndmask_b32_e32 v0, v7, v19, vcc
	v_cmp_ne_u32_e32 vcc, 0, v9
	v_cndmask_b32_e32 v7, v11, v15, vcc
	v_cmp_ne_u32_e32 vcc, 0, v0
	v_cndmask_b32_e32 v10, v10, v7, vcc
.LBB45_36:                              ;   in Loop: Header=BB45_9 Depth=1
	s_andn2_saveexec_b64 s[2:3], s[4:5]
	s_cbranch_execz .LBB45_38
; %bb.37:                               ;   in Loop: Header=BB45_9 Depth=1
	v_cvt_f32_u32_e32 v0, s30
	s_sub_i32 s4, 0, s30
	v_rcp_iflag_f32_e32 v0, v0
	v_mul_f32_e32 v0, 0x4f7ffffe, v0
	v_cvt_u32_f32_e32 v0, v0
	v_mul_lo_u32 v7, s4, v0
	v_mul_hi_u32 v7, v0, v7
	v_add_u32_e32 v0, v0, v7
	v_mul_hi_u32 v0, v1, v0
	v_mul_lo_u32 v0, v0, s30
	v_sub_u32_e32 v0, v1, v0
	v_subrev_u32_e32 v1, s30, v0
	v_cmp_le_u32_e32 vcc, s30, v0
	v_cndmask_b32_e32 v0, v0, v1, vcc
	v_subrev_u32_e32 v1, s30, v0
	v_cmp_le_u32_e32 vcc, s30, v0
	v_cndmask_b32_e32 v10, v0, v1, vcc
.LBB45_38:                              ;   in Loop: Header=BB45_9 Depth=1
	s_or_b64 exec, exec, s[2:3]
	v_add_u32_e32 v0, s48, v10
	global_store_dword v8, v0, s[28:29]
.LBB45_39:                              ;   in Loop: Header=BB45_9 Depth=1
	s_or_b64 exec, exec, s[58:59]
	v_mov_b32_e32 v1, s63
	v_add_co_u32_e32 v0, vcc, s33, v16
	v_addc_co_u32_e32 v1, vcc, v17, v1, vcc
	v_cmp_gt_i64_e32 vcc, s[24:25], v[0:1]
	s_and_saveexec_b64 s[36:37], vcc
	s_cbranch_execz .LBB45_8
; %bb.40:                               ;   in Loop: Header=BB45_9 Depth=1
	s_and_b64 vcc, exec, s[0:1]
	s_cbranch_vccnz .LBB45_46
; %bb.41:                               ;   in Loop: Header=BB45_9 Depth=1
	s_andn2_b64 vcc, exec, s[42:43]
	s_cbranch_vccnz .LBB45_47
; %bb.42:                               ;   in Loop: Header=BB45_9 Depth=1
	s_mov_b32 s2, 0
	s_andn2_b64 vcc, exec, s[52:53]
	v_mov_b32_e32 v8, 0
	s_cbranch_vccnz .LBB45_48
; %bb.43:                               ;   in Loop: Header=BB45_9 Depth=1
	s_waitcnt lgkmcnt(0)
	s_mov_b32 s49, 0
	v_mov_b32_e32 v8, 0
	s_mov_b64 s[38:39], s[34:35]
	s_mov_b64 s[58:59], s[44:45]
	v_mov_b32_e32 v1, v0
.LBB45_44:                              ;   Parent Loop BB45_9 Depth=1
                                        ; =>  This Inner Loop Header: Depth=2
	s_load_dwordx8 s[0:7], s[38:39], 0x4
	s_load_dwordx4 s[16:19], s[38:39], 0x24
	s_load_dwordx4 s[20:23], s[58:59], 0x0
	s_add_u32 s38, s38, 48
	s_addc_u32 s39, s39, 0
	s_waitcnt lgkmcnt(0)
	v_mul_hi_u32 v7, s1, v1
	v_add_u32_e32 v7, v1, v7
	v_lshrrev_b32_e32 v7, s2, v7
	v_mul_lo_u32 v9, v7, s0
	v_mul_hi_u32 v10, s4, v7
	v_sub_u32_e32 v1, v1, v9
	v_add_u32_e32 v9, v7, v10
	v_lshrrev_b32_e32 v9, s5, v9
	v_mul_lo_u32 v10, v9, s3
	v_mul_hi_u32 v11, s7, v9
	v_sub_u32_e32 v7, v7, v10
	v_add_u32_e32 v10, v9, v11
	v_mul_lo_u32 v1, v1, s20
	v_mul_lo_u32 v7, v7, s21
	v_lshrrev_b32_e32 v10, s16, v10
	v_add3_u32 v7, v1, v8, v7
	v_mul_lo_u32 v1, v10, s6
	v_mul_hi_u32 v8, s18, v10
	v_sub_u32_e32 v1, v9, v1
	v_add_u32_e32 v8, v10, v8
	v_mul_lo_u32 v9, v1, s22
	v_lshrrev_b32_e32 v1, s19, v8
	s_add_i32 s49, s49, 4
	v_mul_lo_u32 v8, v1, s17
	s_add_u32 s58, s58, 16
	v_sub_u32_e32 v8, v10, v8
	s_addc_u32 s59, s59, 0
	v_mul_lo_u32 v8, v8, s23
	s_cmp_eq_u32 s15, s49
	v_add3_u32 v8, v9, v7, v8
	s_cbranch_scc0 .LBB45_44
; %bb.45:                               ;   in Loop: Header=BB45_9 Depth=1
	s_mov_b32 s2, s15
	s_andn2_b64 vcc, exec, s[56:57]
	s_cbranch_vccz .LBB45_49
	s_branch .LBB45_51
.LBB45_46:                              ;   in Loop: Header=BB45_9 Depth=1
                                        ; implicit-def: $vgpr8
	s_branch .LBB45_52
.LBB45_47:                              ;   in Loop: Header=BB45_9 Depth=1
	v_mov_b32_e32 v8, 0
	s_branch .LBB45_51
.LBB45_48:                              ;   in Loop: Header=BB45_9 Depth=1
	v_mov_b32_e32 v1, v0
	s_andn2_b64 vcc, exec, s[56:57]
	s_cbranch_vccnz .LBB45_51
.LBB45_49:                              ;   in Loop: Header=BB45_9 Depth=1
	s_lshl_b32 s0, s2, 2
	s_add_u32 s0, s44, s0
	s_addc_u32 s1, s45, 0
	s_mul_i32 s2, s2, 12
	s_add_u32 s2, s34, s2
	s_addc_u32 s3, s35, 0
	s_mov_b32 s4, s13
.LBB45_50:                              ;   Parent Loop BB45_9 Depth=1
                                        ; =>  This Inner Loop Header: Depth=2
	s_load_dwordx2 s[6:7], s[2:3], 0x4
	s_load_dword s5, s[2:3], 0xc
	s_load_dword s16, s[0:1], 0x0
	s_add_u32 s2, s2, 12
	s_addc_u32 s3, s3, 0
	s_waitcnt lgkmcnt(0)
	v_mul_hi_u32 v7, s7, v1
	v_add_u32_e32 v7, v1, v7
	v_lshrrev_b32_e32 v7, s5, v7
	s_add_u32 s0, s0, 4
	v_mul_lo_u32 v9, v7, s6
	s_addc_u32 s1, s1, 0
	s_add_i32 s4, s4, -1
	v_sub_u32_e32 v9, v1, v9
	s_cmp_lg_u32 s4, 0
	v_mov_b32_e32 v1, v7
	v_mad_u64_u32 v[8:9], s[6:7], v9, s16, v[8:9]
	s_cbranch_scc1 .LBB45_50
.LBB45_51:                              ;   in Loop: Header=BB45_9 Depth=1
	s_cbranch_execnz .LBB45_54
.LBB45_52:                              ;   in Loop: Header=BB45_9 Depth=1
	v_mul_hi_u32 v1, v0, s10
	v_add_u32_e32 v1, v1, v0
	v_lshrrev_b32_e32 v1, s11, v1
	v_mul_lo_u32 v7, v1, s9
	v_sub_u32_e32 v0, v0, v7
	s_andn2_b64 vcc, exec, s[46:47]
	s_waitcnt lgkmcnt(0)
	v_mul_lo_u32 v8, v0, s50
	s_cbranch_vccnz .LBB45_54
; %bb.53:                               ;   in Loop: Header=BB45_9 Depth=1
	v_mul_hi_u32 v0, s8, v1
	v_add_u32_e32 v0, v1, v0
	v_lshrrev_b32_e32 v0, s14, v0
	v_mul_lo_u32 v0, v0, s12
	v_sub_u32_e32 v0, v1, v0
	v_mad_u64_u32 v[8:9], s[0:1], v0, s51, v[8:9]
.LBB45_54:                              ;   in Loop: Header=BB45_9 Depth=1
	s_waitcnt lgkmcnt(0)
	v_or_b32_e32 v15, s31, v2
	v_cmp_ne_u64_e32 vcc, 0, v[14:15]
                                        ; implicit-def: $vgpr10_vgpr11
	s_and_saveexec_b64 s[0:1], vcc
	s_xor_b64 s[2:3], exec, s[0:1]
	s_cbranch_execz .LBB45_56
; %bb.55:                               ;   in Loop: Header=BB45_9 Depth=1
	v_cvt_f32_u32_e32 v0, s30
	v_cvt_f32_u32_e32 v1, s31
	s_sub_u32 s0, 0, s30
	s_subb_u32 s1, 0, s31
	v_mac_f32_e32 v0, 0x4f800000, v1
	v_rcp_f32_e32 v0, v0
	v_mul_f32_e32 v0, 0x5f7ffffc, v0
	v_mul_f32_e32 v1, 0x2f800000, v0
	v_trunc_f32_e32 v1, v1
	v_mac_f32_e32 v0, 0xcf800000, v1
	v_cvt_u32_f32_e32 v1, v1
	v_cvt_u32_f32_e32 v0, v0
	v_mul_lo_u32 v7, s0, v1
	v_mul_hi_u32 v10, s0, v0
	v_mul_lo_u32 v9, s1, v0
	v_add_u32_e32 v7, v10, v7
	v_mul_lo_u32 v11, s0, v0
	v_add_u32_e32 v7, v7, v9
	v_mul_hi_u32 v10, v0, v11
	v_mul_lo_u32 v15, v0, v7
	v_mul_hi_u32 v9, v0, v7
	v_add_co_u32_e32 v10, vcc, v10, v15
	v_addc_co_u32_e32 v9, vcc, 0, v9, vcc
	v_mul_hi_u32 v19, v1, v11
	v_mul_lo_u32 v11, v1, v11
	v_add_co_u32_e32 v10, vcc, v10, v11
	v_mul_hi_u32 v15, v1, v7
	v_addc_co_u32_e32 v9, vcc, v9, v19, vcc
	v_addc_co_u32_e32 v10, vcc, 0, v15, vcc
	v_mul_lo_u32 v7, v1, v7
	v_add_co_u32_e32 v7, vcc, v9, v7
	v_addc_co_u32_e32 v9, vcc, 0, v10, vcc
	v_add_co_u32_e32 v0, vcc, v0, v7
	v_addc_co_u32_e32 v1, vcc, v1, v9, vcc
	v_mul_lo_u32 v7, s0, v1
	v_mul_hi_u32 v9, s0, v0
	v_add_u32_e32 v7, v9, v7
	v_mul_lo_u32 v9, s1, v0
	v_add_u32_e32 v7, v7, v9
	v_mul_lo_u32 v10, s0, v0
	v_mul_hi_u32 v11, v1, v10
	v_mul_lo_u32 v15, v1, v10
	v_mul_lo_u32 v43, v0, v7
	v_mul_hi_u32 v10, v0, v10
	v_mul_hi_u32 v19, v0, v7
	v_add_co_u32_e32 v10, vcc, v10, v43
	v_addc_co_u32_e32 v19, vcc, 0, v19, vcc
	v_add_co_u32_e32 v10, vcc, v10, v15
	v_mul_hi_u32 v9, v1, v7
	v_addc_co_u32_e32 v10, vcc, v19, v11, vcc
	v_addc_co_u32_e32 v9, vcc, 0, v9, vcc
	v_mul_lo_u32 v7, v1, v7
	v_add_co_u32_e32 v7, vcc, v10, v7
	v_addc_co_u32_e32 v9, vcc, 0, v9, vcc
	v_add_co_u32_e32 v7, vcc, v0, v7
	v_addc_co_u32_e32 v9, vcc, v1, v9, vcc
	v_mad_u64_u32 v[0:1], s[0:1], v3, v9, 0
	v_mul_hi_u32 v10, v3, v7
	v_add_co_u32_e32 v15, vcc, v10, v0
	v_addc_co_u32_e32 v19, vcc, 0, v1, vcc
	v_mad_u64_u32 v[10:11], s[0:1], v2, v7, 0
	v_add_co_u32_e32 v7, vcc, v15, v10
	v_mad_u64_u32 v[0:1], s[0:1], v2, v9, 0
	v_addc_co_u32_e32 v7, vcc, v19, v11, vcc
	v_addc_co_u32_e32 v1, vcc, 0, v1, vcc
	v_add_co_u32_e32 v0, vcc, v7, v0
	v_addc_co_u32_e32 v1, vcc, 0, v1, vcc
	v_mul_lo_u32 v7, s31, v0
	v_mul_lo_u32 v9, s30, v1
	v_mad_u64_u32 v[0:1], s[0:1], s30, v0, 0
	v_add3_u32 v1, v1, v9, v7
	v_sub_u32_e32 v7, v2, v1
	v_mov_b32_e32 v9, s31
	v_sub_co_u32_e32 v0, vcc, v3, v0
	v_subb_co_u32_e64 v3, s[0:1], v7, v9, vcc
	v_subrev_co_u32_e64 v7, s[0:1], s30, v0
	v_subbrev_co_u32_e64 v3, s[0:1], 0, v3, s[0:1]
	v_cmp_le_u32_e64 s[0:1], s31, v3
	v_subb_co_u32_e32 v1, vcc, v2, v1, vcc
	v_cndmask_b32_e64 v9, 0, -1, s[0:1]
	v_cmp_le_u32_e64 s[0:1], s30, v7
	v_cmp_le_u32_e32 vcc, s31, v1
	v_cndmask_b32_e64 v10, 0, -1, s[0:1]
	v_cmp_eq_u32_e64 s[0:1], s31, v3
	v_cndmask_b32_e64 v2, 0, -1, vcc
	v_cmp_le_u32_e32 vcc, s30, v0
	v_cndmask_b32_e64 v3, v9, v10, s[0:1]
	v_cndmask_b32_e64 v10, 0, -1, vcc
	v_cmp_eq_u32_e32 vcc, s31, v1
	v_subrev_co_u32_e64 v9, s[0:1], s30, v7
	v_cndmask_b32_e32 v1, v2, v10, vcc
	v_cmp_ne_u32_e32 vcc, 0, v3
	v_cndmask_b32_e32 v2, v7, v9, vcc
	v_cmp_ne_u32_e32 vcc, 0, v1
	v_cndmask_b32_e32 v10, v0, v2, vcc
                                        ; implicit-def: $vgpr0_vgpr1_vgpr2_vgpr3
.LBB45_56:                              ;   in Loop: Header=BB45_9 Depth=1
	s_andn2_saveexec_b64 s[0:1], s[2:3]
	s_cbranch_execz .LBB45_7
; %bb.57:                               ;   in Loop: Header=BB45_9 Depth=1
	v_cvt_f32_u32_e32 v0, s30
	s_sub_i32 s2, 0, s30
	v_rcp_iflag_f32_e32 v0, v0
	v_mul_f32_e32 v0, 0x4f7ffffe, v0
	v_cvt_u32_f32_e32 v0, v0
	v_mul_lo_u32 v1, s2, v0
	v_mul_hi_u32 v1, v0, v1
	v_add_u32_e32 v0, v0, v1
	v_mul_hi_u32 v0, v3, v0
	v_mul_lo_u32 v0, v0, s30
	v_sub_u32_e32 v0, v3, v0
	v_subrev_u32_e32 v1, s30, v0
	v_cmp_le_u32_e32 vcc, s30, v0
	v_cndmask_b32_e32 v0, v0, v1, vcc
	v_subrev_u32_e32 v1, s30, v0
	v_cmp_le_u32_e32 vcc, s30, v0
	v_cndmask_b32_e32 v10, v0, v1, vcc
	s_branch .LBB45_7
.LBB45_58:
	s_endpgm
.LBB45_59:
                                        ; implicit-def: $sgpr2_sgpr3
	s_andn2_b64 vcc, exec, s[0:1]
	s_cbranch_vccz .LBB45_4
	s_branch .LBB45_5
	.section	.rodata,"a",@progbits
	.p2align	6, 0x0
	.amdhsa_kernel _ZN2at6native12_GLOBAL__N_143distribution_elementwise_grid_stride_kernelImLi2EZZZNS0_9templates4cuda21random_from_to_kernelIPNS_17CUDAGeneratorImplEEEvRNS_18TensorIteratorBaseEmlT_ENKUlvE_clEvENKUlvE10_clEvEUlP25hiprandStatePhilox4_32_10E_ZNS1_27distribution_nullary_kernelIjm15HIP_vector_typeIyLj2EES7_SF_ZZZNS5_IS7_EEvS9_mlSA_ENKSB_clEvENKSC_clEvEUlmE_EEvS9_T2_RKT3_T4_EUlimE0_EEvlNS_15PhiloxCudaStateET1_SK_
		.amdhsa_group_segment_fixed_size 0
		.amdhsa_private_segment_fixed_size 0
		.amdhsa_kernarg_size 592
		.amdhsa_user_sgpr_count 6
		.amdhsa_user_sgpr_private_segment_buffer 1
		.amdhsa_user_sgpr_dispatch_ptr 0
		.amdhsa_user_sgpr_queue_ptr 0
		.amdhsa_user_sgpr_kernarg_segment_ptr 1
		.amdhsa_user_sgpr_dispatch_id 0
		.amdhsa_user_sgpr_flat_scratch_init 0
		.amdhsa_user_sgpr_kernarg_preload_length 0
		.amdhsa_user_sgpr_kernarg_preload_offset 0
		.amdhsa_user_sgpr_private_segment_size 0
		.amdhsa_uses_dynamic_stack 0
		.amdhsa_system_sgpr_private_segment_wavefront_offset 0
		.amdhsa_system_sgpr_workgroup_id_x 1
		.amdhsa_system_sgpr_workgroup_id_y 0
		.amdhsa_system_sgpr_workgroup_id_z 0
		.amdhsa_system_sgpr_workgroup_info 0
		.amdhsa_system_vgpr_workitem_id 0
		.amdhsa_next_free_vgpr 46
		.amdhsa_next_free_sgpr 66
		.amdhsa_accum_offset 48
		.amdhsa_reserve_vcc 1
		.amdhsa_reserve_flat_scratch 0
		.amdhsa_float_round_mode_32 0
		.amdhsa_float_round_mode_16_64 0
		.amdhsa_float_denorm_mode_32 3
		.amdhsa_float_denorm_mode_16_64 3
		.amdhsa_dx10_clamp 1
		.amdhsa_ieee_mode 1
		.amdhsa_fp16_overflow 0
		.amdhsa_tg_split 0
		.amdhsa_exception_fp_ieee_invalid_op 0
		.amdhsa_exception_fp_denorm_src 0
		.amdhsa_exception_fp_ieee_div_zero 0
		.amdhsa_exception_fp_ieee_overflow 0
		.amdhsa_exception_fp_ieee_underflow 0
		.amdhsa_exception_fp_ieee_inexact 0
		.amdhsa_exception_int_div_zero 0
	.end_amdhsa_kernel
	.section	.text._ZN2at6native12_GLOBAL__N_143distribution_elementwise_grid_stride_kernelImLi2EZZZNS0_9templates4cuda21random_from_to_kernelIPNS_17CUDAGeneratorImplEEEvRNS_18TensorIteratorBaseEmlT_ENKUlvE_clEvENKUlvE10_clEvEUlP25hiprandStatePhilox4_32_10E_ZNS1_27distribution_nullary_kernelIjm15HIP_vector_typeIyLj2EES7_SF_ZZZNS5_IS7_EEvS9_mlSA_ENKSB_clEvENKSC_clEvEUlmE_EEvS9_T2_RKT3_T4_EUlimE0_EEvlNS_15PhiloxCudaStateET1_SK_,"axG",@progbits,_ZN2at6native12_GLOBAL__N_143distribution_elementwise_grid_stride_kernelImLi2EZZZNS0_9templates4cuda21random_from_to_kernelIPNS_17CUDAGeneratorImplEEEvRNS_18TensorIteratorBaseEmlT_ENKUlvE_clEvENKUlvE10_clEvEUlP25hiprandStatePhilox4_32_10E_ZNS1_27distribution_nullary_kernelIjm15HIP_vector_typeIyLj2EES7_SF_ZZZNS5_IS7_EEvS9_mlSA_ENKSB_clEvENKSC_clEvEUlmE_EEvS9_T2_RKT3_T4_EUlimE0_EEvlNS_15PhiloxCudaStateET1_SK_,comdat
.Lfunc_end45:
	.size	_ZN2at6native12_GLOBAL__N_143distribution_elementwise_grid_stride_kernelImLi2EZZZNS0_9templates4cuda21random_from_to_kernelIPNS_17CUDAGeneratorImplEEEvRNS_18TensorIteratorBaseEmlT_ENKUlvE_clEvENKUlvE10_clEvEUlP25hiprandStatePhilox4_32_10E_ZNS1_27distribution_nullary_kernelIjm15HIP_vector_typeIyLj2EES7_SF_ZZZNS5_IS7_EEvS9_mlSA_ENKSB_clEvENKSC_clEvEUlmE_EEvS9_T2_RKT3_T4_EUlimE0_EEvlNS_15PhiloxCudaStateET1_SK_, .Lfunc_end45-_ZN2at6native12_GLOBAL__N_143distribution_elementwise_grid_stride_kernelImLi2EZZZNS0_9templates4cuda21random_from_to_kernelIPNS_17CUDAGeneratorImplEEEvRNS_18TensorIteratorBaseEmlT_ENKUlvE_clEvENKUlvE10_clEvEUlP25hiprandStatePhilox4_32_10E_ZNS1_27distribution_nullary_kernelIjm15HIP_vector_typeIyLj2EES7_SF_ZZZNS5_IS7_EEvS9_mlSA_ENKSB_clEvENKSC_clEvEUlmE_EEvS9_T2_RKT3_T4_EUlimE0_EEvlNS_15PhiloxCudaStateET1_SK_
                                        ; -- End function
	.section	.AMDGPU.csdata,"",@progbits
; Kernel info:
; codeLenInByte = 4592
; NumSgprs: 70
; NumVgprs: 46
; NumAgprs: 0
; TotalNumVgprs: 46
; ScratchSize: 0
; MemoryBound: 0
; FloatMode: 240
; IeeeMode: 1
; LDSByteSize: 0 bytes/workgroup (compile time only)
; SGPRBlocks: 8
; VGPRBlocks: 5
; NumSGPRsForWavesPerEU: 70
; NumVGPRsForWavesPerEU: 46
; AccumOffset: 48
; Occupancy: 8
; WaveLimiterHint : 1
; COMPUTE_PGM_RSRC2:SCRATCH_EN: 0
; COMPUTE_PGM_RSRC2:USER_SGPR: 6
; COMPUTE_PGM_RSRC2:TRAP_HANDLER: 0
; COMPUTE_PGM_RSRC2:TGID_X_EN: 1
; COMPUTE_PGM_RSRC2:TGID_Y_EN: 0
; COMPUTE_PGM_RSRC2:TGID_Z_EN: 0
; COMPUTE_PGM_RSRC2:TIDIG_COMP_CNT: 0
; COMPUTE_PGM_RSRC3_GFX90A:ACCUM_OFFSET: 11
; COMPUTE_PGM_RSRC3_GFX90A:TG_SPLIT: 0
	.section	.text._ZN2at6native12_GLOBAL__N_143distribution_elementwise_grid_stride_kernelIjLi4EZZZNS0_9templates4cuda21random_from_to_kernelIPNS_17CUDAGeneratorImplEEEvRNS_18TensorIteratorBaseEmlT_ENKUlvE_clEvENKUlvE10_clEvEUlP25hiprandStatePhilox4_32_10E0_ZNS1_27distribution_nullary_kernelIjj15HIP_vector_typeIjLj4EES7_SF_ZZZNS5_IS7_EEvS9_mlSA_ENKSB_clEvENKSC_clEvEUljE_EEvS9_T2_RKT3_T4_EUlijE_EEvlNS_15PhiloxCudaStateET1_SK_,"axG",@progbits,_ZN2at6native12_GLOBAL__N_143distribution_elementwise_grid_stride_kernelIjLi4EZZZNS0_9templates4cuda21random_from_to_kernelIPNS_17CUDAGeneratorImplEEEvRNS_18TensorIteratorBaseEmlT_ENKUlvE_clEvENKUlvE10_clEvEUlP25hiprandStatePhilox4_32_10E0_ZNS1_27distribution_nullary_kernelIjj15HIP_vector_typeIjLj4EES7_SF_ZZZNS5_IS7_EEvS9_mlSA_ENKSB_clEvENKSC_clEvEUljE_EEvS9_T2_RKT3_T4_EUlijE_EEvlNS_15PhiloxCudaStateET1_SK_,comdat
	.globl	_ZN2at6native12_GLOBAL__N_143distribution_elementwise_grid_stride_kernelIjLi4EZZZNS0_9templates4cuda21random_from_to_kernelIPNS_17CUDAGeneratorImplEEEvRNS_18TensorIteratorBaseEmlT_ENKUlvE_clEvENKUlvE10_clEvEUlP25hiprandStatePhilox4_32_10E0_ZNS1_27distribution_nullary_kernelIjj15HIP_vector_typeIjLj4EES7_SF_ZZZNS5_IS7_EEvS9_mlSA_ENKSB_clEvENKSC_clEvEUljE_EEvS9_T2_RKT3_T4_EUlijE_EEvlNS_15PhiloxCudaStateET1_SK_ ; -- Begin function _ZN2at6native12_GLOBAL__N_143distribution_elementwise_grid_stride_kernelIjLi4EZZZNS0_9templates4cuda21random_from_to_kernelIPNS_17CUDAGeneratorImplEEEvRNS_18TensorIteratorBaseEmlT_ENKUlvE_clEvENKUlvE10_clEvEUlP25hiprandStatePhilox4_32_10E0_ZNS1_27distribution_nullary_kernelIjj15HIP_vector_typeIjLj4EES7_SF_ZZZNS5_IS7_EEvS9_mlSA_ENKSB_clEvENKSC_clEvEUljE_EEvS9_T2_RKT3_T4_EUlijE_EEvlNS_15PhiloxCudaStateET1_SK_
	.p2align	8
	.type	_ZN2at6native12_GLOBAL__N_143distribution_elementwise_grid_stride_kernelIjLi4EZZZNS0_9templates4cuda21random_from_to_kernelIPNS_17CUDAGeneratorImplEEEvRNS_18TensorIteratorBaseEmlT_ENKUlvE_clEvENKUlvE10_clEvEUlP25hiprandStatePhilox4_32_10E0_ZNS1_27distribution_nullary_kernelIjj15HIP_vector_typeIjLj4EES7_SF_ZZZNS5_IS7_EEvS9_mlSA_ENKSB_clEvENKSC_clEvEUljE_EEvS9_T2_RKT3_T4_EUlijE_EEvlNS_15PhiloxCudaStateET1_SK_,@function
_ZN2at6native12_GLOBAL__N_143distribution_elementwise_grid_stride_kernelIjLi4EZZZNS0_9templates4cuda21random_from_to_kernelIPNS_17CUDAGeneratorImplEEEvRNS_18TensorIteratorBaseEmlT_ENKUlvE_clEvENKUlvE10_clEvEUlP25hiprandStatePhilox4_32_10E0_ZNS1_27distribution_nullary_kernelIjj15HIP_vector_typeIjLj4EES7_SF_ZZZNS5_IS7_EEvS9_mlSA_ENKSB_clEvENKSC_clEvEUljE_EEvS9_T2_RKT3_T4_EUlijE_EEvlNS_15PhiloxCudaStateET1_SK_: ; @_ZN2at6native12_GLOBAL__N_143distribution_elementwise_grid_stride_kernelIjLi4EZZZNS0_9templates4cuda21random_from_to_kernelIPNS_17CUDAGeneratorImplEEEvRNS_18TensorIteratorBaseEmlT_ENKUlvE_clEvENKUlvE10_clEvEUlP25hiprandStatePhilox4_32_10E0_ZNS1_27distribution_nullary_kernelIjj15HIP_vector_typeIjLj4EES7_SF_ZZZNS5_IS7_EEvS9_mlSA_ENKSB_clEvENKSC_clEvEUljE_EEvS9_T2_RKT3_T4_EUlijE_EEvlNS_15PhiloxCudaStateET1_SK_
; %bb.0:
	s_load_dword s7, s[4:5], 0x20
	s_load_dwordx2 s[10:11], s[4:5], 0x10
	s_load_dwordx4 s[0:3], s[4:5], 0x0
	s_mov_b32 s8, 0
	s_waitcnt lgkmcnt(0)
	s_bitcmp0_b32 s7, 0
	v_pk_mov_b32 v[2:3], s[10:11], s[10:11] op_sel:[0,1]
	v_pk_mov_b32 v[14:15], s[2:3], s[2:3] op_sel:[0,1]
	s_cbranch_scc1 .LBB46_2
; %bb.1:
	v_pk_mov_b32 v[2:3], s[10:11], s[10:11] op_sel:[0,1]
	flat_load_dwordx2 v[2:3], v[2:3]
	v_pk_mov_b32 v[4:5], s[2:3], s[2:3] op_sel:[0,1]
	flat_load_dwordx2 v[14:15], v[4:5]
	s_load_dwordx2 s[2:3], s[4:5], 0x18
	s_waitcnt lgkmcnt(0)
	v_mov_b32_e32 v1, s3
	s_waitcnt vmcnt(0)
	v_add_co_u32_e32 v2, vcc, s2, v2
	v_addc_co_u32_e32 v3, vcc, v3, v1, vcc
.LBB46_2:
	s_load_dword s2, s[4:5], 0x5c
	s_load_dword s14, s[4:5], 0x50
	s_waitcnt lgkmcnt(0)
	s_and_b32 s7, s2, 0xffff
	s_add_u32 s10, s0, -1
	s_mul_i32 s16, s14, s7
	s_addc_u32 s9, s1, -1
	s_lshl_b32 s17, s16, 2
	s_cmp_lg_u64 s[8:9], 0
	s_mov_b64 s[2:3], -1
	s_cbranch_scc0 .LBB46_35
; %bb.3:
	v_cvt_f32_u32_e32 v1, s17
	v_cvt_f32_ubyte0_e32 v4, 0
	s_sub_u32 s8, 0, s17
	s_subb_u32 s11, 0, 0
	v_madmk_f32 v1, v4, 0x4f800000, v1
	v_rcp_f32_e32 v1, v1
	v_mul_f32_e32 v1, 0x5f7ffffc, v1
	v_mul_f32_e32 v4, 0x2f800000, v1
	v_trunc_f32_e32 v4, v4
	v_madmk_f32 v1, v4, 0xcf800000, v1
	v_cvt_u32_f32_e32 v4, v4
	v_cvt_u32_f32_e32 v1, v1
	v_readfirstlane_b32 s12, v4
	v_readfirstlane_b32 s13, v1
	s_mul_i32 s15, s8, s12
	s_mul_hi_u32 s19, s8, s13
	s_mul_i32 s18, s11, s13
	s_add_i32 s15, s19, s15
	s_add_i32 s15, s15, s18
	s_mul_i32 s20, s8, s13
	s_mul_hi_u32 s18, s13, s15
	s_mul_i32 s19, s13, s15
	s_mul_hi_u32 s13, s13, s20
	s_add_u32 s13, s13, s19
	s_addc_u32 s18, 0, s18
	s_mul_hi_u32 s21, s12, s20
	s_mul_i32 s20, s12, s20
	s_add_u32 s13, s13, s20
	s_mul_hi_u32 s19, s12, s15
	s_addc_u32 s13, s18, s21
	s_addc_u32 s18, s19, 0
	s_mul_i32 s15, s12, s15
	s_add_u32 s13, s13, s15
	s_addc_u32 s15, 0, s18
	v_add_co_u32_e32 v1, vcc, s13, v1
	s_cmp_lg_u64 vcc, 0
	s_addc_u32 s12, s12, s15
	v_readfirstlane_b32 s15, v1
	s_mul_i32 s13, s8, s12
	s_mul_hi_u32 s18, s8, s15
	s_add_i32 s13, s18, s13
	s_mul_i32 s11, s11, s15
	s_add_i32 s13, s13, s11
	s_mul_i32 s8, s8, s15
	s_mul_hi_u32 s18, s12, s8
	s_mul_i32 s19, s12, s8
	s_mul_i32 s21, s15, s13
	s_mul_hi_u32 s8, s15, s8
	s_mul_hi_u32 s20, s15, s13
	s_add_u32 s8, s8, s21
	s_addc_u32 s15, 0, s20
	s_add_u32 s8, s8, s19
	s_mul_hi_u32 s11, s12, s13
	s_addc_u32 s8, s15, s18
	s_addc_u32 s11, s11, 0
	s_mul_i32 s13, s12, s13
	s_add_u32 s8, s8, s13
	s_addc_u32 s11, 0, s11
	v_add_co_u32_e32 v1, vcc, s8, v1
	s_cmp_lg_u64 vcc, 0
	s_addc_u32 s11, s12, s11
	s_ashr_i32 s12, s9, 31
	s_add_u32 s8, s10, s12
	s_mov_b32 s13, s12
	s_addc_u32 s9, s9, s12
	s_xor_b64 s[8:9], s[8:9], s[12:13]
	v_readfirstlane_b32 s19, v1
	s_mul_i32 s18, s8, s11
	s_mul_hi_u32 s20, s8, s19
	s_mul_hi_u32 s15, s8, s11
	s_add_u32 s18, s20, s18
	s_addc_u32 s15, 0, s15
	s_mul_hi_u32 s21, s9, s19
	s_mul_i32 s19, s9, s19
	s_add_u32 s18, s18, s19
	s_mul_hi_u32 s20, s9, s11
	s_addc_u32 s15, s15, s21
	s_addc_u32 s18, s20, 0
	s_mul_i32 s11, s9, s11
	s_add_u32 s11, s15, s11
	s_addc_u32 s15, 0, s18
	s_add_u32 s18, s11, 1
	s_addc_u32 s19, s15, 0
	s_add_u32 s20, s11, 2
	s_mul_i32 s22, s17, s15
	s_mul_hi_u32 s23, s17, s11
	s_addc_u32 s21, s15, 0
	s_add_i32 s23, s23, s22
	s_mul_i32 s22, s17, s11
	v_mov_b32_e32 v1, s22
	v_sub_co_u32_e32 v1, vcc, s8, v1
	s_cmp_lg_u64 vcc, 0
	s_subb_u32 s8, s9, s23
	v_subrev_co_u32_e32 v4, vcc, s17, v1
	s_cmp_lg_u64 vcc, 0
	s_subb_u32 s9, s8, 0
	v_readfirstlane_b32 s22, v4
	s_cmp_ge_u32 s22, s17
	s_cselect_b32 s22, -1, 0
	s_cmp_eq_u32 s9, 0
	s_cselect_b32 s9, s22, -1
	s_cmp_lg_u32 s9, 0
	s_cselect_b32 s9, s21, s19
	v_readfirstlane_b32 s19, v1
	s_cselect_b32 s18, s20, s18
	s_cmp_ge_u32 s19, s17
	s_cselect_b32 s19, -1, 0
	s_cmp_eq_u32 s8, 0
	s_cselect_b32 s8, s19, -1
	s_cmp_lg_u32 s8, 0
	s_cselect_b32 s9, s9, s15
	s_cselect_b32 s8, s18, s11
	s_xor_b64 s[8:9], s[8:9], s[12:13]
	s_sub_u32 s8, s8, s12
	s_subb_u32 s9, s9, s12
	s_cbranch_execnz .LBB46_5
.LBB46_4:
	v_cvt_f32_u32_e32 v1, s17
	s_sub_i32 s2, 0, s17
	s_mov_b32 s9, 0
	v_rcp_iflag_f32_e32 v1, v1
	v_mul_f32_e32 v1, 0x4f7ffffe, v1
	v_cvt_u32_f32_e32 v1, v1
	v_readfirstlane_b32 s3, v1
	s_mul_i32 s2, s2, s3
	s_mul_hi_u32 s2, s3, s2
	s_add_i32 s3, s3, s2
	s_mul_hi_u32 s2, s10, s3
	s_mul_i32 s8, s2, s17
	s_sub_i32 s8, s10, s8
	s_add_i32 s3, s2, 1
	s_sub_i32 s10, s8, s17
	s_cmp_ge_u32 s8, s17
	s_cselect_b32 s2, s3, s2
	s_cselect_b32 s8, s10, s8
	s_add_i32 s3, s2, 1
	s_cmp_ge_u32 s8, s17
	s_cselect_b32 s8, s3, s2
.LBB46_5:
	v_mov_b32_e32 v1, 0
	v_mov_b32_e32 v4, s6
	v_mad_u64_u32 v[16:17], s[2:3], s7, v4, v[0:1]
	s_add_u32 s2, s8, 1
	s_addc_u32 s3, s9, 0
	s_mul_hi_u32 s8, s14, s7
	s_mul_i32 s3, s16, s3
	s_mul_hi_u32 s9, s16, s2
	s_add_i32 s3, s9, s3
	s_mul_i32 s8, s8, s2
	s_add_i32 s3, s3, s8
	s_mul_i32 s2, s16, s2
	s_lshl_b64 s[2:3], s[2:3], 2
	v_cmp_gt_i64_e32 vcc, s[2:3], v[16:17]
	s_and_saveexec_b64 s[8:9], vcc
	s_cbranch_execz .LBB46_34
; %bb.6:
	s_load_dwordx2 s[12:13], s[4:5], 0x30
	s_load_dword s15, s[4:5], 0x38
	s_load_dwordx4 s[8:11], s[4:5], 0x40
	v_mov_b32_e32 v4, v15
	s_mov_b32 s4, 0xdb3d7428
	v_add_co_u32_e32 v23, vcc, s4, v4
	s_mov_b32 s4, 0x5384540f
	v_add_co_u32_e32 v24, vcc, s4, v14
	;; [unrolled: 2-line block ×7, first 2 shown]
	s_mov_b32 s4, 0x9e3779b9
	v_alignbit_b32 v31, v3, v2, 2
	s_mov_b32 s18, 0xd2511f53
	v_add_co_u32_e32 v30, vcc, s4, v14
	v_mad_u64_u32 v[6:7], s[4:5], v31, s18, 0
	v_and_b32_e32 v20, 3, v2
	v_xor_b32_e32 v2, v7, v15
	v_xor_b32_e32 v2, v2, v17
	s_mov_b32 s19, 0xcd9e8d57
	v_mad_u64_u32 v[8:9], s[4:5], v2, s19, 0
	v_xor_b32_e32 v2, v30, v9
	v_mad_u64_u32 v[10:11], s[4:5], v16, s19, 0
	v_xor_b32_e32 v2, v2, v10
	;; [unrolled: 2-line block ×3, first 2 shown]
	v_lshrrev_b32_e32 v32, 2, v3
	v_xor_b32_e32 v2, v2, v32
	v_xor_b32_e32 v5, v29, v13
	v_mad_u64_u32 v[2:3], s[4:5], v2, s18, 0
	v_xor_b32_e32 v2, v5, v2
	v_mad_u64_u32 v[10:11], s[4:5], v2, s19, 0
	s_mov_b32 s4, 0xbb67ae85
	v_add_co_u32_e32 v33, vcc, s4, v4
	v_xor_b32_e32 v2, v33, v3
	v_xor_b32_e32 v2, v2, v6
	v_xor_b32_e32 v5, v28, v11
	v_mad_u64_u32 v[2:3], s[4:5], v2, s19, 0
	v_xor_b32_e32 v2, v5, v2
	v_mad_u64_u32 v[6:7], s[4:5], v2, s18, 0
	s_mov_b32 s4, 0x3c6ef372
	v_add_co_u32_e32 v34, vcc, s4, v14
	v_xor_b32_e32 v2, v34, v3
	;; [unrolled: 8-line block ×7, first 2 shown]
	v_xor_b32_e32 v2, v2, v12
	v_mad_u64_u32 v[2:3], s[4:5], v2, s19, 0
	s_mov_b32 s4, 0xf1bbcdc8
	v_add_co_u32_e32 v40, vcc, s4, v14
	v_xor_b32_e32 v3, v40, v3
	v_xor_b32_e32 v3, v3, v10
	v_mad_u64_u32 v[10:11], s[4:5], v3, s18, 0
	s_mul_i32 s4, s6, s7
	v_xor_b32_e32 v3, v11, v6
	v_add_u32_e32 v6, s4, v0
	s_waitcnt lgkmcnt(0)
	s_mul_i32 s4, s14, s15
	s_mul_i32 s4, s4, s7
	s_lshl_b32 s24, s4, 2
	s_mul_i32 s4, s14, 3
	s_add_i32 s4, s6, s4
	s_mul_i32 s4, s4, s7
	v_mul_lo_u32 v41, s15, v6
	v_add_u32_e32 v6, s4, v0
	s_lshl_b32 s4, s14, 1
	s_add_i32 s4, s6, s4
	s_mul_i32 s4, s4, s7
	v_mul_lo_u32 v42, s15, v6
	v_add_u32_e32 v6, s4, v0
	s_add_i32 s4, s6, s14
	s_mul_i32 s4, s4, s7
	s_mov_b32 s11, 0
	v_add_u32_e32 v21, 0x8ff34781, v14
	v_add_u32_e32 v22, 0x96a522ad, v15
	v_xor_b32_e32 v2, v9, v2
	v_add_u32_e32 v0, s4, v0
	v_xor_b32_e32 v2, v21, v2
	v_xor_b32_e32 v4, v22, v3
	v_mov_b32_e32 v3, v8
	v_mov_b32_e32 v5, v10
	s_lshl_b32 s20, s16, 1
	s_mov_b32 s21, s11
	s_mul_i32 s22, s16, 3
	s_mov_b32 s23, s11
	v_mul_lo_u32 v43, s15, v6
	v_mul_lo_u32 v44, s15, v0
	s_mov_b64 s[4:5], 0
	s_mov_b32 s25, s11
	v_mov_b32_e32 v45, v16
	v_mov_b32_e32 v46, v17
	s_branch .LBB46_9
.LBB46_7:                               ;   in Loop: Header=BB46_9 Depth=1
	s_or_b64 exec, exec, s[14:15]
	v_add_u32_e32 v2, s25, v42
	v_ashrrev_i32_e32 v3, 31, v2
	v_mov_b32_e32 v4, s13
	v_add_co_u32_e32 v2, vcc, s12, v2
	v_addc_co_u32_e32 v3, vcc, v4, v3, vcc
	v_add_u32_e32 v0, s10, v0
	global_store_dword v[2:3], v0, off
.LBB46_8:                               ;   in Loop: Header=BB46_9 Depth=1
	s_or_b64 exec, exec, s[6:7]
	v_add_co_u32_e32 v16, vcc, s17, v16
	v_addc_co_u32_e32 v17, vcc, 0, v17, vcc
	v_mov_b32_e32 v9, v18
	s_add_i32 s25, s25, s24
	v_cmp_le_i64_e32 vcc, s[2:3], v[16:17]
	v_pk_mov_b32 v[2:3], v[6:7], v[6:7] op_sel:[0,1]
	s_or_b64 s[4:5], vcc, s[4:5]
	v_pk_mov_b32 v[4:5], v[8:9], v[8:9] op_sel:[0,1]
	s_barrier
	s_andn2_b64 exec, exec, s[4:5]
	s_cbranch_execz .LBB46_34
.LBB46_9:                               ; =>This Inner Loop Header: Depth=1
	v_add_co_u32_e32 v31, vcc, 1, v31
	v_cndmask_b32_e64 v0, 0, 1, vcc
	v_addc_co_u32_e32 v32, vcc, 0, v32, vcc
	v_cmp_eq_u32_e32 vcc, 0, v32
	v_cndmask_b32_e32 v0, 0, v0, vcc
	v_add_u32_e32 v45, v0, v45
	v_cmp_eq_u32_e32 vcc, 0, v45
	v_cndmask_b32_e32 v0, 0, v0, vcc
	v_mad_u64_u32 v[6:7], s[6:7], v31, s18, 0
	v_mad_u64_u32 v[8:9], s[6:7], v45, s19, 0
	v_add_u32_e32 v46, v0, v46
	v_xor_b32_e32 v0, v9, v14
	v_xor_b32_e32 v7, v7, v15
	v_xor_b32_e32 v0, v32, v0
	v_xor_b32_e32 v7, v46, v7
	v_mad_u64_u32 v[10:11], s[6:7], v0, s18, 0
	v_mad_u64_u32 v[12:13], s[6:7], v7, s19, 0
	v_xor_b32_e32 v0, v30, v13
	v_xor_b32_e32 v7, v33, v11
	v_xor_b32_e32 v0, v0, v8
	v_xor_b32_e32 v8, v7, v6
	v_mad_u64_u32 v[6:7], s[6:7], v0, s18, 0
	v_mad_u64_u32 v[8:9], s[6:7], v8, s19, 0
	;; [unrolled: 6-line block ×9, first 2 shown]
	v_xor_b32_e32 v0, v13, v6
	v_xor_b32_e32 v6, v21, v0
	;; [unrolled: 1-line block ×4, first 2 shown]
	v_mov_b32_e32 v7, v12
	v_mov_b32_e32 v8, v13
	v_cmp_lt_i32_e32 vcc, 1, v20
	s_and_saveexec_b64 s[6:7], vcc
	s_xor_b64 s[6:7], exec, s[6:7]
	s_cbranch_execnz .LBB46_12
; %bb.10:                               ;   in Loop: Header=BB46_9 Depth=1
	s_andn2_saveexec_b64 s[6:7], s[6:7]
	s_cbranch_execnz .LBB46_17
.LBB46_11:                              ;   in Loop: Header=BB46_9 Depth=1
	s_or_b64 exec, exec, s[6:7]
	v_cmp_gt_i64_e32 vcc, s[0:1], v[16:17]
	s_and_saveexec_b64 s[6:7], vcc
	s_cbranch_execnz .LBB46_20
	s_branch .LBB46_23
.LBB46_12:                              ;   in Loop: Header=BB46_9 Depth=1
	v_cmp_lt_i32_e32 vcc, 2, v20
	s_and_saveexec_b64 s[14:15], vcc
	s_xor_b64 s[14:15], exec, s[14:15]
; %bb.13:                               ;   in Loop: Header=BB46_9 Depth=1
	v_mov_b32_e32 v10, v5
	v_mov_b32_e32 v11, v6
	v_pk_mov_b32 v[2:3], v[10:11], v[10:11] op_sel:[0,1]
	v_pk_mov_b32 v[4:5], v[12:13], v[12:13] op_sel:[0,1]
                                        ; implicit-def: $vgpr12_vgpr13
; %bb.14:                               ;   in Loop: Header=BB46_9 Depth=1
	s_andn2_saveexec_b64 s[14:15], s[14:15]
; %bb.15:                               ;   in Loop: Header=BB46_9 Depth=1
	v_mov_b32_e32 v2, v4
	v_mov_b32_e32 v3, v5
	v_mov_b32_e32 v4, v6
	v_mov_b32_e32 v5, v12
; %bb.16:                               ;   in Loop: Header=BB46_9 Depth=1
	s_or_b64 exec, exec, s[14:15]
	s_andn2_saveexec_b64 s[6:7], s[6:7]
	s_cbranch_execz .LBB46_11
.LBB46_17:                              ;   in Loop: Header=BB46_9 Depth=1
	v_cmp_eq_u32_e32 vcc, 1, v20
	s_and_saveexec_b64 s[14:15], vcc
; %bb.18:                               ;   in Loop: Header=BB46_9 Depth=1
	v_mov_b32_e32 v2, v3
	v_mov_b32_e32 v3, v4
	v_mov_b32_e32 v4, v5
	v_mov_b32_e32 v5, v6
; %bb.19:                               ;   in Loop: Header=BB46_9 Depth=1
	s_or_b64 exec, exec, s[14:15]
	s_or_b64 exec, exec, s[6:7]
	v_cmp_gt_i64_e32 vcc, s[0:1], v[16:17]
	s_and_saveexec_b64 s[6:7], vcc
	s_cbranch_execz .LBB46_23
.LBB46_20:                              ;   in Loop: Header=BB46_9 Depth=1
	v_mov_b32_e32 v0, v2
	v_cmp_le_u64_e32 vcc, s[8:9], v[0:1]
	s_and_saveexec_b64 s[14:15], vcc
	s_cbranch_execz .LBB46_22
; %bb.21:                               ;   in Loop: Header=BB46_9 Depth=1
	v_cvt_f32_u32_e32 v2, s8
	s_sub_i32 s26, 0, s8
	v_rcp_iflag_f32_e32 v2, v2
	v_mul_f32_e32 v2, 0x4f7ffffe, v2
	v_cvt_u32_f32_e32 v2, v2
	v_mul_lo_u32 v9, s26, v2
	v_mul_hi_u32 v9, v2, v9
	v_add_u32_e32 v2, v2, v9
	v_mul_hi_u32 v2, v0, v2
	v_mul_lo_u32 v2, v2, s8
	v_sub_u32_e32 v0, v0, v2
	v_subrev_u32_e32 v2, s8, v0
	v_cmp_le_u32_e32 vcc, s8, v0
	v_cndmask_b32_e32 v0, v0, v2, vcc
	v_subrev_u32_e32 v2, s8, v0
	v_cmp_le_u32_e32 vcc, s8, v0
	v_cndmask_b32_e32 v0, v0, v2, vcc
.LBB46_22:                              ;   in Loop: Header=BB46_9 Depth=1
	s_or_b64 exec, exec, s[14:15]
	v_add_u32_e32 v2, s25, v41
	v_ashrrev_i32_e32 v9, 31, v2
	v_mov_b32_e32 v11, s13
	v_add_co_u32_e32 v10, vcc, s12, v2
	v_addc_co_u32_e32 v11, vcc, v11, v9, vcc
	v_add_u32_e32 v0, s10, v0
	global_store_dword v[10:11], v0, off
.LBB46_23:                              ;   in Loop: Header=BB46_9 Depth=1
	s_or_b64 exec, exec, s[6:7]
	v_mov_b32_e32 v0, s11
	v_add_co_u32_e32 v10, vcc, s16, v16
	v_addc_co_u32_e32 v11, vcc, v0, v17, vcc
	v_cmp_gt_i64_e32 vcc, s[0:1], v[10:11]
	s_and_saveexec_b64 s[6:7], vcc
	s_cbranch_execz .LBB46_27
; %bb.24:                               ;   in Loop: Header=BB46_9 Depth=1
	v_mov_b32_e32 v0, v3
	v_cmp_le_u64_e32 vcc, s[8:9], v[0:1]
	s_and_saveexec_b64 s[14:15], vcc
	s_cbranch_execz .LBB46_26
; %bb.25:                               ;   in Loop: Header=BB46_9 Depth=1
	v_cvt_f32_u32_e32 v2, s8
	s_sub_i32 s26, 0, s8
	v_rcp_iflag_f32_e32 v2, v2
	v_mul_f32_e32 v2, 0x4f7ffffe, v2
	v_cvt_u32_f32_e32 v2, v2
	v_mul_lo_u32 v3, s26, v2
	v_mul_hi_u32 v3, v2, v3
	v_add_u32_e32 v2, v2, v3
	v_mul_hi_u32 v2, v0, v2
	v_mul_lo_u32 v2, v2, s8
	v_sub_u32_e32 v0, v0, v2
	v_subrev_u32_e32 v2, s8, v0
	v_cmp_le_u32_e32 vcc, s8, v0
	v_cndmask_b32_e32 v0, v0, v2, vcc
	v_subrev_u32_e32 v2, s8, v0
	v_cmp_le_u32_e32 vcc, s8, v0
	v_cndmask_b32_e32 v0, v0, v2, vcc
.LBB46_26:                              ;   in Loop: Header=BB46_9 Depth=1
	s_or_b64 exec, exec, s[14:15]
	v_add_u32_e32 v2, s25, v44
	v_ashrrev_i32_e32 v3, 31, v2
	v_mov_b32_e32 v9, s13
	v_add_co_u32_e32 v2, vcc, s12, v2
	v_addc_co_u32_e32 v3, vcc, v9, v3, vcc
	v_add_u32_e32 v0, s10, v0
	global_store_dword v[2:3], v0, off
.LBB46_27:                              ;   in Loop: Header=BB46_9 Depth=1
	s_or_b64 exec, exec, s[6:7]
	v_mov_b32_e32 v0, s21
	v_add_co_u32_e32 v2, vcc, s20, v16
	v_addc_co_u32_e32 v3, vcc, v0, v17, vcc
	v_cmp_gt_i64_e32 vcc, s[0:1], v[2:3]
	s_and_saveexec_b64 s[6:7], vcc
	s_cbranch_execz .LBB46_31
; %bb.28:                               ;   in Loop: Header=BB46_9 Depth=1
	v_mov_b32_e32 v0, v4
	v_cmp_le_u64_e32 vcc, s[8:9], v[0:1]
	s_and_saveexec_b64 s[14:15], vcc
	s_cbranch_execz .LBB46_30
; %bb.29:                               ;   in Loop: Header=BB46_9 Depth=1
	v_cvt_f32_u32_e32 v2, s8
	s_sub_i32 s26, 0, s8
	v_rcp_iflag_f32_e32 v2, v2
	v_mul_f32_e32 v2, 0x4f7ffffe, v2
	v_cvt_u32_f32_e32 v2, v2
	v_mul_lo_u32 v3, s26, v2
	v_mul_hi_u32 v3, v2, v3
	v_add_u32_e32 v2, v2, v3
	v_mul_hi_u32 v2, v0, v2
	v_mul_lo_u32 v2, v2, s8
	v_sub_u32_e32 v0, v0, v2
	v_subrev_u32_e32 v2, s8, v0
	v_cmp_le_u32_e32 vcc, s8, v0
	v_cndmask_b32_e32 v0, v0, v2, vcc
	v_subrev_u32_e32 v2, s8, v0
	v_cmp_le_u32_e32 vcc, s8, v0
	v_cndmask_b32_e32 v0, v0, v2, vcc
.LBB46_30:                              ;   in Loop: Header=BB46_9 Depth=1
	s_or_b64 exec, exec, s[14:15]
	v_add_u32_e32 v2, s25, v43
	v_ashrrev_i32_e32 v3, 31, v2
	v_mov_b32_e32 v4, s13
	v_add_co_u32_e32 v2, vcc, s12, v2
	v_addc_co_u32_e32 v3, vcc, v4, v3, vcc
	v_add_u32_e32 v0, s10, v0
	global_store_dword v[2:3], v0, off
.LBB46_31:                              ;   in Loop: Header=BB46_9 Depth=1
	s_or_b64 exec, exec, s[6:7]
	v_mov_b32_e32 v0, s23
	v_add_co_u32_e32 v2, vcc, s22, v16
	v_addc_co_u32_e32 v3, vcc, v0, v17, vcc
	v_cmp_gt_i64_e32 vcc, s[0:1], v[2:3]
	s_and_saveexec_b64 s[6:7], vcc
	s_cbranch_execz .LBB46_8
; %bb.32:                               ;   in Loop: Header=BB46_9 Depth=1
	v_mov_b32_e32 v0, v5
	v_cmp_le_u64_e32 vcc, s[8:9], v[0:1]
	s_and_saveexec_b64 s[14:15], vcc
	s_cbranch_execz .LBB46_7
; %bb.33:                               ;   in Loop: Header=BB46_9 Depth=1
	v_cvt_f32_u32_e32 v2, s8
	s_sub_i32 s26, 0, s8
	v_rcp_iflag_f32_e32 v2, v2
	v_mul_f32_e32 v2, 0x4f7ffffe, v2
	v_cvt_u32_f32_e32 v2, v2
	v_mul_lo_u32 v3, s26, v2
	v_mul_hi_u32 v3, v2, v3
	v_add_u32_e32 v2, v2, v3
	v_mul_hi_u32 v2, v0, v2
	v_mul_lo_u32 v2, v2, s8
	v_sub_u32_e32 v0, v0, v2
	v_subrev_u32_e32 v2, s8, v0
	v_cmp_le_u32_e32 vcc, s8, v0
	v_cndmask_b32_e32 v0, v0, v2, vcc
	v_subrev_u32_e32 v2, s8, v0
	v_cmp_le_u32_e32 vcc, s8, v0
	v_cndmask_b32_e32 v0, v0, v2, vcc
	s_branch .LBB46_7
.LBB46_34:
	s_endpgm
.LBB46_35:
                                        ; implicit-def: $sgpr8_sgpr9
	s_andn2_b64 vcc, exec, s[2:3]
	s_cbranch_vccz .LBB46_4
	s_branch .LBB46_5
	.section	.rodata,"a",@progbits
	.p2align	6, 0x0
	.amdhsa_kernel _ZN2at6native12_GLOBAL__N_143distribution_elementwise_grid_stride_kernelIjLi4EZZZNS0_9templates4cuda21random_from_to_kernelIPNS_17CUDAGeneratorImplEEEvRNS_18TensorIteratorBaseEmlT_ENKUlvE_clEvENKUlvE10_clEvEUlP25hiprandStatePhilox4_32_10E0_ZNS1_27distribution_nullary_kernelIjj15HIP_vector_typeIjLj4EES7_SF_ZZZNS5_IS7_EEvS9_mlSA_ENKSB_clEvENKSC_clEvEUljE_EEvS9_T2_RKT3_T4_EUlijE_EEvlNS_15PhiloxCudaStateET1_SK_
		.amdhsa_group_segment_fixed_size 0
		.amdhsa_private_segment_fixed_size 0
		.amdhsa_kernarg_size 336
		.amdhsa_user_sgpr_count 6
		.amdhsa_user_sgpr_private_segment_buffer 1
		.amdhsa_user_sgpr_dispatch_ptr 0
		.amdhsa_user_sgpr_queue_ptr 0
		.amdhsa_user_sgpr_kernarg_segment_ptr 1
		.amdhsa_user_sgpr_dispatch_id 0
		.amdhsa_user_sgpr_flat_scratch_init 0
		.amdhsa_user_sgpr_kernarg_preload_length 0
		.amdhsa_user_sgpr_kernarg_preload_offset 0
		.amdhsa_user_sgpr_private_segment_size 0
		.amdhsa_uses_dynamic_stack 0
		.amdhsa_system_sgpr_private_segment_wavefront_offset 0
		.amdhsa_system_sgpr_workgroup_id_x 1
		.amdhsa_system_sgpr_workgroup_id_y 0
		.amdhsa_system_sgpr_workgroup_id_z 0
		.amdhsa_system_sgpr_workgroup_info 0
		.amdhsa_system_vgpr_workitem_id 0
		.amdhsa_next_free_vgpr 47
		.amdhsa_next_free_sgpr 27
		.amdhsa_accum_offset 48
		.amdhsa_reserve_vcc 1
		.amdhsa_reserve_flat_scratch 0
		.amdhsa_float_round_mode_32 0
		.amdhsa_float_round_mode_16_64 0
		.amdhsa_float_denorm_mode_32 3
		.amdhsa_float_denorm_mode_16_64 3
		.amdhsa_dx10_clamp 1
		.amdhsa_ieee_mode 1
		.amdhsa_fp16_overflow 0
		.amdhsa_tg_split 0
		.amdhsa_exception_fp_ieee_invalid_op 0
		.amdhsa_exception_fp_denorm_src 0
		.amdhsa_exception_fp_ieee_div_zero 0
		.amdhsa_exception_fp_ieee_overflow 0
		.amdhsa_exception_fp_ieee_underflow 0
		.amdhsa_exception_fp_ieee_inexact 0
		.amdhsa_exception_int_div_zero 0
	.end_amdhsa_kernel
	.section	.text._ZN2at6native12_GLOBAL__N_143distribution_elementwise_grid_stride_kernelIjLi4EZZZNS0_9templates4cuda21random_from_to_kernelIPNS_17CUDAGeneratorImplEEEvRNS_18TensorIteratorBaseEmlT_ENKUlvE_clEvENKUlvE10_clEvEUlP25hiprandStatePhilox4_32_10E0_ZNS1_27distribution_nullary_kernelIjj15HIP_vector_typeIjLj4EES7_SF_ZZZNS5_IS7_EEvS9_mlSA_ENKSB_clEvENKSC_clEvEUljE_EEvS9_T2_RKT3_T4_EUlijE_EEvlNS_15PhiloxCudaStateET1_SK_,"axG",@progbits,_ZN2at6native12_GLOBAL__N_143distribution_elementwise_grid_stride_kernelIjLi4EZZZNS0_9templates4cuda21random_from_to_kernelIPNS_17CUDAGeneratorImplEEEvRNS_18TensorIteratorBaseEmlT_ENKUlvE_clEvENKUlvE10_clEvEUlP25hiprandStatePhilox4_32_10E0_ZNS1_27distribution_nullary_kernelIjj15HIP_vector_typeIjLj4EES7_SF_ZZZNS5_IS7_EEvS9_mlSA_ENKSB_clEvENKSC_clEvEUljE_EEvS9_T2_RKT3_T4_EUlijE_EEvlNS_15PhiloxCudaStateET1_SK_,comdat
.Lfunc_end46:
	.size	_ZN2at6native12_GLOBAL__N_143distribution_elementwise_grid_stride_kernelIjLi4EZZZNS0_9templates4cuda21random_from_to_kernelIPNS_17CUDAGeneratorImplEEEvRNS_18TensorIteratorBaseEmlT_ENKUlvE_clEvENKUlvE10_clEvEUlP25hiprandStatePhilox4_32_10E0_ZNS1_27distribution_nullary_kernelIjj15HIP_vector_typeIjLj4EES7_SF_ZZZNS5_IS7_EEvS9_mlSA_ENKSB_clEvENKSC_clEvEUljE_EEvS9_T2_RKT3_T4_EUlijE_EEvlNS_15PhiloxCudaStateET1_SK_, .Lfunc_end46-_ZN2at6native12_GLOBAL__N_143distribution_elementwise_grid_stride_kernelIjLi4EZZZNS0_9templates4cuda21random_from_to_kernelIPNS_17CUDAGeneratorImplEEEvRNS_18TensorIteratorBaseEmlT_ENKUlvE_clEvENKUlvE10_clEvEUlP25hiprandStatePhilox4_32_10E0_ZNS1_27distribution_nullary_kernelIjj15HIP_vector_typeIjLj4EES7_SF_ZZZNS5_IS7_EEvS9_mlSA_ENKSB_clEvENKSC_clEvEUljE_EEvS9_T2_RKT3_T4_EUlijE_EEvlNS_15PhiloxCudaStateET1_SK_
                                        ; -- End function
	.section	.AMDGPU.csdata,"",@progbits
; Kernel info:
; codeLenInByte = 2796
; NumSgprs: 31
; NumVgprs: 47
; NumAgprs: 0
; TotalNumVgprs: 47
; ScratchSize: 0
; MemoryBound: 0
; FloatMode: 240
; IeeeMode: 1
; LDSByteSize: 0 bytes/workgroup (compile time only)
; SGPRBlocks: 3
; VGPRBlocks: 5
; NumSGPRsForWavesPerEU: 31
; NumVGPRsForWavesPerEU: 47
; AccumOffset: 48
; Occupancy: 8
; WaveLimiterHint : 0
; COMPUTE_PGM_RSRC2:SCRATCH_EN: 0
; COMPUTE_PGM_RSRC2:USER_SGPR: 6
; COMPUTE_PGM_RSRC2:TRAP_HANDLER: 0
; COMPUTE_PGM_RSRC2:TGID_X_EN: 1
; COMPUTE_PGM_RSRC2:TGID_Y_EN: 0
; COMPUTE_PGM_RSRC2:TGID_Z_EN: 0
; COMPUTE_PGM_RSRC2:TIDIG_COMP_CNT: 0
; COMPUTE_PGM_RSRC3_GFX90A:ACCUM_OFFSET: 11
; COMPUTE_PGM_RSRC3_GFX90A:TG_SPLIT: 0
	.section	.text._ZN2at6native12_GLOBAL__N_143distribution_elementwise_grid_stride_kernelIjLi4EZZZNS0_9templates4cuda21random_from_to_kernelIPNS_17CUDAGeneratorImplEEEvRNS_18TensorIteratorBaseEmlT_ENKUlvE_clEvENKUlvE10_clEvEUlP25hiprandStatePhilox4_32_10E0_ZNS1_27distribution_nullary_kernelIjj15HIP_vector_typeIjLj4EES7_SF_ZZZNS5_IS7_EEvS9_mlSA_ENKSB_clEvENKSC_clEvEUljE_EEvS9_T2_RKT3_T4_EUlijE0_EEvlNS_15PhiloxCudaStateET1_SK_,"axG",@progbits,_ZN2at6native12_GLOBAL__N_143distribution_elementwise_grid_stride_kernelIjLi4EZZZNS0_9templates4cuda21random_from_to_kernelIPNS_17CUDAGeneratorImplEEEvRNS_18TensorIteratorBaseEmlT_ENKUlvE_clEvENKUlvE10_clEvEUlP25hiprandStatePhilox4_32_10E0_ZNS1_27distribution_nullary_kernelIjj15HIP_vector_typeIjLj4EES7_SF_ZZZNS5_IS7_EEvS9_mlSA_ENKSB_clEvENKSC_clEvEUljE_EEvS9_T2_RKT3_T4_EUlijE0_EEvlNS_15PhiloxCudaStateET1_SK_,comdat
	.globl	_ZN2at6native12_GLOBAL__N_143distribution_elementwise_grid_stride_kernelIjLi4EZZZNS0_9templates4cuda21random_from_to_kernelIPNS_17CUDAGeneratorImplEEEvRNS_18TensorIteratorBaseEmlT_ENKUlvE_clEvENKUlvE10_clEvEUlP25hiprandStatePhilox4_32_10E0_ZNS1_27distribution_nullary_kernelIjj15HIP_vector_typeIjLj4EES7_SF_ZZZNS5_IS7_EEvS9_mlSA_ENKSB_clEvENKSC_clEvEUljE_EEvS9_T2_RKT3_T4_EUlijE0_EEvlNS_15PhiloxCudaStateET1_SK_ ; -- Begin function _ZN2at6native12_GLOBAL__N_143distribution_elementwise_grid_stride_kernelIjLi4EZZZNS0_9templates4cuda21random_from_to_kernelIPNS_17CUDAGeneratorImplEEEvRNS_18TensorIteratorBaseEmlT_ENKUlvE_clEvENKUlvE10_clEvEUlP25hiprandStatePhilox4_32_10E0_ZNS1_27distribution_nullary_kernelIjj15HIP_vector_typeIjLj4EES7_SF_ZZZNS5_IS7_EEvS9_mlSA_ENKSB_clEvENKSC_clEvEUljE_EEvS9_T2_RKT3_T4_EUlijE0_EEvlNS_15PhiloxCudaStateET1_SK_
	.p2align	8
	.type	_ZN2at6native12_GLOBAL__N_143distribution_elementwise_grid_stride_kernelIjLi4EZZZNS0_9templates4cuda21random_from_to_kernelIPNS_17CUDAGeneratorImplEEEvRNS_18TensorIteratorBaseEmlT_ENKUlvE_clEvENKUlvE10_clEvEUlP25hiprandStatePhilox4_32_10E0_ZNS1_27distribution_nullary_kernelIjj15HIP_vector_typeIjLj4EES7_SF_ZZZNS5_IS7_EEvS9_mlSA_ENKSB_clEvENKSC_clEvEUljE_EEvS9_T2_RKT3_T4_EUlijE0_EEvlNS_15PhiloxCudaStateET1_SK_,@function
_ZN2at6native12_GLOBAL__N_143distribution_elementwise_grid_stride_kernelIjLi4EZZZNS0_9templates4cuda21random_from_to_kernelIPNS_17CUDAGeneratorImplEEEvRNS_18TensorIteratorBaseEmlT_ENKUlvE_clEvENKUlvE10_clEvEUlP25hiprandStatePhilox4_32_10E0_ZNS1_27distribution_nullary_kernelIjj15HIP_vector_typeIjLj4EES7_SF_ZZZNS5_IS7_EEvS9_mlSA_ENKSB_clEvENKSC_clEvEUljE_EEvS9_T2_RKT3_T4_EUlijE0_EEvlNS_15PhiloxCudaStateET1_SK_: ; @_ZN2at6native12_GLOBAL__N_143distribution_elementwise_grid_stride_kernelIjLi4EZZZNS0_9templates4cuda21random_from_to_kernelIPNS_17CUDAGeneratorImplEEEvRNS_18TensorIteratorBaseEmlT_ENKUlvE_clEvENKUlvE10_clEvEUlP25hiprandStatePhilox4_32_10E0_ZNS1_27distribution_nullary_kernelIjj15HIP_vector_typeIjLj4EES7_SF_ZZZNS5_IS7_EEvS9_mlSA_ENKSB_clEvENKSC_clEvEUljE_EEvS9_T2_RKT3_T4_EUlijE0_EEvlNS_15PhiloxCudaStateET1_SK_
; %bb.0:
	s_load_dword s2, s[4:5], 0x20
	s_load_dwordx2 s[0:1], s[4:5], 0x10
	s_load_dwordx4 s[24:27], s[4:5], 0x0
	s_waitcnt lgkmcnt(0)
	s_bitcmp0_b32 s2, 0
	s_mov_b32 s2, 0
	v_pk_mov_b32 v[2:3], s[0:1], s[0:1] op_sel:[0,1]
	v_pk_mov_b32 v[14:15], s[26:27], s[26:27] op_sel:[0,1]
	s_cbranch_scc1 .LBB47_2
; %bb.1:
	v_pk_mov_b32 v[2:3], s[0:1], s[0:1] op_sel:[0,1]
	flat_load_dwordx2 v[2:3], v[2:3]
	v_pk_mov_b32 v[4:5], s[26:27], s[26:27] op_sel:[0,1]
	flat_load_dwordx2 v[14:15], v[4:5]
	s_load_dwordx2 s[0:1], s[4:5], 0x18
	s_waitcnt lgkmcnt(0)
	v_mov_b32_e32 v1, s1
	s_waitcnt vmcnt(0)
	v_add_co_u32_e32 v2, vcc, s0, v2
	v_addc_co_u32_e32 v3, vcc, v3, v1, vcc
.LBB47_2:
	s_load_dword s0, s[4:5], 0x15c
	s_load_dword s7, s[4:5], 0x150
	s_waitcnt lgkmcnt(0)
	s_and_b32 s8, s0, 0xffff
	s_add_u32 s9, s24, -1
	s_mul_i32 s33, s7, s8
	s_addc_u32 s3, s25, -1
	s_lshl_b32 s62, s33, 2
	s_cmp_lg_u64 s[2:3], 0
	s_mov_b64 s[0:1], -1
	s_cbranch_scc0 .LBB47_91
; %bb.3:
	v_cvt_f32_u32_e32 v1, s62
	v_cvt_f32_ubyte0_e32 v4, 0
	s_sub_u32 s2, 0, s62
	s_subb_u32 s10, 0, 0
	v_madmk_f32 v1, v4, 0x4f800000, v1
	v_rcp_f32_e32 v1, v1
	v_mul_f32_e32 v1, 0x5f7ffffc, v1
	v_mul_f32_e32 v4, 0x2f800000, v1
	v_trunc_f32_e32 v4, v4
	v_madmk_f32 v1, v4, 0xcf800000, v1
	v_cvt_u32_f32_e32 v4, v4
	v_cvt_u32_f32_e32 v1, v1
	v_readfirstlane_b32 s11, v4
	v_readfirstlane_b32 s12, v1
	s_mul_i32 s13, s2, s11
	s_mul_hi_u32 s15, s2, s12
	s_mul_i32 s14, s10, s12
	s_add_i32 s13, s15, s13
	s_add_i32 s13, s13, s14
	s_mul_i32 s16, s2, s12
	s_mul_hi_u32 s14, s12, s13
	s_mul_i32 s15, s12, s13
	s_mul_hi_u32 s12, s12, s16
	s_add_u32 s12, s12, s15
	s_addc_u32 s14, 0, s14
	s_mul_hi_u32 s17, s11, s16
	s_mul_i32 s16, s11, s16
	s_add_u32 s12, s12, s16
	s_mul_hi_u32 s15, s11, s13
	s_addc_u32 s12, s14, s17
	s_addc_u32 s14, s15, 0
	s_mul_i32 s13, s11, s13
	s_add_u32 s12, s12, s13
	s_addc_u32 s13, 0, s14
	v_add_co_u32_e32 v1, vcc, s12, v1
	s_cmp_lg_u64 vcc, 0
	s_addc_u32 s11, s11, s13
	v_readfirstlane_b32 s13, v1
	s_mul_i32 s12, s2, s11
	s_mul_hi_u32 s14, s2, s13
	s_add_i32 s12, s14, s12
	s_mul_i32 s10, s10, s13
	s_add_i32 s12, s12, s10
	s_mul_i32 s2, s2, s13
	s_mul_hi_u32 s14, s11, s2
	s_mul_i32 s15, s11, s2
	s_mul_i32 s17, s13, s12
	s_mul_hi_u32 s2, s13, s2
	s_mul_hi_u32 s16, s13, s12
	s_add_u32 s2, s2, s17
	s_addc_u32 s13, 0, s16
	s_add_u32 s2, s2, s15
	s_mul_hi_u32 s10, s11, s12
	s_addc_u32 s2, s13, s14
	s_addc_u32 s10, s10, 0
	s_mul_i32 s12, s11, s12
	s_add_u32 s2, s2, s12
	s_addc_u32 s10, 0, s10
	v_add_co_u32_e32 v1, vcc, s2, v1
	s_cmp_lg_u64 vcc, 0
	s_addc_u32 s12, s11, s10
	s_ashr_i32 s10, s3, 31
	s_add_u32 s2, s9, s10
	s_mov_b32 s11, s10
	s_addc_u32 s3, s3, s10
	s_xor_b64 s[2:3], s[2:3], s[10:11]
	v_readfirstlane_b32 s15, v1
	s_mul_i32 s14, s2, s12
	s_mul_hi_u32 s16, s2, s15
	s_mul_hi_u32 s13, s2, s12
	s_add_u32 s14, s16, s14
	s_addc_u32 s13, 0, s13
	s_mul_hi_u32 s17, s3, s15
	s_mul_i32 s15, s3, s15
	s_add_u32 s14, s14, s15
	s_mul_hi_u32 s16, s3, s12
	s_addc_u32 s13, s13, s17
	s_addc_u32 s14, s16, 0
	s_mul_i32 s12, s3, s12
	s_add_u32 s12, s13, s12
	s_addc_u32 s13, 0, s14
	s_add_u32 s14, s12, 1
	s_addc_u32 s15, s13, 0
	s_add_u32 s16, s12, 2
	s_mul_i32 s18, s62, s13
	s_mul_hi_u32 s19, s62, s12
	s_addc_u32 s17, s13, 0
	s_add_i32 s19, s19, s18
	s_mul_i32 s18, s62, s12
	v_mov_b32_e32 v1, s18
	v_sub_co_u32_e32 v1, vcc, s2, v1
	s_cmp_lg_u64 vcc, 0
	s_subb_u32 s2, s3, s19
	v_subrev_co_u32_e32 v4, vcc, s62, v1
	s_cmp_lg_u64 vcc, 0
	s_subb_u32 s3, s2, 0
	v_readfirstlane_b32 s18, v4
	s_cmp_ge_u32 s18, s62
	s_cselect_b32 s18, -1, 0
	s_cmp_eq_u32 s3, 0
	s_cselect_b32 s3, s18, -1
	s_cmp_lg_u32 s3, 0
	s_cselect_b32 s3, s17, s15
	v_readfirstlane_b32 s15, v1
	s_cselect_b32 s14, s16, s14
	s_cmp_ge_u32 s15, s62
	s_cselect_b32 s15, -1, 0
	s_cmp_eq_u32 s2, 0
	s_cselect_b32 s2, s15, -1
	s_cmp_lg_u32 s2, 0
	s_cselect_b32 s3, s3, s13
	s_cselect_b32 s2, s14, s12
	s_xor_b64 s[2:3], s[2:3], s[10:11]
	s_sub_u32 s2, s2, s10
	s_subb_u32 s3, s3, s10
	s_cbranch_execnz .LBB47_5
.LBB47_4:
	v_cvt_f32_u32_e32 v1, s62
	s_sub_i32 s0, 0, s62
	s_mov_b32 s3, 0
	v_rcp_iflag_f32_e32 v1, v1
	v_mul_f32_e32 v1, 0x4f7ffffe, v1
	v_cvt_u32_f32_e32 v1, v1
	v_readfirstlane_b32 s1, v1
	s_mul_i32 s0, s0, s1
	s_mul_hi_u32 s0, s1, s0
	s_add_i32 s1, s1, s0
	s_mul_hi_u32 s0, s9, s1
	s_mul_i32 s2, s0, s62
	s_sub_i32 s2, s9, s2
	s_add_i32 s1, s0, 1
	s_sub_i32 s9, s2, s62
	s_cmp_ge_u32 s2, s62
	s_cselect_b32 s0, s1, s0
	s_cselect_b32 s2, s9, s2
	s_add_i32 s1, s0, 1
	s_cmp_ge_u32 s2, s62
	s_cselect_b32 s2, s1, s0
.LBB47_5:
	v_mov_b32_e32 v1, 0
	v_mov_b32_e32 v4, s6
	v_mad_u64_u32 v[16:17], s[0:1], s8, v4, v[0:1]
	s_add_u32 s0, s2, 1
	s_addc_u32 s1, s3, 0
	s_mul_hi_u32 s2, s7, s8
	s_mul_i32 s1, s33, s1
	s_mul_hi_u32 s3, s33, s0
	s_add_i32 s1, s3, s1
	s_mul_i32 s2, s2, s0
	s_add_i32 s1, s1, s2
	s_mul_i32 s0, s33, s0
	s_lshl_b64 s[26:27], s[0:1], 2
	v_cmp_gt_i64_e32 vcc, s[26:27], v[16:17]
	s_and_saveexec_b64 s[0:1], vcc
	s_cbranch_execz .LBB47_90
; %bb.6:
	s_mov_b32 s0, 0x5384540f
	v_mov_b32_e32 v0, v15
	v_add_co_u32_e32 v24, vcc, s0, v14
	s_mov_b32 s0, 0x646e171e
	v_add_co_u32_e32 v25, vcc, s0, v0
	s_mov_b32 s0, 0x1715609d
	v_add_co_u32_e32 v26, vcc, s0, v14
	s_mov_b32 s0, 0xed9eba14
	v_add_co_u32_e32 v27, vcc, s0, v0
	s_mov_b32 s0, 0xdaa66d2b
	v_add_co_u32_e32 v28, vcc, s0, v14
	s_mov_b32 s0, 0x76cf5d0a
	v_add_co_u32_e32 v29, vcc, s0, v0
	s_mov_b32 s0, 0x9e3779b9
	v_alignbit_b32 v31, v3, v2, 2
	s_mov_b32 s64, 0xd2511f53
	v_add_co_u32_e32 v30, vcc, s0, v14
	v_mad_u64_u32 v[4:5], s[0:1], v31, s64, 0
	v_and_b32_e32 v20, 3, v2
	v_xor_b32_e32 v2, v5, v15
	v_xor_b32_e32 v2, v2, v17
	s_mov_b32 s65, 0xcd9e8d57
	v_mad_u64_u32 v[6:7], s[0:1], v2, s65, 0
	v_xor_b32_e32 v2, v30, v7
	v_mad_u64_u32 v[8:9], s[0:1], v16, s65, 0
	v_xor_b32_e32 v2, v2, v8
	;; [unrolled: 2-line block ×3, first 2 shown]
	v_lshrrev_b32_e32 v32, 2, v3
	v_xor_b32_e32 v2, v2, v32
	v_xor_b32_e32 v5, v29, v11
	v_mad_u64_u32 v[2:3], s[0:1], v2, s64, 0
	v_xor_b32_e32 v2, v5, v2
	v_mad_u64_u32 v[8:9], s[0:1], v2, s65, 0
	s_mov_b32 s0, 0xbb67ae85
	v_add_co_u32_e32 v33, vcc, s0, v0
	v_xor_b32_e32 v2, v33, v3
	v_xor_b32_e32 v2, v2, v4
	v_xor_b32_e32 v5, v28, v9
	v_mad_u64_u32 v[2:3], s[0:1], v2, s65, 0
	v_xor_b32_e32 v2, v5, v2
	v_mad_u64_u32 v[4:5], s[0:1], v2, s64, 0
	s_mov_b32 s0, 0x3c6ef372
	v_add_co_u32_e32 v34, vcc, s0, v14
	v_xor_b32_e32 v2, v34, v3
	;; [unrolled: 8-line block ×6, first 2 shown]
	v_add_co_u32_e32 v23, vcc, 0xdb3d7428, v0
	v_xor_b32_e32 v2, v2, v6
	v_xor_b32_e32 v5, v23, v5
	v_mad_u64_u32 v[2:3], s[0:1], v2, s64, 0
	v_xor_b32_e32 v2, v5, v2
	v_mad_u64_u32 v[6:7], s[0:1], v2, s65, 0
	s_mov_b32 s0, 0x1fd5c5a3
	v_add_co_u32_e32 v39, vcc, s0, v0
	v_xor_b32_e32 v0, v39, v3
	v_xor_b32_e32 v0, v0, v10
	v_mad_u64_u32 v[2:3], s[0:1], v0, s65, 0
	s_mov_b32 s0, 0xf1bbcdc8
	s_load_dwordx8 s[8:15], s[4:5], 0x30
	v_add_u32_e32 v21, 0x8ff34781, v14
	v_xor_b32_e32 v0, v7, v2
	v_add_co_u32_e32 v40, vcc, s0, v14
	v_xor_b32_e32 v2, v21, v0
	v_xor_b32_e32 v0, v40, v3
	v_xor_b32_e32 v0, v0, v8
	s_add_u32 s34, s4, 48
	v_mad_u64_u32 v[8:9], s[0:1], v0, s64, 0
	s_addc_u32 s35, s5, 0
	s_waitcnt lgkmcnt(0)
	s_add_i32 s0, s8, -1
	s_cmp_gt_u32 s0, 1
	s_cselect_b64 s[40:41], -1, 0
	s_cmp_lg_u32 s8, 0
	s_cselect_b64 s[42:43], -1, 0
	s_add_u32 s44, s4, 0xf4
	s_addc_u32 s45, s5, 0
	s_min_u32 s1, s0, 15
	s_cmp_gt_u32 s8, 1
	s_cselect_b64 s[46:47], -1, 0
	s_load_dwordx2 s[48:49], s[4:5], 0x148
	s_load_dwordx2 s[50:51], s[4:5], 0xf4
	s_load_dwordx4 s[28:31], s[4:5], 0x138
	s_add_i32 s1, s1, 1
	s_mov_b32 s8, s13
	s_lshl_b32 s13, s33, 1
	s_and_b32 s67, s1, 3
	s_cmp_lg_u32 s0, 2
	s_cselect_b64 s[52:53], -1, 0
	s_and_b32 s68, s1, 28
	s_mov_b32 s63, 0
	v_add_u32_e32 v22, 0x96a522ad, v15
	v_xor_b32_e32 v0, v9, v4
	s_cmp_lg_u32 s67, 0
	v_xor_b32_e32 v4, v22, v0
	v_mov_b32_e32 v3, v6
	v_mov_b32_e32 v5, v8
	s_mov_b32 s15, s63
	s_waitcnt lgkmcnt(0)
	s_mul_i32 s49, s33, 3
	s_mov_b32 s66, s63
	s_mov_b64 s[54:55], 0
	s_cselect_b64 s[56:57], -1, 0
	v_mov_b32_e32 v41, v16
	v_mov_b32_e32 v42, v17
	s_branch .LBB47_9
.LBB47_7:                               ;   in Loop: Header=BB47_9 Depth=1
	s_or_b64 exec, exec, s[0:1]
	v_add_u32_e32 v0, s48, v0
	global_store_dword v2, v0, s[28:29]
.LBB47_8:                               ;   in Loop: Header=BB47_9 Depth=1
	s_or_b64 exec, exec, s[36:37]
	v_add_co_u32_e32 v16, vcc, s62, v16
	v_addc_co_u32_e32 v17, vcc, 0, v17, vcc
	v_mov_b32_e32 v9, v18
	v_cmp_le_i64_e32 vcc, s[26:27], v[16:17]
	v_pk_mov_b32 v[2:3], v[6:7], v[6:7] op_sel:[0,1]
	s_or_b64 s[54:55], vcc, s[54:55]
	v_pk_mov_b32 v[4:5], v[8:9], v[8:9] op_sel:[0,1]
	s_barrier
	s_andn2_b64 exec, exec, s[54:55]
	s_cbranch_execz .LBB47_90
.LBB47_9:                               ; =>This Loop Header: Depth=1
                                        ;     Child Loop BB47_24 Depth 2
                                        ;     Child Loop BB47_30 Depth 2
	;; [unrolled: 1-line block ×8, first 2 shown]
	v_add_co_u32_e32 v31, vcc, 1, v31
	v_cndmask_b32_e64 v0, 0, 1, vcc
	v_addc_co_u32_e32 v32, vcc, 0, v32, vcc
	v_cmp_eq_u32_e32 vcc, 0, v32
	v_cndmask_b32_e32 v0, 0, v0, vcc
	v_add_u32_e32 v41, v0, v41
	v_cmp_eq_u32_e32 vcc, 0, v41
	v_cndmask_b32_e32 v0, 0, v0, vcc
	v_mad_u64_u32 v[6:7], s[0:1], v31, s64, 0
	v_mad_u64_u32 v[8:9], s[0:1], v41, s65, 0
	v_add_u32_e32 v42, v0, v42
	v_xor_b32_e32 v0, v9, v14
	v_xor_b32_e32 v7, v7, v15
	v_xor_b32_e32 v0, v32, v0
	v_xor_b32_e32 v7, v42, v7
	v_mad_u64_u32 v[10:11], s[0:1], v0, s64, 0
	v_mad_u64_u32 v[12:13], s[0:1], v7, s65, 0
	v_xor_b32_e32 v0, v30, v13
	v_xor_b32_e32 v7, v33, v11
	v_xor_b32_e32 v0, v0, v8
	v_xor_b32_e32 v8, v7, v6
	v_mad_u64_u32 v[6:7], s[0:1], v0, s64, 0
	v_mad_u64_u32 v[8:9], s[0:1], v8, s65, 0
	;; [unrolled: 6-line block ×9, first 2 shown]
	v_xor_b32_e32 v0, v13, v6
	v_xor_b32_e32 v6, v21, v0
	;; [unrolled: 1-line block ×4, first 2 shown]
	v_mov_b32_e32 v7, v12
	v_mov_b32_e32 v8, v13
	v_cmp_lt_i32_e32 vcc, 1, v20
	s_and_saveexec_b64 s[0:1], vcc
	s_xor_b64 s[0:1], exec, s[0:1]
	s_cbranch_execz .LBB47_15
; %bb.10:                               ;   in Loop: Header=BB47_9 Depth=1
	v_cmp_lt_i32_e32 vcc, 2, v20
	s_and_saveexec_b64 s[2:3], vcc
	s_xor_b64 s[2:3], exec, s[2:3]
; %bb.11:                               ;   in Loop: Header=BB47_9 Depth=1
	v_mov_b32_e32 v10, v5
	v_mov_b32_e32 v11, v6
	v_pk_mov_b32 v[2:3], v[10:11], v[10:11] op_sel:[0,1]
	v_pk_mov_b32 v[4:5], v[12:13], v[12:13] op_sel:[0,1]
                                        ; implicit-def: $vgpr12_vgpr13
; %bb.12:                               ;   in Loop: Header=BB47_9 Depth=1
	s_andn2_saveexec_b64 s[2:3], s[2:3]
; %bb.13:                               ;   in Loop: Header=BB47_9 Depth=1
	v_mov_b32_e32 v2, v4
	v_mov_b32_e32 v3, v5
	;; [unrolled: 1-line block ×4, first 2 shown]
; %bb.14:                               ;   in Loop: Header=BB47_9 Depth=1
	s_or_b64 exec, exec, s[2:3]
.LBB47_15:                              ;   in Loop: Header=BB47_9 Depth=1
	s_andn2_saveexec_b64 s[0:1], s[0:1]
	s_cbranch_execz .LBB47_19
; %bb.16:                               ;   in Loop: Header=BB47_9 Depth=1
	v_cmp_eq_u32_e32 vcc, 1, v20
	s_and_saveexec_b64 s[2:3], vcc
; %bb.17:                               ;   in Loop: Header=BB47_9 Depth=1
	v_mov_b32_e32 v2, v3
	v_mov_b32_e32 v3, v4
	;; [unrolled: 1-line block ×4, first 2 shown]
; %bb.18:                               ;   in Loop: Header=BB47_9 Depth=1
	s_or_b64 exec, exec, s[2:3]
.LBB47_19:                              ;   in Loop: Header=BB47_9 Depth=1
	s_or_b64 exec, exec, s[0:1]
	v_cndmask_b32_e64 v0, 0, 1, s[40:41]
	v_cmp_gt_i64_e32 vcc, s[24:25], v[16:17]
	v_cmp_ne_u32_e64 s[0:1], 1, v0
	s_and_saveexec_b64 s[2:3], vcc
	s_cbranch_execz .LBB47_37
; %bb.20:                               ;   in Loop: Header=BB47_9 Depth=1
	s_and_b64 vcc, exec, s[0:1]
	s_cbranch_vccnz .LBB47_26
; %bb.21:                               ;   in Loop: Header=BB47_9 Depth=1
	s_andn2_b64 vcc, exec, s[42:43]
	s_cbranch_vccnz .LBB47_27
; %bb.22:                               ;   in Loop: Header=BB47_9 Depth=1
	s_mov_b32 s6, 0
	s_andn2_b64 vcc, exec, s[52:53]
	v_mov_b32_e32 v10, 0
	s_cbranch_vccnz .LBB47_28
; %bb.23:                               ;   in Loop: Header=BB47_9 Depth=1
	s_mov_b32 s69, 0
	v_mov_b32_e32 v10, 0
	s_mov_b64 s[58:59], s[34:35]
	s_mov_b64 s[60:61], s[44:45]
	v_mov_b32_e32 v0, v16
.LBB47_24:                              ;   Parent Loop BB47_9 Depth=1
                                        ; =>  This Inner Loop Header: Depth=2
	s_load_dwordx8 s[16:23], s[58:59], 0x4
	s_load_dwordx4 s[4:7], s[58:59], 0x24
	s_load_dwordx4 s[36:39], s[60:61], 0x0
	s_add_u32 s58, s58, 48
	s_addc_u32 s59, s59, 0
	s_waitcnt lgkmcnt(0)
	v_mul_hi_u32 v9, s17, v0
	v_add_u32_e32 v9, v0, v9
	v_lshrrev_b32_e32 v9, s18, v9
	v_mul_lo_u32 v11, v9, s16
	v_mul_hi_u32 v12, s20, v9
	v_sub_u32_e32 v0, v0, v11
	v_add_u32_e32 v11, v9, v12
	v_lshrrev_b32_e32 v11, s21, v11
	v_mul_lo_u32 v12, v11, s19
	v_mul_hi_u32 v13, s23, v11
	v_sub_u32_e32 v9, v9, v12
	v_add_u32_e32 v12, v11, v13
	v_mul_lo_u32 v0, v0, s36
	v_mul_lo_u32 v9, v9, s37
	v_lshrrev_b32_e32 v12, s4, v12
	v_add3_u32 v9, v0, v10, v9
	v_mul_lo_u32 v0, v12, s22
	v_mul_hi_u32 v10, s6, v12
	v_sub_u32_e32 v0, v11, v0
	v_add_u32_e32 v10, v12, v10
	v_mul_lo_u32 v11, v0, s38
	v_lshrrev_b32_e32 v0, s7, v10
	s_add_i32 s69, s69, 4
	v_mul_lo_u32 v10, v0, s5
	s_add_u32 s60, s60, 16
	v_sub_u32_e32 v10, v12, v10
	s_addc_u32 s61, s61, 0
	v_mul_lo_u32 v10, v10, s39
	s_cmp_lg_u32 s68, s69
	v_add3_u32 v10, v11, v9, v10
	s_cbranch_scc1 .LBB47_24
; %bb.25:                               ;   in Loop: Header=BB47_9 Depth=1
	s_mov_b32 s6, s68
	s_andn2_b64 vcc, exec, s[56:57]
	s_cbranch_vccz .LBB47_29
	s_branch .LBB47_31
.LBB47_26:                              ;   in Loop: Header=BB47_9 Depth=1
                                        ; implicit-def: $vgpr10
	s_branch .LBB47_32
.LBB47_27:                              ;   in Loop: Header=BB47_9 Depth=1
	v_mov_b32_e32 v10, 0
	s_branch .LBB47_31
.LBB47_28:                              ;   in Loop: Header=BB47_9 Depth=1
	v_mov_b32_e32 v0, v16
	s_andn2_b64 vcc, exec, s[56:57]
	s_cbranch_vccnz .LBB47_31
.LBB47_29:                              ;   in Loop: Header=BB47_9 Depth=1
	s_lshl_b32 s4, s6, 2
	s_add_u32 s4, s44, s4
	s_addc_u32 s5, s45, 0
	s_mul_i32 s6, s6, 12
	s_add_u32 s6, s34, s6
	s_addc_u32 s7, s35, 0
	s_mov_b32 s16, s67
.LBB47_30:                              ;   Parent Loop BB47_9 Depth=1
                                        ; =>  This Inner Loop Header: Depth=2
	s_load_dwordx2 s[18:19], s[6:7], 0x4
	s_load_dword s17, s[6:7], 0xc
	s_load_dword s20, s[4:5], 0x0
	s_add_u32 s6, s6, 12
	s_addc_u32 s7, s7, 0
	s_waitcnt lgkmcnt(0)
	v_mul_hi_u32 v9, s19, v0
	v_add_u32_e32 v9, v0, v9
	v_lshrrev_b32_e32 v9, s17, v9
	s_add_u32 s4, s4, 4
	v_mul_lo_u32 v11, v9, s18
	s_addc_u32 s5, s5, 0
	s_add_i32 s16, s16, -1
	v_sub_u32_e32 v11, v0, v11
	s_cmp_lg_u32 s16, 0
	v_mov_b32_e32 v0, v9
	v_mad_u64_u32 v[10:11], s[18:19], v11, s20, v[10:11]
	s_cbranch_scc1 .LBB47_30
.LBB47_31:                              ;   in Loop: Header=BB47_9 Depth=1
	s_cbranch_execnz .LBB47_34
.LBB47_32:                              ;   in Loop: Header=BB47_9 Depth=1
	v_mul_hi_u32 v0, v16, s10
	v_add_u32_e32 v0, v0, v16
	v_lshrrev_b32_e32 v0, s11, v0
	v_mul_lo_u32 v9, v0, s9
	v_sub_u32_e32 v9, v16, v9
	s_andn2_b64 vcc, exec, s[46:47]
	v_mul_lo_u32 v10, v9, s50
	s_cbranch_vccnz .LBB47_34
; %bb.33:                               ;   in Loop: Header=BB47_9 Depth=1
	v_mul_hi_u32 v9, s8, v0
	v_add_u32_e32 v9, v0, v9
	v_lshrrev_b32_e32 v9, s14, v9
	v_mul_lo_u32 v9, v9, s12
	v_sub_u32_e32 v0, v0, v9
	v_mad_u64_u32 v[10:11], s[4:5], v0, s51, v[10:11]
.LBB47_34:                              ;   in Loop: Header=BB47_9 Depth=1
	v_mov_b32_e32 v0, v2
	v_cmp_le_u64_e32 vcc, s[30:31], v[0:1]
	s_and_saveexec_b64 s[4:5], vcc
	s_cbranch_execz .LBB47_36
; %bb.35:                               ;   in Loop: Header=BB47_9 Depth=1
	v_cvt_f32_u32_e32 v2, s30
	s_sub_i32 s6, 0, s30
	v_rcp_iflag_f32_e32 v2, v2
	v_mul_f32_e32 v2, 0x4f7ffffe, v2
	v_cvt_u32_f32_e32 v2, v2
	v_mul_lo_u32 v9, s6, v2
	v_mul_hi_u32 v9, v2, v9
	v_add_u32_e32 v2, v2, v9
	v_mul_hi_u32 v2, v0, v2
	v_mul_lo_u32 v2, v2, s30
	v_sub_u32_e32 v0, v0, v2
	v_subrev_u32_e32 v2, s30, v0
	v_cmp_le_u32_e32 vcc, s30, v0
	v_cndmask_b32_e32 v0, v0, v2, vcc
	v_subrev_u32_e32 v2, s30, v0
	v_cmp_le_u32_e32 vcc, s30, v0
	v_cndmask_b32_e32 v0, v0, v2, vcc
.LBB47_36:                              ;   in Loop: Header=BB47_9 Depth=1
	s_or_b64 exec, exec, s[4:5]
	v_add_u32_e32 v0, s48, v0
	global_store_dword v10, v0, s[28:29]
.LBB47_37:                              ;   in Loop: Header=BB47_9 Depth=1
	s_or_b64 exec, exec, s[2:3]
	v_mov_b32_e32 v0, s63
	v_add_co_u32_e32 v12, vcc, s33, v16
	v_addc_co_u32_e32 v13, vcc, v17, v0, vcc
	v_cmp_gt_i64_e32 vcc, s[24:25], v[12:13]
	s_and_saveexec_b64 s[2:3], vcc
	s_cbranch_execz .LBB47_55
; %bb.38:                               ;   in Loop: Header=BB47_9 Depth=1
	s_and_b64 vcc, exec, s[0:1]
	s_cbranch_vccnz .LBB47_44
; %bb.39:                               ;   in Loop: Header=BB47_9 Depth=1
	s_andn2_b64 vcc, exec, s[42:43]
	s_cbranch_vccnz .LBB47_45
; %bb.40:                               ;   in Loop: Header=BB47_9 Depth=1
	s_mov_b32 s6, 0
	s_andn2_b64 vcc, exec, s[52:53]
	v_mov_b32_e32 v10, 0
	s_cbranch_vccnz .LBB47_46
; %bb.41:                               ;   in Loop: Header=BB47_9 Depth=1
	s_mov_b32 s69, 0
	v_mov_b32_e32 v10, 0
	s_mov_b64 s[58:59], s[34:35]
	s_mov_b64 s[60:61], s[44:45]
	v_mov_b32_e32 v0, v12
.LBB47_42:                              ;   Parent Loop BB47_9 Depth=1
                                        ; =>  This Inner Loop Header: Depth=2
	s_load_dwordx8 s[16:23], s[58:59], 0x4
	s_load_dwordx4 s[4:7], s[58:59], 0x24
	s_load_dwordx4 s[36:39], s[60:61], 0x0
	s_add_u32 s58, s58, 48
	s_addc_u32 s59, s59, 0
	s_waitcnt lgkmcnt(0)
	v_mul_hi_u32 v2, s17, v0
	v_add_u32_e32 v2, v0, v2
	v_lshrrev_b32_e32 v2, s18, v2
	v_mul_lo_u32 v9, v2, s16
	v_mul_hi_u32 v11, s20, v2
	v_sub_u32_e32 v0, v0, v9
	v_add_u32_e32 v9, v2, v11
	v_lshrrev_b32_e32 v9, s21, v9
	v_mul_lo_u32 v11, v9, s19
	v_mul_hi_u32 v13, s23, v9
	v_sub_u32_e32 v2, v2, v11
	v_add_u32_e32 v11, v9, v13
	v_mul_lo_u32 v0, v0, s36
	v_mul_lo_u32 v2, v2, s37
	v_lshrrev_b32_e32 v11, s4, v11
	v_add3_u32 v2, v0, v10, v2
	v_mul_lo_u32 v0, v11, s22
	v_mul_hi_u32 v10, s6, v11
	v_sub_u32_e32 v0, v9, v0
	v_add_u32_e32 v9, v11, v10
	v_mul_lo_u32 v10, v0, s38
	v_lshrrev_b32_e32 v0, s7, v9
	s_add_i32 s69, s69, 4
	v_mul_lo_u32 v9, v0, s5
	s_add_u32 s60, s60, 16
	v_sub_u32_e32 v9, v11, v9
	s_addc_u32 s61, s61, 0
	v_mul_lo_u32 v9, v9, s39
	s_cmp_eq_u32 s68, s69
	v_add3_u32 v10, v10, v2, v9
	s_cbranch_scc0 .LBB47_42
; %bb.43:                               ;   in Loop: Header=BB47_9 Depth=1
	s_mov_b32 s6, s68
	s_andn2_b64 vcc, exec, s[56:57]
	s_cbranch_vccz .LBB47_47
	s_branch .LBB47_49
.LBB47_44:                              ;   in Loop: Header=BB47_9 Depth=1
                                        ; implicit-def: $vgpr10
	s_branch .LBB47_50
.LBB47_45:                              ;   in Loop: Header=BB47_9 Depth=1
	v_mov_b32_e32 v10, 0
	s_branch .LBB47_49
.LBB47_46:                              ;   in Loop: Header=BB47_9 Depth=1
	v_mov_b32_e32 v0, v12
	s_andn2_b64 vcc, exec, s[56:57]
	s_cbranch_vccnz .LBB47_49
.LBB47_47:                              ;   in Loop: Header=BB47_9 Depth=1
	s_lshl_b32 s4, s6, 2
	s_add_u32 s4, s44, s4
	s_addc_u32 s5, s45, 0
	s_mul_i32 s6, s6, 12
	s_add_u32 s6, s34, s6
	s_addc_u32 s7, s35, 0
	s_mov_b32 s16, s67
.LBB47_48:                              ;   Parent Loop BB47_9 Depth=1
                                        ; =>  This Inner Loop Header: Depth=2
	s_load_dwordx2 s[18:19], s[6:7], 0x4
	s_load_dword s17, s[6:7], 0xc
	s_load_dword s20, s[4:5], 0x0
	s_add_u32 s6, s6, 12
	s_addc_u32 s7, s7, 0
	s_waitcnt lgkmcnt(0)
	v_mul_hi_u32 v2, s19, v0
	v_add_u32_e32 v2, v0, v2
	v_lshrrev_b32_e32 v2, s17, v2
	s_add_u32 s4, s4, 4
	v_mul_lo_u32 v9, v2, s18
	s_addc_u32 s5, s5, 0
	s_add_i32 s16, s16, -1
	v_sub_u32_e32 v9, v0, v9
	s_cmp_lg_u32 s16, 0
	v_mov_b32_e32 v0, v2
	v_mad_u64_u32 v[10:11], s[18:19], v9, s20, v[10:11]
	s_cbranch_scc1 .LBB47_48
.LBB47_49:                              ;   in Loop: Header=BB47_9 Depth=1
	s_cbranch_execnz .LBB47_52
.LBB47_50:                              ;   in Loop: Header=BB47_9 Depth=1
	v_mul_hi_u32 v0, v12, s10
	v_add_u32_e32 v0, v0, v12
	v_lshrrev_b32_e32 v0, s11, v0
	v_mul_lo_u32 v2, v0, s9
	v_sub_u32_e32 v2, v12, v2
	s_andn2_b64 vcc, exec, s[46:47]
	v_mul_lo_u32 v10, v2, s50
	s_cbranch_vccnz .LBB47_52
; %bb.51:                               ;   in Loop: Header=BB47_9 Depth=1
	v_mul_hi_u32 v2, s8, v0
	v_add_u32_e32 v2, v0, v2
	v_lshrrev_b32_e32 v2, s14, v2
	v_mul_lo_u32 v2, v2, s12
	v_sub_u32_e32 v0, v0, v2
	v_mad_u64_u32 v[10:11], s[4:5], v0, s51, v[10:11]
.LBB47_52:                              ;   in Loop: Header=BB47_9 Depth=1
	v_mov_b32_e32 v0, v3
	v_cmp_le_u64_e32 vcc, s[30:31], v[0:1]
	s_and_saveexec_b64 s[4:5], vcc
	s_cbranch_execz .LBB47_54
; %bb.53:                               ;   in Loop: Header=BB47_9 Depth=1
	v_cvt_f32_u32_e32 v2, s30
	s_sub_i32 s6, 0, s30
	v_rcp_iflag_f32_e32 v2, v2
	v_mul_f32_e32 v2, 0x4f7ffffe, v2
	v_cvt_u32_f32_e32 v2, v2
	v_mul_lo_u32 v3, s6, v2
	v_mul_hi_u32 v3, v2, v3
	v_add_u32_e32 v2, v2, v3
	v_mul_hi_u32 v2, v0, v2
	v_mul_lo_u32 v2, v2, s30
	v_sub_u32_e32 v0, v0, v2
	v_subrev_u32_e32 v2, s30, v0
	v_cmp_le_u32_e32 vcc, s30, v0
	v_cndmask_b32_e32 v0, v0, v2, vcc
	v_subrev_u32_e32 v2, s30, v0
	v_cmp_le_u32_e32 vcc, s30, v0
	v_cndmask_b32_e32 v0, v0, v2, vcc
.LBB47_54:                              ;   in Loop: Header=BB47_9 Depth=1
	s_or_b64 exec, exec, s[4:5]
	v_add_u32_e32 v0, s48, v0
	global_store_dword v10, v0, s[28:29]
.LBB47_55:                              ;   in Loop: Header=BB47_9 Depth=1
	s_or_b64 exec, exec, s[2:3]
	v_mov_b32_e32 v0, s15
	v_add_co_u32_e32 v10, vcc, s13, v16
	v_addc_co_u32_e32 v11, vcc, v17, v0, vcc
	v_cmp_gt_i64_e32 vcc, s[24:25], v[10:11]
	s_and_saveexec_b64 s[2:3], vcc
	s_cbranch_execz .LBB47_73
; %bb.56:                               ;   in Loop: Header=BB47_9 Depth=1
	s_and_b64 vcc, exec, s[0:1]
	s_cbranch_vccnz .LBB47_62
; %bb.57:                               ;   in Loop: Header=BB47_9 Depth=1
	s_andn2_b64 vcc, exec, s[42:43]
	s_cbranch_vccnz .LBB47_63
; %bb.58:                               ;   in Loop: Header=BB47_9 Depth=1
	s_mov_b32 s6, 0
	s_andn2_b64 vcc, exec, s[52:53]
	v_mov_b32_e32 v2, 0
	s_cbranch_vccnz .LBB47_64
; %bb.59:                               ;   in Loop: Header=BB47_9 Depth=1
	s_mov_b32 s69, 0
	v_mov_b32_e32 v2, 0
	s_mov_b64 s[58:59], s[34:35]
	s_mov_b64 s[60:61], s[44:45]
	v_mov_b32_e32 v0, v10
.LBB47_60:                              ;   Parent Loop BB47_9 Depth=1
                                        ; =>  This Inner Loop Header: Depth=2
	s_load_dwordx8 s[16:23], s[58:59], 0x4
	s_load_dwordx4 s[4:7], s[58:59], 0x24
	s_load_dwordx4 s[36:39], s[60:61], 0x0
	s_add_u32 s58, s58, 48
	s_addc_u32 s59, s59, 0
	s_waitcnt lgkmcnt(0)
	v_mul_hi_u32 v3, s17, v0
	v_add_u32_e32 v3, v0, v3
	v_lshrrev_b32_e32 v3, s18, v3
	v_mul_lo_u32 v9, v3, s16
	v_mul_hi_u32 v11, s20, v3
	v_sub_u32_e32 v0, v0, v9
	v_add_u32_e32 v9, v3, v11
	v_lshrrev_b32_e32 v9, s21, v9
	v_mul_lo_u32 v11, v9, s19
	v_mul_hi_u32 v12, s23, v9
	v_sub_u32_e32 v3, v3, v11
	v_add_u32_e32 v11, v9, v12
	v_mul_lo_u32 v0, v0, s36
	v_mul_lo_u32 v3, v3, s37
	v_lshrrev_b32_e32 v11, s4, v11
	v_add3_u32 v2, v0, v2, v3
	v_mul_lo_u32 v0, v11, s22
	v_mul_hi_u32 v3, s6, v11
	v_sub_u32_e32 v0, v9, v0
	v_add_u32_e32 v3, v11, v3
	v_mul_lo_u32 v9, v0, s38
	v_lshrrev_b32_e32 v0, s7, v3
	s_add_i32 s69, s69, 4
	v_mul_lo_u32 v3, v0, s5
	s_add_u32 s60, s60, 16
	v_sub_u32_e32 v3, v11, v3
	s_addc_u32 s61, s61, 0
	v_mul_lo_u32 v3, v3, s39
	s_cmp_eq_u32 s68, s69
	v_add3_u32 v2, v9, v2, v3
	s_cbranch_scc0 .LBB47_60
; %bb.61:                               ;   in Loop: Header=BB47_9 Depth=1
	s_mov_b32 s6, s68
	s_andn2_b64 vcc, exec, s[56:57]
	s_cbranch_vccz .LBB47_65
	s_branch .LBB47_67
.LBB47_62:                              ;   in Loop: Header=BB47_9 Depth=1
                                        ; implicit-def: $vgpr2
	s_branch .LBB47_68
.LBB47_63:                              ;   in Loop: Header=BB47_9 Depth=1
	v_mov_b32_e32 v2, 0
	s_branch .LBB47_67
.LBB47_64:                              ;   in Loop: Header=BB47_9 Depth=1
	v_mov_b32_e32 v0, v10
	s_andn2_b64 vcc, exec, s[56:57]
	s_cbranch_vccnz .LBB47_67
.LBB47_65:                              ;   in Loop: Header=BB47_9 Depth=1
	s_lshl_b32 s4, s6, 2
	s_add_u32 s4, s44, s4
	s_addc_u32 s5, s45, 0
	s_mul_i32 s6, s6, 12
	s_add_u32 s6, s34, s6
	s_addc_u32 s7, s35, 0
	s_mov_b32 s16, s67
.LBB47_66:                              ;   Parent Loop BB47_9 Depth=1
                                        ; =>  This Inner Loop Header: Depth=2
	s_load_dwordx2 s[18:19], s[6:7], 0x4
	s_load_dword s17, s[6:7], 0xc
	s_load_dword s20, s[4:5], 0x0
	s_add_u32 s6, s6, 12
	s_addc_u32 s7, s7, 0
	s_waitcnt lgkmcnt(0)
	v_mul_hi_u32 v3, s19, v0
	v_add_u32_e32 v3, v0, v3
	v_lshrrev_b32_e32 v3, s17, v3
	s_add_u32 s4, s4, 4
	v_mul_lo_u32 v9, v3, s18
	s_addc_u32 s5, s5, 0
	s_add_i32 s16, s16, -1
	v_sub_u32_e32 v9, v0, v9
	s_cmp_lg_u32 s16, 0
	v_mov_b32_e32 v0, v3
	v_mad_u64_u32 v[2:3], s[18:19], v9, s20, v[2:3]
	s_cbranch_scc1 .LBB47_66
.LBB47_67:                              ;   in Loop: Header=BB47_9 Depth=1
	s_cbranch_execnz .LBB47_70
.LBB47_68:                              ;   in Loop: Header=BB47_9 Depth=1
	v_mul_hi_u32 v0, v10, s10
	v_add_u32_e32 v0, v0, v10
	v_lshrrev_b32_e32 v0, s11, v0
	v_mul_lo_u32 v2, v0, s9
	v_sub_u32_e32 v2, v10, v2
	s_andn2_b64 vcc, exec, s[46:47]
	v_mul_lo_u32 v2, v2, s50
	s_cbranch_vccnz .LBB47_70
; %bb.69:                               ;   in Loop: Header=BB47_9 Depth=1
	v_mul_hi_u32 v3, s8, v0
	v_add_u32_e32 v3, v0, v3
	v_lshrrev_b32_e32 v3, s14, v3
	v_mul_lo_u32 v3, v3, s12
	v_sub_u32_e32 v0, v0, v3
	v_mad_u64_u32 v[2:3], s[4:5], v0, s51, v[2:3]
.LBB47_70:                              ;   in Loop: Header=BB47_9 Depth=1
	v_mov_b32_e32 v0, v4
	v_cmp_le_u64_e32 vcc, s[30:31], v[0:1]
	s_and_saveexec_b64 s[4:5], vcc
	s_cbranch_execz .LBB47_72
; %bb.71:                               ;   in Loop: Header=BB47_9 Depth=1
	v_cvt_f32_u32_e32 v3, s30
	s_sub_i32 s6, 0, s30
	v_rcp_iflag_f32_e32 v3, v3
	v_mul_f32_e32 v3, 0x4f7ffffe, v3
	v_cvt_u32_f32_e32 v3, v3
	v_mul_lo_u32 v4, s6, v3
	v_mul_hi_u32 v4, v3, v4
	v_add_u32_e32 v3, v3, v4
	v_mul_hi_u32 v3, v0, v3
	v_mul_lo_u32 v3, v3, s30
	v_sub_u32_e32 v0, v0, v3
	v_subrev_u32_e32 v3, s30, v0
	v_cmp_le_u32_e32 vcc, s30, v0
	v_cndmask_b32_e32 v0, v0, v3, vcc
	v_subrev_u32_e32 v3, s30, v0
	v_cmp_le_u32_e32 vcc, s30, v0
	v_cndmask_b32_e32 v0, v0, v3, vcc
.LBB47_72:                              ;   in Loop: Header=BB47_9 Depth=1
	s_or_b64 exec, exec, s[4:5]
	v_add_u32_e32 v0, s48, v0
	global_store_dword v2, v0, s[28:29]
.LBB47_73:                              ;   in Loop: Header=BB47_9 Depth=1
	s_or_b64 exec, exec, s[2:3]
	v_mov_b32_e32 v0, s66
	v_add_co_u32_e32 v10, vcc, s49, v16
	v_addc_co_u32_e32 v11, vcc, v17, v0, vcc
	v_cmp_gt_i64_e32 vcc, s[24:25], v[10:11]
	s_and_saveexec_b64 s[36:37], vcc
	s_cbranch_execz .LBB47_8
; %bb.74:                               ;   in Loop: Header=BB47_9 Depth=1
	s_and_b64 vcc, exec, s[0:1]
	s_cbranch_vccnz .LBB47_80
; %bb.75:                               ;   in Loop: Header=BB47_9 Depth=1
	s_andn2_b64 vcc, exec, s[42:43]
	s_cbranch_vccnz .LBB47_81
; %bb.76:                               ;   in Loop: Header=BB47_9 Depth=1
	s_mov_b32 s2, 0
	s_andn2_b64 vcc, exec, s[52:53]
	v_mov_b32_e32 v2, 0
	s_cbranch_vccnz .LBB47_82
; %bb.77:                               ;   in Loop: Header=BB47_9 Depth=1
	s_mov_b32 s60, 0
	v_mov_b32_e32 v2, 0
	s_mov_b64 s[38:39], s[34:35]
	s_mov_b64 s[58:59], s[44:45]
	v_mov_b32_e32 v0, v10
.LBB47_78:                              ;   Parent Loop BB47_9 Depth=1
                                        ; =>  This Inner Loop Header: Depth=2
	s_load_dwordx8 s[0:7], s[38:39], 0x4
	s_load_dwordx4 s[16:19], s[38:39], 0x24
	s_load_dwordx4 s[20:23], s[58:59], 0x0
	s_add_u32 s38, s38, 48
	s_addc_u32 s39, s39, 0
	s_waitcnt lgkmcnt(0)
	v_mul_hi_u32 v3, s1, v0
	v_add_u32_e32 v3, v0, v3
	v_lshrrev_b32_e32 v3, s2, v3
	v_mul_lo_u32 v4, v3, s0
	v_mul_hi_u32 v9, s4, v3
	v_sub_u32_e32 v0, v0, v4
	v_add_u32_e32 v4, v3, v9
	v_lshrrev_b32_e32 v4, s5, v4
	v_mul_lo_u32 v9, v4, s3
	v_mul_hi_u32 v11, s7, v4
	v_sub_u32_e32 v3, v3, v9
	v_add_u32_e32 v9, v4, v11
	v_mul_lo_u32 v0, v0, s20
	v_mul_lo_u32 v3, v3, s21
	v_lshrrev_b32_e32 v9, s16, v9
	v_add3_u32 v2, v0, v2, v3
	v_mul_lo_u32 v0, v9, s6
	v_mul_hi_u32 v3, s18, v9
	v_sub_u32_e32 v0, v4, v0
	v_add_u32_e32 v3, v9, v3
	v_mul_lo_u32 v4, v0, s22
	v_lshrrev_b32_e32 v0, s19, v3
	s_add_i32 s60, s60, 4
	v_mul_lo_u32 v3, v0, s17
	s_add_u32 s58, s58, 16
	v_sub_u32_e32 v3, v9, v3
	s_addc_u32 s59, s59, 0
	v_mul_lo_u32 v3, v3, s23
	s_cmp_eq_u32 s68, s60
	v_add3_u32 v2, v4, v2, v3
	s_cbranch_scc0 .LBB47_78
; %bb.79:                               ;   in Loop: Header=BB47_9 Depth=1
	s_mov_b32 s2, s68
	s_andn2_b64 vcc, exec, s[56:57]
	s_cbranch_vccz .LBB47_83
	s_branch .LBB47_85
.LBB47_80:                              ;   in Loop: Header=BB47_9 Depth=1
                                        ; implicit-def: $vgpr2
	s_branch .LBB47_86
.LBB47_81:                              ;   in Loop: Header=BB47_9 Depth=1
	v_mov_b32_e32 v2, 0
	s_branch .LBB47_85
.LBB47_82:                              ;   in Loop: Header=BB47_9 Depth=1
	v_mov_b32_e32 v0, v10
	s_andn2_b64 vcc, exec, s[56:57]
	s_cbranch_vccnz .LBB47_85
.LBB47_83:                              ;   in Loop: Header=BB47_9 Depth=1
	s_lshl_b32 s0, s2, 2
	s_add_u32 s0, s44, s0
	s_addc_u32 s1, s45, 0
	s_mul_i32 s2, s2, 12
	s_add_u32 s2, s34, s2
	s_addc_u32 s3, s35, 0
	s_mov_b32 s4, s67
.LBB47_84:                              ;   Parent Loop BB47_9 Depth=1
                                        ; =>  This Inner Loop Header: Depth=2
	s_load_dwordx2 s[6:7], s[2:3], 0x4
	s_load_dword s5, s[2:3], 0xc
	s_load_dword s16, s[0:1], 0x0
	s_add_u32 s2, s2, 12
	s_addc_u32 s3, s3, 0
	s_waitcnt lgkmcnt(0)
	v_mul_hi_u32 v3, s7, v0
	v_add_u32_e32 v3, v0, v3
	v_lshrrev_b32_e32 v3, s5, v3
	s_add_u32 s0, s0, 4
	v_mul_lo_u32 v4, v3, s6
	s_addc_u32 s1, s1, 0
	s_add_i32 s4, s4, -1
	v_sub_u32_e32 v4, v0, v4
	s_cmp_lg_u32 s4, 0
	v_mov_b32_e32 v0, v3
	v_mad_u64_u32 v[2:3], s[6:7], v4, s16, v[2:3]
	s_cbranch_scc1 .LBB47_84
.LBB47_85:                              ;   in Loop: Header=BB47_9 Depth=1
	s_cbranch_execnz .LBB47_88
.LBB47_86:                              ;   in Loop: Header=BB47_9 Depth=1
	v_mul_hi_u32 v0, v10, s10
	v_add_u32_e32 v0, v0, v10
	v_lshrrev_b32_e32 v0, s11, v0
	v_mul_lo_u32 v2, v0, s9
	v_sub_u32_e32 v2, v10, v2
	s_andn2_b64 vcc, exec, s[46:47]
	v_mul_lo_u32 v2, v2, s50
	s_cbranch_vccnz .LBB47_88
; %bb.87:                               ;   in Loop: Header=BB47_9 Depth=1
	v_mul_hi_u32 v3, s8, v0
	v_add_u32_e32 v3, v0, v3
	v_lshrrev_b32_e32 v3, s14, v3
	v_mul_lo_u32 v3, v3, s12
	v_sub_u32_e32 v0, v0, v3
	v_mad_u64_u32 v[2:3], s[0:1], v0, s51, v[2:3]
.LBB47_88:                              ;   in Loop: Header=BB47_9 Depth=1
	v_mov_b32_e32 v0, v5
	v_cmp_le_u64_e32 vcc, s[30:31], v[0:1]
	s_and_saveexec_b64 s[0:1], vcc
	s_cbranch_execz .LBB47_7
; %bb.89:                               ;   in Loop: Header=BB47_9 Depth=1
	v_cvt_f32_u32_e32 v3, s30
	s_sub_i32 s2, 0, s30
	v_rcp_iflag_f32_e32 v3, v3
	v_mul_f32_e32 v3, 0x4f7ffffe, v3
	v_cvt_u32_f32_e32 v3, v3
	v_mul_lo_u32 v4, s2, v3
	v_mul_hi_u32 v4, v3, v4
	v_add_u32_e32 v3, v3, v4
	v_mul_hi_u32 v3, v0, v3
	v_mul_lo_u32 v3, v3, s30
	v_sub_u32_e32 v0, v0, v3
	v_subrev_u32_e32 v3, s30, v0
	v_cmp_le_u32_e32 vcc, s30, v0
	v_cndmask_b32_e32 v0, v0, v3, vcc
	v_subrev_u32_e32 v3, s30, v0
	v_cmp_le_u32_e32 vcc, s30, v0
	v_cndmask_b32_e32 v0, v0, v3, vcc
	s_branch .LBB47_7
.LBB47_90:
	s_endpgm
.LBB47_91:
                                        ; implicit-def: $sgpr2_sgpr3
	s_andn2_b64 vcc, exec, s[0:1]
	s_cbranch_vccz .LBB47_4
	s_branch .LBB47_5
	.section	.rodata,"a",@progbits
	.p2align	6, 0x0
	.amdhsa_kernel _ZN2at6native12_GLOBAL__N_143distribution_elementwise_grid_stride_kernelIjLi4EZZZNS0_9templates4cuda21random_from_to_kernelIPNS_17CUDAGeneratorImplEEEvRNS_18TensorIteratorBaseEmlT_ENKUlvE_clEvENKUlvE10_clEvEUlP25hiprandStatePhilox4_32_10E0_ZNS1_27distribution_nullary_kernelIjj15HIP_vector_typeIjLj4EES7_SF_ZZZNS5_IS7_EEvS9_mlSA_ENKSB_clEvENKSC_clEvEUljE_EEvS9_T2_RKT3_T4_EUlijE0_EEvlNS_15PhiloxCudaStateET1_SK_
		.amdhsa_group_segment_fixed_size 0
		.amdhsa_private_segment_fixed_size 0
		.amdhsa_kernarg_size 592
		.amdhsa_user_sgpr_count 6
		.amdhsa_user_sgpr_private_segment_buffer 1
		.amdhsa_user_sgpr_dispatch_ptr 0
		.amdhsa_user_sgpr_queue_ptr 0
		.amdhsa_user_sgpr_kernarg_segment_ptr 1
		.amdhsa_user_sgpr_dispatch_id 0
		.amdhsa_user_sgpr_flat_scratch_init 0
		.amdhsa_user_sgpr_kernarg_preload_length 0
		.amdhsa_user_sgpr_kernarg_preload_offset 0
		.amdhsa_user_sgpr_private_segment_size 0
		.amdhsa_uses_dynamic_stack 0
		.amdhsa_system_sgpr_private_segment_wavefront_offset 0
		.amdhsa_system_sgpr_workgroup_id_x 1
		.amdhsa_system_sgpr_workgroup_id_y 0
		.amdhsa_system_sgpr_workgroup_id_z 0
		.amdhsa_system_sgpr_workgroup_info 0
		.amdhsa_system_vgpr_workitem_id 0
		.amdhsa_next_free_vgpr 43
		.amdhsa_next_free_sgpr 70
		.amdhsa_accum_offset 44
		.amdhsa_reserve_vcc 1
		.amdhsa_reserve_flat_scratch 0
		.amdhsa_float_round_mode_32 0
		.amdhsa_float_round_mode_16_64 0
		.amdhsa_float_denorm_mode_32 3
		.amdhsa_float_denorm_mode_16_64 3
		.amdhsa_dx10_clamp 1
		.amdhsa_ieee_mode 1
		.amdhsa_fp16_overflow 0
		.amdhsa_tg_split 0
		.amdhsa_exception_fp_ieee_invalid_op 0
		.amdhsa_exception_fp_denorm_src 0
		.amdhsa_exception_fp_ieee_div_zero 0
		.amdhsa_exception_fp_ieee_overflow 0
		.amdhsa_exception_fp_ieee_underflow 0
		.amdhsa_exception_fp_ieee_inexact 0
		.amdhsa_exception_int_div_zero 0
	.end_amdhsa_kernel
	.section	.text._ZN2at6native12_GLOBAL__N_143distribution_elementwise_grid_stride_kernelIjLi4EZZZNS0_9templates4cuda21random_from_to_kernelIPNS_17CUDAGeneratorImplEEEvRNS_18TensorIteratorBaseEmlT_ENKUlvE_clEvENKUlvE10_clEvEUlP25hiprandStatePhilox4_32_10E0_ZNS1_27distribution_nullary_kernelIjj15HIP_vector_typeIjLj4EES7_SF_ZZZNS5_IS7_EEvS9_mlSA_ENKSB_clEvENKSC_clEvEUljE_EEvS9_T2_RKT3_T4_EUlijE0_EEvlNS_15PhiloxCudaStateET1_SK_,"axG",@progbits,_ZN2at6native12_GLOBAL__N_143distribution_elementwise_grid_stride_kernelIjLi4EZZZNS0_9templates4cuda21random_from_to_kernelIPNS_17CUDAGeneratorImplEEEvRNS_18TensorIteratorBaseEmlT_ENKUlvE_clEvENKUlvE10_clEvEUlP25hiprandStatePhilox4_32_10E0_ZNS1_27distribution_nullary_kernelIjj15HIP_vector_typeIjLj4EES7_SF_ZZZNS5_IS7_EEvS9_mlSA_ENKSB_clEvENKSC_clEvEUljE_EEvS9_T2_RKT3_T4_EUlijE0_EEvlNS_15PhiloxCudaStateET1_SK_,comdat
.Lfunc_end47:
	.size	_ZN2at6native12_GLOBAL__N_143distribution_elementwise_grid_stride_kernelIjLi4EZZZNS0_9templates4cuda21random_from_to_kernelIPNS_17CUDAGeneratorImplEEEvRNS_18TensorIteratorBaseEmlT_ENKUlvE_clEvENKUlvE10_clEvEUlP25hiprandStatePhilox4_32_10E0_ZNS1_27distribution_nullary_kernelIjj15HIP_vector_typeIjLj4EES7_SF_ZZZNS5_IS7_EEvS9_mlSA_ENKSB_clEvENKSC_clEvEUljE_EEvS9_T2_RKT3_T4_EUlijE0_EEvlNS_15PhiloxCudaStateET1_SK_, .Lfunc_end47-_ZN2at6native12_GLOBAL__N_143distribution_elementwise_grid_stride_kernelIjLi4EZZZNS0_9templates4cuda21random_from_to_kernelIPNS_17CUDAGeneratorImplEEEvRNS_18TensorIteratorBaseEmlT_ENKUlvE_clEvENKUlvE10_clEvEUlP25hiprandStatePhilox4_32_10E0_ZNS1_27distribution_nullary_kernelIjj15HIP_vector_typeIjLj4EES7_SF_ZZZNS5_IS7_EEvS9_mlSA_ENKSB_clEvENKSC_clEvEUljE_EEvS9_T2_RKT3_T4_EUlijE0_EEvlNS_15PhiloxCudaStateET1_SK_
                                        ; -- End function
	.section	.AMDGPU.csdata,"",@progbits
; Kernel info:
; codeLenInByte = 4756
; NumSgprs: 74
; NumVgprs: 43
; NumAgprs: 0
; TotalNumVgprs: 43
; ScratchSize: 0
; MemoryBound: 0
; FloatMode: 240
; IeeeMode: 1
; LDSByteSize: 0 bytes/workgroup (compile time only)
; SGPRBlocks: 9
; VGPRBlocks: 5
; NumSGPRsForWavesPerEU: 74
; NumVGPRsForWavesPerEU: 43
; AccumOffset: 44
; Occupancy: 8
; WaveLimiterHint : 1
; COMPUTE_PGM_RSRC2:SCRATCH_EN: 0
; COMPUTE_PGM_RSRC2:USER_SGPR: 6
; COMPUTE_PGM_RSRC2:TRAP_HANDLER: 0
; COMPUTE_PGM_RSRC2:TGID_X_EN: 1
; COMPUTE_PGM_RSRC2:TGID_Y_EN: 0
; COMPUTE_PGM_RSRC2:TGID_Z_EN: 0
; COMPUTE_PGM_RSRC2:TIDIG_COMP_CNT: 0
; COMPUTE_PGM_RSRC3_GFX90A:ACCUM_OFFSET: 10
; COMPUTE_PGM_RSRC3_GFX90A:TG_SPLIT: 0
	.section	.text._ZN2at6native12_GLOBAL__N_143distribution_elementwise_grid_stride_kernelImLi2EZZZNS0_9templates4cuda21random_from_to_kernelIPNS_17CUDAGeneratorImplEEEvRNS_18TensorIteratorBaseEmlT_ENKUlvE_clEvENKUlvE11_clEvEUlP25hiprandStatePhilox4_32_10E_ZNS1_27distribution_nullary_kernelImm15HIP_vector_typeIyLj2EES7_SF_ZZZNS5_IS7_EEvS9_mlSA_ENKSB_clEvENKSC_clEvEUlmE_EEvS9_T2_RKT3_T4_EUlimE_EEvlNS_15PhiloxCudaStateET1_SK_,"axG",@progbits,_ZN2at6native12_GLOBAL__N_143distribution_elementwise_grid_stride_kernelImLi2EZZZNS0_9templates4cuda21random_from_to_kernelIPNS_17CUDAGeneratorImplEEEvRNS_18TensorIteratorBaseEmlT_ENKUlvE_clEvENKUlvE11_clEvEUlP25hiprandStatePhilox4_32_10E_ZNS1_27distribution_nullary_kernelImm15HIP_vector_typeIyLj2EES7_SF_ZZZNS5_IS7_EEvS9_mlSA_ENKSB_clEvENKSC_clEvEUlmE_EEvS9_T2_RKT3_T4_EUlimE_EEvlNS_15PhiloxCudaStateET1_SK_,comdat
	.globl	_ZN2at6native12_GLOBAL__N_143distribution_elementwise_grid_stride_kernelImLi2EZZZNS0_9templates4cuda21random_from_to_kernelIPNS_17CUDAGeneratorImplEEEvRNS_18TensorIteratorBaseEmlT_ENKUlvE_clEvENKUlvE11_clEvEUlP25hiprandStatePhilox4_32_10E_ZNS1_27distribution_nullary_kernelImm15HIP_vector_typeIyLj2EES7_SF_ZZZNS5_IS7_EEvS9_mlSA_ENKSB_clEvENKSC_clEvEUlmE_EEvS9_T2_RKT3_T4_EUlimE_EEvlNS_15PhiloxCudaStateET1_SK_ ; -- Begin function _ZN2at6native12_GLOBAL__N_143distribution_elementwise_grid_stride_kernelImLi2EZZZNS0_9templates4cuda21random_from_to_kernelIPNS_17CUDAGeneratorImplEEEvRNS_18TensorIteratorBaseEmlT_ENKUlvE_clEvENKUlvE11_clEvEUlP25hiprandStatePhilox4_32_10E_ZNS1_27distribution_nullary_kernelImm15HIP_vector_typeIyLj2EES7_SF_ZZZNS5_IS7_EEvS9_mlSA_ENKSB_clEvENKSC_clEvEUlmE_EEvS9_T2_RKT3_T4_EUlimE_EEvlNS_15PhiloxCudaStateET1_SK_
	.p2align	8
	.type	_ZN2at6native12_GLOBAL__N_143distribution_elementwise_grid_stride_kernelImLi2EZZZNS0_9templates4cuda21random_from_to_kernelIPNS_17CUDAGeneratorImplEEEvRNS_18TensorIteratorBaseEmlT_ENKUlvE_clEvENKUlvE11_clEvEUlP25hiprandStatePhilox4_32_10E_ZNS1_27distribution_nullary_kernelImm15HIP_vector_typeIyLj2EES7_SF_ZZZNS5_IS7_EEvS9_mlSA_ENKSB_clEvENKSC_clEvEUlmE_EEvS9_T2_RKT3_T4_EUlimE_EEvlNS_15PhiloxCudaStateET1_SK_,@function
_ZN2at6native12_GLOBAL__N_143distribution_elementwise_grid_stride_kernelImLi2EZZZNS0_9templates4cuda21random_from_to_kernelIPNS_17CUDAGeneratorImplEEEvRNS_18TensorIteratorBaseEmlT_ENKUlvE_clEvENKUlvE11_clEvEUlP25hiprandStatePhilox4_32_10E_ZNS1_27distribution_nullary_kernelImm15HIP_vector_typeIyLj2EES7_SF_ZZZNS5_IS7_EEvS9_mlSA_ENKSB_clEvENKSC_clEvEUlmE_EEvS9_T2_RKT3_T4_EUlimE_EEvlNS_15PhiloxCudaStateET1_SK_: ; @_ZN2at6native12_GLOBAL__N_143distribution_elementwise_grid_stride_kernelImLi2EZZZNS0_9templates4cuda21random_from_to_kernelIPNS_17CUDAGeneratorImplEEEvRNS_18TensorIteratorBaseEmlT_ENKUlvE_clEvENKUlvE11_clEvEUlP25hiprandStatePhilox4_32_10E_ZNS1_27distribution_nullary_kernelImm15HIP_vector_typeIyLj2EES7_SF_ZZZNS5_IS7_EEvS9_mlSA_ENKSB_clEvENKSC_clEvEUlmE_EEvS9_T2_RKT3_T4_EUlimE_EEvlNS_15PhiloxCudaStateET1_SK_
; %bb.0:
	s_load_dword s2, s[4:5], 0x20
	s_load_dwordx2 s[0:1], s[4:5], 0x10
	s_load_dwordx4 s[8:11], s[4:5], 0x0
	s_waitcnt lgkmcnt(0)
	s_bitcmp0_b32 s2, 0
	s_mov_b32 s2, 0
	v_pk_mov_b32 v[2:3], s[0:1], s[0:1] op_sel:[0,1]
	v_pk_mov_b32 v[14:15], s[10:11], s[10:11] op_sel:[0,1]
	s_cbranch_scc1 .LBB48_2
; %bb.1:
	v_pk_mov_b32 v[2:3], s[0:1], s[0:1] op_sel:[0,1]
	flat_load_dwordx2 v[2:3], v[2:3]
	v_pk_mov_b32 v[4:5], s[10:11], s[10:11] op_sel:[0,1]
	flat_load_dwordx2 v[14:15], v[4:5]
	s_load_dwordx2 s[0:1], s[4:5], 0x18
	s_waitcnt lgkmcnt(0)
	v_mov_b32_e32 v1, s1
	s_waitcnt vmcnt(0)
	v_add_co_u32_e32 v2, vcc, s0, v2
	v_addc_co_u32_e32 v3, vcc, v3, v1, vcc
.LBB48_2:
	s_load_dword s0, s[4:5], 0x5c
	s_load_dword s18, s[4:5], 0x50
	s_waitcnt lgkmcnt(0)
	s_and_b32 s7, s0, 0xffff
	s_add_u32 s10, s8, -1
	s_mul_i32 s20, s18, s7
	s_addc_u32 s3, s9, -1
	s_lshl_b32 s21, s20, 1
	s_cmp_lg_u64 s[2:3], 0
	s_mov_b64 s[0:1], -1
	s_cbranch_scc0 .LBB48_31
; %bb.3:
	v_cvt_f32_u32_e32 v1, s21
	v_cvt_f32_ubyte0_e32 v4, 0
	s_sub_u32 s2, 0, s21
	s_subb_u32 s11, 0, 0
	v_madmk_f32 v1, v4, 0x4f800000, v1
	v_rcp_f32_e32 v1, v1
	v_mul_f32_e32 v1, 0x5f7ffffc, v1
	v_mul_f32_e32 v4, 0x2f800000, v1
	v_trunc_f32_e32 v4, v4
	v_madmk_f32 v1, v4, 0xcf800000, v1
	v_cvt_u32_f32_e32 v4, v4
	v_cvt_u32_f32_e32 v1, v1
	v_readfirstlane_b32 s12, v4
	v_readfirstlane_b32 s13, v1
	s_mul_i32 s14, s2, s12
	s_mul_hi_u32 s16, s2, s13
	s_mul_i32 s15, s11, s13
	s_add_i32 s14, s16, s14
	s_add_i32 s14, s14, s15
	s_mul_i32 s17, s2, s13
	s_mul_hi_u32 s15, s13, s14
	s_mul_i32 s16, s13, s14
	s_mul_hi_u32 s13, s13, s17
	s_add_u32 s13, s13, s16
	s_addc_u32 s15, 0, s15
	s_mul_hi_u32 s19, s12, s17
	s_mul_i32 s17, s12, s17
	s_add_u32 s13, s13, s17
	s_mul_hi_u32 s16, s12, s14
	s_addc_u32 s13, s15, s19
	s_addc_u32 s15, s16, 0
	s_mul_i32 s14, s12, s14
	s_add_u32 s13, s13, s14
	s_addc_u32 s14, 0, s15
	v_add_co_u32_e32 v1, vcc, s13, v1
	s_cmp_lg_u64 vcc, 0
	s_addc_u32 s12, s12, s14
	v_readfirstlane_b32 s14, v1
	s_mul_i32 s13, s2, s12
	s_mul_hi_u32 s15, s2, s14
	s_add_i32 s13, s15, s13
	s_mul_i32 s11, s11, s14
	s_add_i32 s13, s13, s11
	s_mul_i32 s2, s2, s14
	s_mul_hi_u32 s15, s12, s2
	s_mul_i32 s16, s12, s2
	s_mul_i32 s19, s14, s13
	s_mul_hi_u32 s2, s14, s2
	s_mul_hi_u32 s17, s14, s13
	s_add_u32 s2, s2, s19
	s_addc_u32 s14, 0, s17
	s_add_u32 s2, s2, s16
	s_mul_hi_u32 s11, s12, s13
	s_addc_u32 s2, s14, s15
	s_addc_u32 s11, s11, 0
	s_mul_i32 s13, s12, s13
	s_add_u32 s2, s2, s13
	s_addc_u32 s11, 0, s11
	v_add_co_u32_e32 v1, vcc, s2, v1
	s_cmp_lg_u64 vcc, 0
	s_addc_u32 s11, s12, s11
	s_ashr_i32 s12, s3, 31
	s_add_u32 s2, s10, s12
	s_mov_b32 s13, s12
	s_addc_u32 s3, s3, s12
	s_xor_b64 s[2:3], s[2:3], s[12:13]
	v_readfirstlane_b32 s16, v1
	s_mul_i32 s15, s2, s11
	s_mul_hi_u32 s17, s2, s16
	s_mul_hi_u32 s14, s2, s11
	s_add_u32 s15, s17, s15
	s_addc_u32 s14, 0, s14
	s_mul_hi_u32 s19, s3, s16
	s_mul_i32 s16, s3, s16
	s_add_u32 s15, s15, s16
	s_mul_hi_u32 s17, s3, s11
	s_addc_u32 s14, s14, s19
	s_addc_u32 s15, s17, 0
	s_mul_i32 s11, s3, s11
	s_add_u32 s11, s14, s11
	s_addc_u32 s14, 0, s15
	s_add_u32 s15, s11, 1
	s_addc_u32 s16, s14, 0
	s_add_u32 s17, s11, 2
	s_mul_i32 s22, s21, s14
	s_mul_hi_u32 s23, s21, s11
	s_addc_u32 s19, s14, 0
	s_add_i32 s23, s23, s22
	s_mul_i32 s22, s21, s11
	v_mov_b32_e32 v1, s22
	v_sub_co_u32_e32 v1, vcc, s2, v1
	s_cmp_lg_u64 vcc, 0
	s_subb_u32 s2, s3, s23
	v_subrev_co_u32_e32 v4, vcc, s21, v1
	s_cmp_lg_u64 vcc, 0
	s_subb_u32 s3, s2, 0
	v_readfirstlane_b32 s22, v4
	s_cmp_ge_u32 s22, s21
	s_cselect_b32 s22, -1, 0
	s_cmp_eq_u32 s3, 0
	s_cselect_b32 s3, s22, -1
	s_cmp_lg_u32 s3, 0
	s_cselect_b32 s3, s19, s16
	v_readfirstlane_b32 s16, v1
	s_cselect_b32 s15, s17, s15
	s_cmp_ge_u32 s16, s21
	s_cselect_b32 s16, -1, 0
	s_cmp_eq_u32 s2, 0
	s_cselect_b32 s2, s16, -1
	s_cmp_lg_u32 s2, 0
	s_cselect_b32 s3, s3, s14
	s_cselect_b32 s2, s15, s11
	s_xor_b64 s[2:3], s[2:3], s[12:13]
	s_sub_u32 s2, s2, s12
	s_subb_u32 s3, s3, s12
	s_cbranch_execnz .LBB48_5
.LBB48_4:
	v_cvt_f32_u32_e32 v1, s21
	s_sub_i32 s0, 0, s21
	s_mov_b32 s3, 0
	v_rcp_iflag_f32_e32 v1, v1
	v_mul_f32_e32 v1, 0x4f7ffffe, v1
	v_cvt_u32_f32_e32 v1, v1
	v_readfirstlane_b32 s1, v1
	s_mul_i32 s0, s0, s1
	s_mul_hi_u32 s0, s1, s0
	s_add_i32 s1, s1, s0
	s_mul_hi_u32 s0, s10, s1
	s_mul_i32 s2, s0, s21
	s_sub_i32 s2, s10, s2
	s_add_i32 s1, s0, 1
	s_sub_i32 s10, s2, s21
	s_cmp_ge_u32 s2, s21
	s_cselect_b32 s0, s1, s0
	s_cselect_b32 s2, s10, s2
	s_add_i32 s1, s0, 1
	s_cmp_ge_u32 s2, s21
	s_cselect_b32 s2, s1, s0
.LBB48_5:
	v_mov_b32_e32 v16, 0
	v_mov_b32_e32 v1, v16
	;; [unrolled: 1-line block ×3, first 2 shown]
	v_mad_u64_u32 v[18:19], s[0:1], s7, v4, v[0:1]
	s_add_u32 s0, s2, 1
	s_addc_u32 s1, s3, 0
	s_mul_hi_u32 s2, s18, s7
	s_mul_i32 s1, s20, s1
	s_mul_hi_u32 s3, s20, s0
	s_add_i32 s1, s3, s1
	s_mul_i32 s2, s2, s0
	s_add_i32 s1, s1, s2
	s_mul_i32 s0, s20, s0
	s_lshl_b64 s[10:11], s[0:1], 1
	v_cmp_gt_i64_e32 vcc, s[10:11], v[18:19]
	s_and_saveexec_b64 s[0:1], vcc
	s_cbranch_execz .LBB48_30
; %bb.6:
	v_mov_b32_e32 v4, v15
	s_mov_b32 s0, 0xdb3d7428
	v_add_co_u32_e32 v23, vcc, s0, v4
	s_mov_b32 s0, 0x5384540f
	v_add_co_u32_e32 v24, vcc, s0, v14
	;; [unrolled: 2-line block ×7, first 2 shown]
	s_mov_b32 s0, 0x9e3779b9
	v_alignbit_b32 v31, v3, v2, 2
	s_mov_b32 s23, 0xd2511f53
	v_add_co_u32_e32 v30, vcc, s0, v14
	v_mad_u64_u32 v[6:7], s[0:1], v31, s23, 0
	v_xor_b32_e32 v1, v7, v15
	v_xor_b32_e32 v1, v1, v19
	s_mov_b32 s24, 0xcd9e8d57
	v_mad_u64_u32 v[8:9], s[0:1], v1, s24, 0
	v_xor_b32_e32 v1, v30, v9
	v_mad_u64_u32 v[10:11], s[0:1], v18, s24, 0
	v_and_b32_e32 v20, 3, v2
	v_xor_b32_e32 v1, v1, v10
	v_xor_b32_e32 v2, v14, v11
	v_lshrrev_b32_e32 v32, 2, v3
	v_mad_u64_u32 v[12:13], s[0:1], v1, s23, 0
	v_xor_b32_e32 v2, v2, v32
	v_xor_b32_e32 v1, v29, v13
	v_mad_u64_u32 v[2:3], s[0:1], v2, s23, 0
	v_xor_b32_e32 v1, v1, v2
	v_mad_u64_u32 v[10:11], s[0:1], v1, s24, 0
	s_mov_b32 s0, 0xbb67ae85
	v_add_co_u32_e32 v33, vcc, s0, v4
	v_xor_b32_e32 v2, v33, v3
	v_xor_b32_e32 v2, v2, v6
	v_xor_b32_e32 v1, v28, v11
	v_mad_u64_u32 v[2:3], s[0:1], v2, s24, 0
	v_xor_b32_e32 v1, v1, v2
	v_mad_u64_u32 v[6:7], s[0:1], v1, s23, 0
	s_mov_b32 s0, 0x3c6ef372
	v_add_co_u32_e32 v34, vcc, s0, v14
	v_xor_b32_e32 v2, v34, v3
	;; [unrolled: 8-line block ×7, first 2 shown]
	v_xor_b32_e32 v1, v1, v12
	v_mad_u64_u32 v[2:3], s[0:1], v1, s24, 0
	s_mov_b32 s0, 0xf1bbcdc8
	v_add_u32_e32 v21, 0x8ff34781, v14
	v_xor_b32_e32 v1, v9, v2
	v_add_co_u32_e32 v40, vcc, s0, v14
	s_load_dwordx2 s[16:17], s[4:5], 0x30
	s_load_dword s2, s[4:5], 0x38
	s_load_dwordx4 s[12:15], s[4:5], 0x40
	v_xor_b32_e32 v2, v21, v1
	v_xor_b32_e32 v1, v40, v3
	;; [unrolled: 1-line block ×3, first 2 shown]
	v_mad_u64_u32 v[10:11], s[0:1], v1, s23, 0
	v_add_u32_e32 v22, 0x96a522ad, v15
	v_xor_b32_e32 v1, v11, v6
	s_mul_i32 s0, s6, s7
	v_xor_b32_e32 v4, v22, v1
	v_add_u32_e32 v1, s0, v0
	s_waitcnt lgkmcnt(0)
	s_mul_i32 s0, s18, s2
	s_mul_i32 s0, s0, s7
	s_lshl_b32 s25, s0, 1
	s_add_i32 s0, s6, s18
	s_mul_i32 s0, s0, s7
	s_mov_b32 s22, 0
	v_add_u32_e32 v0, s0, v0
	v_mov_b32_e32 v3, v8
	v_mov_b32_e32 v5, v10
	v_mul_lo_u32 v41, s2, v1
	v_mul_lo_u32 v42, s2, v0
	s_mov_b64 s[4:5], 0
	s_mov_b32 s26, s22
	v_mov_b32_e32 v43, v18
	v_mov_b32_e32 v44, v19
	s_branch .LBB48_9
.LBB48_7:                               ;   in Loop: Header=BB48_9 Depth=1
	s_or_b64 exec, exec, s[0:1]
	v_add_u32_e32 v1, s26, v42
	v_ashrrev_i32_e32 v3, 31, v1
	v_mov_b32_e32 v4, s17
	v_add_co_u32_e32 v2, vcc, s16, v1
	v_addc_co_u32_e32 v3, vcc, v4, v3, vcc
	v_mov_b32_e32 v1, s15
	v_add_co_u32_e32 v4, vcc, s14, v10
	v_addc_co_u32_e32 v5, vcc, v11, v1, vcc
	global_store_dwordx2 v[2:3], v[4:5], off
.LBB48_8:                               ;   in Loop: Header=BB48_9 Depth=1
	s_or_b64 exec, exec, s[6:7]
	v_add_co_u32_e32 v18, vcc, s21, v18
	v_addc_co_u32_e32 v19, vcc, 0, v19, vcc
	v_mov_b32_e32 v9, v0
	s_add_i32 s26, s26, s25
	v_cmp_le_i64_e32 vcc, s[10:11], v[18:19]
	v_pk_mov_b32 v[2:3], v[6:7], v[6:7] op_sel:[0,1]
	s_or_b64 s[4:5], vcc, s[4:5]
	v_pk_mov_b32 v[4:5], v[8:9], v[8:9] op_sel:[0,1]
	s_barrier
	s_andn2_b64 exec, exec, s[4:5]
	s_cbranch_execz .LBB48_30
.LBB48_9:                               ; =>This Inner Loop Header: Depth=1
	v_add_co_u32_e32 v31, vcc, 1, v31
	v_cndmask_b32_e64 v0, 0, 1, vcc
	v_addc_co_u32_e32 v32, vcc, 0, v32, vcc
	v_cmp_eq_u32_e32 vcc, 0, v32
	v_cndmask_b32_e32 v0, 0, v0, vcc
	v_add_u32_e32 v43, v0, v43
	v_cmp_eq_u32_e32 vcc, 0, v43
	v_cndmask_b32_e32 v0, 0, v0, vcc
	v_add_u32_e32 v44, v0, v44
	v_mad_u64_u32 v[0:1], s[0:1], v31, s23, 0
	v_mad_u64_u32 v[6:7], s[0:1], v43, s24, 0
	v_xor_b32_e32 v1, v1, v15
	v_xor_b32_e32 v7, v7, v14
	v_xor_b32_e32 v1, v44, v1
	v_xor_b32_e32 v7, v32, v7
	v_mad_u64_u32 v[10:11], s[0:1], v1, s24, 0
	v_mad_u64_u32 v[8:9], s[0:1], v7, s23, 0
	v_xor_b32_e32 v1, v30, v11
	v_xor_b32_e32 v1, v1, v6
	v_xor_b32_e32 v6, v33, v9
	v_xor_b32_e32 v6, v6, v0
	;; [unrolled: 6-line block ×10, first 2 shown]
	v_mov_b32_e32 v7, v12
	v_mov_b32_e32 v8, v13
	v_cmp_lt_i32_e32 vcc, 1, v20
	s_and_saveexec_b64 s[0:1], vcc
	s_xor_b64 s[0:1], exec, s[0:1]
	s_cbranch_execnz .LBB48_12
; %bb.10:                               ;   in Loop: Header=BB48_9 Depth=1
	s_andn2_saveexec_b64 s[0:1], s[0:1]
	s_cbranch_execnz .LBB48_17
.LBB48_11:                              ;   in Loop: Header=BB48_9 Depth=1
	s_or_b64 exec, exec, s[0:1]
	v_cmp_gt_i64_e32 vcc, s[8:9], v[18:19]
	s_and_saveexec_b64 s[6:7], vcc
	s_cbranch_execnz .LBB48_20
	s_branch .LBB48_25
.LBB48_12:                              ;   in Loop: Header=BB48_9 Depth=1
	v_cmp_lt_i32_e32 vcc, 2, v20
	s_and_saveexec_b64 s[2:3], vcc
	s_xor_b64 s[2:3], exec, s[2:3]
; %bb.13:                               ;   in Loop: Header=BB48_9 Depth=1
	v_mov_b32_e32 v10, v5
	v_mov_b32_e32 v11, v6
	v_pk_mov_b32 v[2:3], v[10:11], v[10:11] op_sel:[0,1]
	v_pk_mov_b32 v[4:5], v[12:13], v[12:13] op_sel:[0,1]
                                        ; implicit-def: $vgpr12_vgpr13
; %bb.14:                               ;   in Loop: Header=BB48_9 Depth=1
	s_andn2_saveexec_b64 s[2:3], s[2:3]
; %bb.15:                               ;   in Loop: Header=BB48_9 Depth=1
	v_mov_b32_e32 v2, v4
	v_mov_b32_e32 v3, v5
	;; [unrolled: 1-line block ×4, first 2 shown]
; %bb.16:                               ;   in Loop: Header=BB48_9 Depth=1
	s_or_b64 exec, exec, s[2:3]
	s_andn2_saveexec_b64 s[0:1], s[0:1]
	s_cbranch_execz .LBB48_11
.LBB48_17:                              ;   in Loop: Header=BB48_9 Depth=1
	v_cmp_eq_u32_e32 vcc, 1, v20
	s_and_saveexec_b64 s[2:3], vcc
; %bb.18:                               ;   in Loop: Header=BB48_9 Depth=1
	v_mov_b32_e32 v2, v3
	v_mov_b32_e32 v3, v4
	;; [unrolled: 1-line block ×4, first 2 shown]
; %bb.19:                               ;   in Loop: Header=BB48_9 Depth=1
	s_or_b64 exec, exec, s[2:3]
	s_or_b64 exec, exec, s[0:1]
	v_cmp_gt_i64_e32 vcc, s[8:9], v[18:19]
	s_and_saveexec_b64 s[6:7], vcc
	s_cbranch_execz .LBB48_25
.LBB48_20:                              ;   in Loop: Header=BB48_9 Depth=1
	v_or_b32_e32 v17, s13, v2
	v_cmp_ne_u64_e32 vcc, 0, v[16:17]
                                        ; implicit-def: $vgpr10_vgpr11
	s_and_saveexec_b64 s[0:1], vcc
	s_xor_b64 s[18:19], exec, s[0:1]
	s_cbranch_execz .LBB48_22
; %bb.21:                               ;   in Loop: Header=BB48_9 Depth=1
	v_cvt_f32_u32_e32 v1, s12
	v_cvt_f32_u32_e32 v9, s13
	s_sub_u32 s0, 0, s12
	s_subb_u32 s1, 0, s13
	v_mac_f32_e32 v1, 0x4f800000, v9
	v_rcp_f32_e32 v1, v1
	v_mul_f32_e32 v1, 0x5f7ffffc, v1
	v_mul_f32_e32 v9, 0x2f800000, v1
	v_trunc_f32_e32 v9, v9
	v_mac_f32_e32 v1, 0xcf800000, v9
	v_cvt_u32_f32_e32 v9, v9
	v_cvt_u32_f32_e32 v1, v1
	v_mul_lo_u32 v10, s0, v9
	v_mul_hi_u32 v12, s0, v1
	v_mul_lo_u32 v11, s1, v1
	v_add_u32_e32 v10, v12, v10
	v_mul_lo_u32 v13, s0, v1
	v_add_u32_e32 v10, v10, v11
	v_mul_hi_u32 v12, v1, v13
	v_mul_lo_u32 v17, v1, v10
	v_mul_hi_u32 v11, v1, v10
	v_add_co_u32_e32 v12, vcc, v12, v17
	v_addc_co_u32_e32 v11, vcc, 0, v11, vcc
	v_mul_hi_u32 v45, v9, v13
	v_mul_lo_u32 v13, v9, v13
	v_add_co_u32_e32 v12, vcc, v12, v13
	v_mul_hi_u32 v17, v9, v10
	v_addc_co_u32_e32 v11, vcc, v11, v45, vcc
	v_addc_co_u32_e32 v12, vcc, 0, v17, vcc
	v_mul_lo_u32 v10, v9, v10
	v_add_co_u32_e32 v10, vcc, v11, v10
	v_addc_co_u32_e32 v11, vcc, 0, v12, vcc
	v_add_co_u32_e32 v1, vcc, v1, v10
	v_addc_co_u32_e32 v9, vcc, v9, v11, vcc
	v_mul_lo_u32 v10, s0, v9
	v_mul_hi_u32 v11, s0, v1
	v_add_u32_e32 v10, v11, v10
	v_mul_lo_u32 v11, s1, v1
	v_add_u32_e32 v10, v10, v11
	v_mul_lo_u32 v12, s0, v1
	v_mul_hi_u32 v13, v9, v12
	v_mul_lo_u32 v17, v9, v12
	v_mul_lo_u32 v46, v1, v10
	v_mul_hi_u32 v12, v1, v12
	v_mul_hi_u32 v45, v1, v10
	v_add_co_u32_e32 v12, vcc, v12, v46
	v_addc_co_u32_e32 v45, vcc, 0, v45, vcc
	v_add_co_u32_e32 v12, vcc, v12, v17
	v_mul_hi_u32 v11, v9, v10
	v_addc_co_u32_e32 v12, vcc, v45, v13, vcc
	v_addc_co_u32_e32 v11, vcc, 0, v11, vcc
	v_mul_lo_u32 v10, v9, v10
	v_add_co_u32_e32 v10, vcc, v12, v10
	v_addc_co_u32_e32 v11, vcc, 0, v11, vcc
	v_add_co_u32_e32 v1, vcc, v1, v10
	v_addc_co_u32_e32 v9, vcc, v9, v11, vcc
	v_mad_u64_u32 v[10:11], s[0:1], v3, v9, 0
	v_mul_hi_u32 v12, v3, v1
	v_add_co_u32_e32 v17, vcc, v12, v10
	v_addc_co_u32_e32 v45, vcc, 0, v11, vcc
	v_mad_u64_u32 v[12:13], s[0:1], v2, v1, 0
	v_add_co_u32_e32 v1, vcc, v17, v12
	v_mad_u64_u32 v[10:11], s[0:1], v2, v9, 0
	v_addc_co_u32_e32 v1, vcc, v45, v13, vcc
	v_addc_co_u32_e32 v9, vcc, 0, v11, vcc
	v_add_co_u32_e32 v1, vcc, v1, v10
	v_addc_co_u32_e32 v9, vcc, 0, v9, vcc
	v_mul_lo_u32 v12, s13, v1
	v_mul_lo_u32 v9, s12, v9
	v_mad_u64_u32 v[10:11], s[0:1], s12, v1, 0
	v_add3_u32 v1, v11, v9, v12
	v_sub_u32_e32 v9, v2, v1
	v_mov_b32_e32 v11, s13
	v_sub_co_u32_e32 v10, vcc, v3, v10
	v_subb_co_u32_e64 v9, s[0:1], v9, v11, vcc
	v_subrev_co_u32_e64 v12, s[0:1], s12, v10
	v_subbrev_co_u32_e64 v13, s[2:3], 0, v9, s[0:1]
	v_cmp_le_u32_e64 s[2:3], s13, v13
	v_cndmask_b32_e64 v17, 0, -1, s[2:3]
	v_cmp_le_u32_e64 s[2:3], s12, v12
	v_subb_co_u32_e32 v1, vcc, v2, v1, vcc
	v_cndmask_b32_e64 v45, 0, -1, s[2:3]
	v_cmp_eq_u32_e64 s[2:3], s13, v13
	v_subb_co_u32_e64 v9, s[0:1], v9, v11, s[0:1]
	v_cmp_le_u32_e32 vcc, s13, v1
	v_cndmask_b32_e64 v17, v17, v45, s[2:3]
	v_subrev_co_u32_e64 v45, s[0:1], s12, v12
	v_cndmask_b32_e64 v2, 0, -1, vcc
	v_cmp_le_u32_e32 vcc, s12, v10
	v_subbrev_co_u32_e64 v9, s[0:1], 0, v9, s[0:1]
	v_cndmask_b32_e64 v11, 0, -1, vcc
	v_cmp_eq_u32_e32 vcc, s13, v1
	v_cmp_ne_u32_e64 s[0:1], 0, v17
	v_cndmask_b32_e32 v2, v2, v11, vcc
	v_cndmask_b32_e64 v9, v13, v9, s[0:1]
	v_cmp_ne_u32_e32 vcc, 0, v2
	v_cndmask_b32_e32 v11, v1, v9, vcc
	v_cndmask_b32_e64 v1, v12, v45, s[0:1]
	v_cndmask_b32_e32 v10, v10, v1, vcc
.LBB48_22:                              ;   in Loop: Header=BB48_9 Depth=1
	s_andn2_saveexec_b64 s[0:1], s[18:19]
	s_cbranch_execz .LBB48_24
; %bb.23:                               ;   in Loop: Header=BB48_9 Depth=1
	v_cvt_f32_u32_e32 v1, s12
	s_sub_i32 s2, 0, s12
	v_mov_b32_e32 v11, v16
	v_rcp_iflag_f32_e32 v1, v1
	v_mul_f32_e32 v1, 0x4f7ffffe, v1
	v_cvt_u32_f32_e32 v1, v1
	v_mul_lo_u32 v2, s2, v1
	v_mul_hi_u32 v2, v1, v2
	v_add_u32_e32 v1, v1, v2
	v_mul_hi_u32 v1, v3, v1
	v_mul_lo_u32 v1, v1, s12
	v_sub_u32_e32 v1, v3, v1
	v_subrev_u32_e32 v2, s12, v1
	v_cmp_le_u32_e32 vcc, s12, v1
	v_cndmask_b32_e32 v1, v1, v2, vcc
	v_subrev_u32_e32 v2, s12, v1
	v_cmp_le_u32_e32 vcc, s12, v1
	v_cndmask_b32_e32 v10, v1, v2, vcc
.LBB48_24:                              ;   in Loop: Header=BB48_9 Depth=1
	s_or_b64 exec, exec, s[0:1]
	v_add_u32_e32 v1, s26, v41
	v_ashrrev_i32_e32 v3, 31, v1
	v_mov_b32_e32 v9, s17
	v_add_co_u32_e32 v2, vcc, s16, v1
	v_addc_co_u32_e32 v3, vcc, v9, v3, vcc
	v_mov_b32_e32 v1, s15
	v_add_co_u32_e32 v10, vcc, s14, v10
	v_addc_co_u32_e32 v11, vcc, v11, v1, vcc
	global_store_dwordx2 v[2:3], v[10:11], off
.LBB48_25:                              ;   in Loop: Header=BB48_9 Depth=1
	s_or_b64 exec, exec, s[6:7]
	v_mov_b32_e32 v1, s22
	v_add_co_u32_e32 v2, vcc, s20, v18
	v_addc_co_u32_e32 v3, vcc, v1, v19, vcc
	v_cmp_gt_i64_e32 vcc, s[8:9], v[2:3]
	s_and_saveexec_b64 s[6:7], vcc
	s_cbranch_execz .LBB48_8
; %bb.26:                               ;   in Loop: Header=BB48_9 Depth=1
	v_or_b32_e32 v17, s13, v4
	v_cmp_ne_u64_e32 vcc, 0, v[16:17]
                                        ; implicit-def: $vgpr10_vgpr11
	s_and_saveexec_b64 s[0:1], vcc
	s_xor_b64 s[18:19], exec, s[0:1]
	s_cbranch_execz .LBB48_28
; %bb.27:                               ;   in Loop: Header=BB48_9 Depth=1
	v_cvt_f32_u32_e32 v1, s12
	v_cvt_f32_u32_e32 v2, s13
	s_sub_u32 s0, 0, s12
	s_subb_u32 s1, 0, s13
	v_mac_f32_e32 v1, 0x4f800000, v2
	v_rcp_f32_e32 v1, v1
	v_mul_f32_e32 v1, 0x5f7ffffc, v1
	v_mul_f32_e32 v2, 0x2f800000, v1
	v_trunc_f32_e32 v2, v2
	v_mac_f32_e32 v1, 0xcf800000, v2
	v_cvt_u32_f32_e32 v2, v2
	v_cvt_u32_f32_e32 v1, v1
	v_mul_lo_u32 v3, s0, v2
	v_mul_hi_u32 v10, s0, v1
	v_mul_lo_u32 v9, s1, v1
	v_add_u32_e32 v3, v10, v3
	v_mul_lo_u32 v11, s0, v1
	v_add_u32_e32 v3, v3, v9
	v_mul_hi_u32 v10, v1, v11
	v_mul_lo_u32 v12, v1, v3
	v_mul_hi_u32 v9, v1, v3
	v_add_co_u32_e32 v10, vcc, v10, v12
	v_addc_co_u32_e32 v9, vcc, 0, v9, vcc
	v_mul_hi_u32 v13, v2, v11
	v_mul_lo_u32 v11, v2, v11
	v_add_co_u32_e32 v10, vcc, v10, v11
	v_mul_hi_u32 v12, v2, v3
	v_addc_co_u32_e32 v9, vcc, v9, v13, vcc
	v_addc_co_u32_e32 v10, vcc, 0, v12, vcc
	v_mul_lo_u32 v3, v2, v3
	v_add_co_u32_e32 v3, vcc, v9, v3
	v_addc_co_u32_e32 v9, vcc, 0, v10, vcc
	v_add_co_u32_e32 v1, vcc, v1, v3
	v_addc_co_u32_e32 v2, vcc, v2, v9, vcc
	v_mul_lo_u32 v3, s0, v2
	v_mul_hi_u32 v9, s0, v1
	v_add_u32_e32 v3, v9, v3
	v_mul_lo_u32 v9, s1, v1
	v_add_u32_e32 v3, v3, v9
	v_mul_lo_u32 v10, s0, v1
	v_mul_hi_u32 v11, v2, v10
	v_mul_lo_u32 v12, v2, v10
	v_mul_lo_u32 v17, v1, v3
	v_mul_hi_u32 v10, v1, v10
	v_mul_hi_u32 v13, v1, v3
	v_add_co_u32_e32 v10, vcc, v10, v17
	v_addc_co_u32_e32 v13, vcc, 0, v13, vcc
	v_add_co_u32_e32 v10, vcc, v10, v12
	v_mul_hi_u32 v9, v2, v3
	v_addc_co_u32_e32 v10, vcc, v13, v11, vcc
	v_addc_co_u32_e32 v9, vcc, 0, v9, vcc
	v_mul_lo_u32 v3, v2, v3
	v_add_co_u32_e32 v3, vcc, v10, v3
	v_addc_co_u32_e32 v9, vcc, 0, v9, vcc
	v_add_co_u32_e32 v1, vcc, v1, v3
	v_addc_co_u32_e32 v9, vcc, v2, v9, vcc
	v_mad_u64_u32 v[2:3], s[0:1], v5, v9, 0
	v_mul_hi_u32 v10, v5, v1
	v_add_co_u32_e32 v12, vcc, v10, v2
	v_addc_co_u32_e32 v13, vcc, 0, v3, vcc
	v_mad_u64_u32 v[10:11], s[0:1], v4, v1, 0
	v_add_co_u32_e32 v1, vcc, v12, v10
	v_mad_u64_u32 v[2:3], s[0:1], v4, v9, 0
	v_addc_co_u32_e32 v1, vcc, v13, v11, vcc
	v_addc_co_u32_e32 v3, vcc, 0, v3, vcc
	v_add_co_u32_e32 v1, vcc, v1, v2
	v_addc_co_u32_e32 v2, vcc, 0, v3, vcc
	v_mul_lo_u32 v9, s13, v1
	v_mul_lo_u32 v10, s12, v2
	v_mad_u64_u32 v[2:3], s[0:1], s12, v1, 0
	v_add3_u32 v1, v3, v10, v9
	v_sub_u32_e32 v3, v4, v1
	v_mov_b32_e32 v9, s13
	v_sub_co_u32_e32 v2, vcc, v5, v2
	v_subb_co_u32_e64 v3, s[0:1], v3, v9, vcc
	v_subrev_co_u32_e64 v5, s[0:1], s12, v2
	v_subbrev_co_u32_e64 v10, s[2:3], 0, v3, s[0:1]
	v_cmp_le_u32_e64 s[2:3], s13, v10
	v_cndmask_b32_e64 v11, 0, -1, s[2:3]
	v_cmp_le_u32_e64 s[2:3], s12, v5
	v_subb_co_u32_e64 v3, s[0:1], v3, v9, s[0:1]
	v_cndmask_b32_e64 v12, 0, -1, s[2:3]
	v_cmp_eq_u32_e64 s[2:3], s13, v10
	v_subrev_co_u32_e64 v9, s[0:1], s12, v5
	v_subb_co_u32_e32 v1, vcc, v4, v1, vcc
	v_cndmask_b32_e64 v11, v11, v12, s[2:3]
	v_subbrev_co_u32_e64 v3, s[0:1], 0, v3, s[0:1]
	v_cmp_le_u32_e32 vcc, s13, v1
	v_cmp_ne_u32_e64 s[0:1], 0, v11
	v_cndmask_b32_e64 v4, 0, -1, vcc
	v_cmp_le_u32_e32 vcc, s12, v2
	v_cndmask_b32_e64 v3, v10, v3, s[0:1]
	v_cndmask_b32_e64 v10, 0, -1, vcc
	v_cmp_eq_u32_e32 vcc, s13, v1
	v_cndmask_b32_e32 v4, v4, v10, vcc
	v_cmp_ne_u32_e32 vcc, 0, v4
	v_cndmask_b32_e32 v11, v1, v3, vcc
	v_cndmask_b32_e64 v1, v5, v9, s[0:1]
	v_cndmask_b32_e32 v10, v2, v1, vcc
                                        ; implicit-def: $vgpr2_vgpr3_vgpr4_vgpr5
.LBB48_28:                              ;   in Loop: Header=BB48_9 Depth=1
	s_andn2_saveexec_b64 s[0:1], s[18:19]
	s_cbranch_execz .LBB48_7
; %bb.29:                               ;   in Loop: Header=BB48_9 Depth=1
	v_cvt_f32_u32_e32 v1, s12
	s_sub_i32 s2, 0, s12
	v_mov_b32_e32 v11, v16
	v_rcp_iflag_f32_e32 v1, v1
	v_mul_f32_e32 v1, 0x4f7ffffe, v1
	v_cvt_u32_f32_e32 v1, v1
	v_mul_lo_u32 v2, s2, v1
	v_mul_hi_u32 v2, v1, v2
	v_add_u32_e32 v1, v1, v2
	v_mul_hi_u32 v1, v5, v1
	v_mul_lo_u32 v1, v1, s12
	v_sub_u32_e32 v1, v5, v1
	v_subrev_u32_e32 v2, s12, v1
	v_cmp_le_u32_e32 vcc, s12, v1
	v_cndmask_b32_e32 v1, v1, v2, vcc
	v_subrev_u32_e32 v2, s12, v1
	v_cmp_le_u32_e32 vcc, s12, v1
	v_cndmask_b32_e32 v10, v1, v2, vcc
	s_branch .LBB48_7
.LBB48_30:
	s_endpgm
.LBB48_31:
                                        ; implicit-def: $sgpr2_sgpr3
	s_andn2_b64 vcc, exec, s[0:1]
	s_cbranch_vccz .LBB48_4
	s_branch .LBB48_5
	.section	.rodata,"a",@progbits
	.p2align	6, 0x0
	.amdhsa_kernel _ZN2at6native12_GLOBAL__N_143distribution_elementwise_grid_stride_kernelImLi2EZZZNS0_9templates4cuda21random_from_to_kernelIPNS_17CUDAGeneratorImplEEEvRNS_18TensorIteratorBaseEmlT_ENKUlvE_clEvENKUlvE11_clEvEUlP25hiprandStatePhilox4_32_10E_ZNS1_27distribution_nullary_kernelImm15HIP_vector_typeIyLj2EES7_SF_ZZZNS5_IS7_EEvS9_mlSA_ENKSB_clEvENKSC_clEvEUlmE_EEvS9_T2_RKT3_T4_EUlimE_EEvlNS_15PhiloxCudaStateET1_SK_
		.amdhsa_group_segment_fixed_size 0
		.amdhsa_private_segment_fixed_size 0
		.amdhsa_kernarg_size 336
		.amdhsa_user_sgpr_count 6
		.amdhsa_user_sgpr_private_segment_buffer 1
		.amdhsa_user_sgpr_dispatch_ptr 0
		.amdhsa_user_sgpr_queue_ptr 0
		.amdhsa_user_sgpr_kernarg_segment_ptr 1
		.amdhsa_user_sgpr_dispatch_id 0
		.amdhsa_user_sgpr_flat_scratch_init 0
		.amdhsa_user_sgpr_kernarg_preload_length 0
		.amdhsa_user_sgpr_kernarg_preload_offset 0
		.amdhsa_user_sgpr_private_segment_size 0
		.amdhsa_uses_dynamic_stack 0
		.amdhsa_system_sgpr_private_segment_wavefront_offset 0
		.amdhsa_system_sgpr_workgroup_id_x 1
		.amdhsa_system_sgpr_workgroup_id_y 0
		.amdhsa_system_sgpr_workgroup_id_z 0
		.amdhsa_system_sgpr_workgroup_info 0
		.amdhsa_system_vgpr_workitem_id 0
		.amdhsa_next_free_vgpr 48
		.amdhsa_next_free_sgpr 27
		.amdhsa_accum_offset 48
		.amdhsa_reserve_vcc 1
		.amdhsa_reserve_flat_scratch 0
		.amdhsa_float_round_mode_32 0
		.amdhsa_float_round_mode_16_64 0
		.amdhsa_float_denorm_mode_32 3
		.amdhsa_float_denorm_mode_16_64 3
		.amdhsa_dx10_clamp 1
		.amdhsa_ieee_mode 1
		.amdhsa_fp16_overflow 0
		.amdhsa_tg_split 0
		.amdhsa_exception_fp_ieee_invalid_op 0
		.amdhsa_exception_fp_denorm_src 0
		.amdhsa_exception_fp_ieee_div_zero 0
		.amdhsa_exception_fp_ieee_overflow 0
		.amdhsa_exception_fp_ieee_underflow 0
		.amdhsa_exception_fp_ieee_inexact 0
		.amdhsa_exception_int_div_zero 0
	.end_amdhsa_kernel
	.section	.text._ZN2at6native12_GLOBAL__N_143distribution_elementwise_grid_stride_kernelImLi2EZZZNS0_9templates4cuda21random_from_to_kernelIPNS_17CUDAGeneratorImplEEEvRNS_18TensorIteratorBaseEmlT_ENKUlvE_clEvENKUlvE11_clEvEUlP25hiprandStatePhilox4_32_10E_ZNS1_27distribution_nullary_kernelImm15HIP_vector_typeIyLj2EES7_SF_ZZZNS5_IS7_EEvS9_mlSA_ENKSB_clEvENKSC_clEvEUlmE_EEvS9_T2_RKT3_T4_EUlimE_EEvlNS_15PhiloxCudaStateET1_SK_,"axG",@progbits,_ZN2at6native12_GLOBAL__N_143distribution_elementwise_grid_stride_kernelImLi2EZZZNS0_9templates4cuda21random_from_to_kernelIPNS_17CUDAGeneratorImplEEEvRNS_18TensorIteratorBaseEmlT_ENKUlvE_clEvENKUlvE11_clEvEUlP25hiprandStatePhilox4_32_10E_ZNS1_27distribution_nullary_kernelImm15HIP_vector_typeIyLj2EES7_SF_ZZZNS5_IS7_EEvS9_mlSA_ENKSB_clEvENKSC_clEvEUlmE_EEvS9_T2_RKT3_T4_EUlimE_EEvlNS_15PhiloxCudaStateET1_SK_,comdat
.Lfunc_end48:
	.size	_ZN2at6native12_GLOBAL__N_143distribution_elementwise_grid_stride_kernelImLi2EZZZNS0_9templates4cuda21random_from_to_kernelIPNS_17CUDAGeneratorImplEEEvRNS_18TensorIteratorBaseEmlT_ENKUlvE_clEvENKUlvE11_clEvEUlP25hiprandStatePhilox4_32_10E_ZNS1_27distribution_nullary_kernelImm15HIP_vector_typeIyLj2EES7_SF_ZZZNS5_IS7_EEvS9_mlSA_ENKSB_clEvENKSC_clEvEUlmE_EEvS9_T2_RKT3_T4_EUlimE_EEvlNS_15PhiloxCudaStateET1_SK_, .Lfunc_end48-_ZN2at6native12_GLOBAL__N_143distribution_elementwise_grid_stride_kernelImLi2EZZZNS0_9templates4cuda21random_from_to_kernelIPNS_17CUDAGeneratorImplEEEvRNS_18TensorIteratorBaseEmlT_ENKUlvE_clEvENKUlvE11_clEvEUlP25hiprandStatePhilox4_32_10E_ZNS1_27distribution_nullary_kernelImm15HIP_vector_typeIyLj2EES7_SF_ZZZNS5_IS7_EEvS9_mlSA_ENKSB_clEvENKSC_clEvEUlmE_EEvS9_T2_RKT3_T4_EUlimE_EEvlNS_15PhiloxCudaStateET1_SK_
                                        ; -- End function
	.section	.AMDGPU.csdata,"",@progbits
; Kernel info:
; codeLenInByte = 3648
; NumSgprs: 31
; NumVgprs: 48
; NumAgprs: 0
; TotalNumVgprs: 48
; ScratchSize: 0
; MemoryBound: 0
; FloatMode: 240
; IeeeMode: 1
; LDSByteSize: 0 bytes/workgroup (compile time only)
; SGPRBlocks: 3
; VGPRBlocks: 5
; NumSGPRsForWavesPerEU: 31
; NumVGPRsForWavesPerEU: 48
; AccumOffset: 48
; Occupancy: 8
; WaveLimiterHint : 0
; COMPUTE_PGM_RSRC2:SCRATCH_EN: 0
; COMPUTE_PGM_RSRC2:USER_SGPR: 6
; COMPUTE_PGM_RSRC2:TRAP_HANDLER: 0
; COMPUTE_PGM_RSRC2:TGID_X_EN: 1
; COMPUTE_PGM_RSRC2:TGID_Y_EN: 0
; COMPUTE_PGM_RSRC2:TGID_Z_EN: 0
; COMPUTE_PGM_RSRC2:TIDIG_COMP_CNT: 0
; COMPUTE_PGM_RSRC3_GFX90A:ACCUM_OFFSET: 11
; COMPUTE_PGM_RSRC3_GFX90A:TG_SPLIT: 0
	.section	.text._ZN2at6native12_GLOBAL__N_143distribution_elementwise_grid_stride_kernelImLi2EZZZNS0_9templates4cuda21random_from_to_kernelIPNS_17CUDAGeneratorImplEEEvRNS_18TensorIteratorBaseEmlT_ENKUlvE_clEvENKUlvE11_clEvEUlP25hiprandStatePhilox4_32_10E_ZNS1_27distribution_nullary_kernelImm15HIP_vector_typeIyLj2EES7_SF_ZZZNS5_IS7_EEvS9_mlSA_ENKSB_clEvENKSC_clEvEUlmE_EEvS9_T2_RKT3_T4_EUlimE0_EEvlNS_15PhiloxCudaStateET1_SK_,"axG",@progbits,_ZN2at6native12_GLOBAL__N_143distribution_elementwise_grid_stride_kernelImLi2EZZZNS0_9templates4cuda21random_from_to_kernelIPNS_17CUDAGeneratorImplEEEvRNS_18TensorIteratorBaseEmlT_ENKUlvE_clEvENKUlvE11_clEvEUlP25hiprandStatePhilox4_32_10E_ZNS1_27distribution_nullary_kernelImm15HIP_vector_typeIyLj2EES7_SF_ZZZNS5_IS7_EEvS9_mlSA_ENKSB_clEvENKSC_clEvEUlmE_EEvS9_T2_RKT3_T4_EUlimE0_EEvlNS_15PhiloxCudaStateET1_SK_,comdat
	.globl	_ZN2at6native12_GLOBAL__N_143distribution_elementwise_grid_stride_kernelImLi2EZZZNS0_9templates4cuda21random_from_to_kernelIPNS_17CUDAGeneratorImplEEEvRNS_18TensorIteratorBaseEmlT_ENKUlvE_clEvENKUlvE11_clEvEUlP25hiprandStatePhilox4_32_10E_ZNS1_27distribution_nullary_kernelImm15HIP_vector_typeIyLj2EES7_SF_ZZZNS5_IS7_EEvS9_mlSA_ENKSB_clEvENKSC_clEvEUlmE_EEvS9_T2_RKT3_T4_EUlimE0_EEvlNS_15PhiloxCudaStateET1_SK_ ; -- Begin function _ZN2at6native12_GLOBAL__N_143distribution_elementwise_grid_stride_kernelImLi2EZZZNS0_9templates4cuda21random_from_to_kernelIPNS_17CUDAGeneratorImplEEEvRNS_18TensorIteratorBaseEmlT_ENKUlvE_clEvENKUlvE11_clEvEUlP25hiprandStatePhilox4_32_10E_ZNS1_27distribution_nullary_kernelImm15HIP_vector_typeIyLj2EES7_SF_ZZZNS5_IS7_EEvS9_mlSA_ENKSB_clEvENKSC_clEvEUlmE_EEvS9_T2_RKT3_T4_EUlimE0_EEvlNS_15PhiloxCudaStateET1_SK_
	.p2align	8
	.type	_ZN2at6native12_GLOBAL__N_143distribution_elementwise_grid_stride_kernelImLi2EZZZNS0_9templates4cuda21random_from_to_kernelIPNS_17CUDAGeneratorImplEEEvRNS_18TensorIteratorBaseEmlT_ENKUlvE_clEvENKUlvE11_clEvEUlP25hiprandStatePhilox4_32_10E_ZNS1_27distribution_nullary_kernelImm15HIP_vector_typeIyLj2EES7_SF_ZZZNS5_IS7_EEvS9_mlSA_ENKSB_clEvENKSC_clEvEUlmE_EEvS9_T2_RKT3_T4_EUlimE0_EEvlNS_15PhiloxCudaStateET1_SK_,@function
_ZN2at6native12_GLOBAL__N_143distribution_elementwise_grid_stride_kernelImLi2EZZZNS0_9templates4cuda21random_from_to_kernelIPNS_17CUDAGeneratorImplEEEvRNS_18TensorIteratorBaseEmlT_ENKUlvE_clEvENKUlvE11_clEvEUlP25hiprandStatePhilox4_32_10E_ZNS1_27distribution_nullary_kernelImm15HIP_vector_typeIyLj2EES7_SF_ZZZNS5_IS7_EEvS9_mlSA_ENKSB_clEvENKSC_clEvEUlmE_EEvS9_T2_RKT3_T4_EUlimE0_EEvlNS_15PhiloxCudaStateET1_SK_: ; @_ZN2at6native12_GLOBAL__N_143distribution_elementwise_grid_stride_kernelImLi2EZZZNS0_9templates4cuda21random_from_to_kernelIPNS_17CUDAGeneratorImplEEEvRNS_18TensorIteratorBaseEmlT_ENKUlvE_clEvENKUlvE11_clEvEUlP25hiprandStatePhilox4_32_10E_ZNS1_27distribution_nullary_kernelImm15HIP_vector_typeIyLj2EES7_SF_ZZZNS5_IS7_EEvS9_mlSA_ENKSB_clEvENKSC_clEvEUlmE_EEvS9_T2_RKT3_T4_EUlimE0_EEvlNS_15PhiloxCudaStateET1_SK_
; %bb.0:
	s_load_dword s2, s[4:5], 0x20
	s_load_dwordx2 s[0:1], s[4:5], 0x10
	s_load_dwordx4 s[24:27], s[4:5], 0x0
	s_waitcnt lgkmcnt(0)
	s_bitcmp0_b32 s2, 0
	s_mov_b32 s2, 0
	v_pk_mov_b32 v[2:3], s[0:1], s[0:1] op_sel:[0,1]
	v_pk_mov_b32 v[12:13], s[26:27], s[26:27] op_sel:[0,1]
	s_cbranch_scc1 .LBB49_2
; %bb.1:
	v_pk_mov_b32 v[2:3], s[0:1], s[0:1] op_sel:[0,1]
	flat_load_dwordx2 v[2:3], v[2:3]
	v_pk_mov_b32 v[4:5], s[26:27], s[26:27] op_sel:[0,1]
	flat_load_dwordx2 v[12:13], v[4:5]
	s_load_dwordx2 s[0:1], s[4:5], 0x18
	s_waitcnt lgkmcnt(0)
	v_mov_b32_e32 v1, s1
	s_waitcnt vmcnt(0)
	v_add_co_u32_e32 v2, vcc, s0, v2
	v_addc_co_u32_e32 v3, vcc, v3, v1, vcc
.LBB49_2:
	s_load_dword s0, s[4:5], 0x15c
	s_load_dword s7, s[4:5], 0x150
	s_waitcnt lgkmcnt(0)
	s_and_b32 s8, s0, 0xffff
	s_add_u32 s9, s24, -1
	s_mul_i32 s33, s7, s8
	s_addc_u32 s3, s25, -1
	s_lshl_b32 s62, s33, 1
	s_cmp_lg_u64 s[2:3], 0
	s_mov_b64 s[0:1], -1
	s_cbranch_scc0 .LBB49_59
; %bb.3:
	v_cvt_f32_u32_e32 v1, s62
	v_cvt_f32_ubyte0_e32 v4, 0
	s_sub_u32 s2, 0, s62
	s_subb_u32 s10, 0, 0
	v_madmk_f32 v1, v4, 0x4f800000, v1
	v_rcp_f32_e32 v1, v1
	v_mul_f32_e32 v1, 0x5f7ffffc, v1
	v_mul_f32_e32 v4, 0x2f800000, v1
	v_trunc_f32_e32 v4, v4
	v_madmk_f32 v1, v4, 0xcf800000, v1
	v_cvt_u32_f32_e32 v4, v4
	v_cvt_u32_f32_e32 v1, v1
	v_readfirstlane_b32 s11, v4
	v_readfirstlane_b32 s12, v1
	s_mul_i32 s13, s2, s11
	s_mul_hi_u32 s15, s2, s12
	s_mul_i32 s14, s10, s12
	s_add_i32 s13, s15, s13
	s_add_i32 s13, s13, s14
	s_mul_i32 s16, s2, s12
	s_mul_hi_u32 s14, s12, s13
	s_mul_i32 s15, s12, s13
	s_mul_hi_u32 s12, s12, s16
	s_add_u32 s12, s12, s15
	s_addc_u32 s14, 0, s14
	s_mul_hi_u32 s17, s11, s16
	s_mul_i32 s16, s11, s16
	s_add_u32 s12, s12, s16
	s_mul_hi_u32 s15, s11, s13
	s_addc_u32 s12, s14, s17
	s_addc_u32 s14, s15, 0
	s_mul_i32 s13, s11, s13
	s_add_u32 s12, s12, s13
	s_addc_u32 s13, 0, s14
	v_add_co_u32_e32 v1, vcc, s12, v1
	s_cmp_lg_u64 vcc, 0
	s_addc_u32 s11, s11, s13
	v_readfirstlane_b32 s13, v1
	s_mul_i32 s12, s2, s11
	s_mul_hi_u32 s14, s2, s13
	s_add_i32 s12, s14, s12
	s_mul_i32 s10, s10, s13
	s_add_i32 s12, s12, s10
	s_mul_i32 s2, s2, s13
	s_mul_hi_u32 s14, s11, s2
	s_mul_i32 s15, s11, s2
	s_mul_i32 s17, s13, s12
	s_mul_hi_u32 s2, s13, s2
	s_mul_hi_u32 s16, s13, s12
	s_add_u32 s2, s2, s17
	s_addc_u32 s13, 0, s16
	s_add_u32 s2, s2, s15
	s_mul_hi_u32 s10, s11, s12
	s_addc_u32 s2, s13, s14
	s_addc_u32 s10, s10, 0
	s_mul_i32 s12, s11, s12
	s_add_u32 s2, s2, s12
	s_addc_u32 s10, 0, s10
	v_add_co_u32_e32 v1, vcc, s2, v1
	s_cmp_lg_u64 vcc, 0
	s_addc_u32 s12, s11, s10
	s_ashr_i32 s10, s3, 31
	s_add_u32 s2, s9, s10
	s_mov_b32 s11, s10
	s_addc_u32 s3, s3, s10
	s_xor_b64 s[2:3], s[2:3], s[10:11]
	v_readfirstlane_b32 s15, v1
	s_mul_i32 s14, s2, s12
	s_mul_hi_u32 s16, s2, s15
	s_mul_hi_u32 s13, s2, s12
	s_add_u32 s14, s16, s14
	s_addc_u32 s13, 0, s13
	s_mul_hi_u32 s17, s3, s15
	s_mul_i32 s15, s3, s15
	s_add_u32 s14, s14, s15
	s_mul_hi_u32 s16, s3, s12
	s_addc_u32 s13, s13, s17
	s_addc_u32 s14, s16, 0
	s_mul_i32 s12, s3, s12
	s_add_u32 s12, s13, s12
	s_addc_u32 s13, 0, s14
	s_add_u32 s14, s12, 1
	s_addc_u32 s15, s13, 0
	s_add_u32 s16, s12, 2
	s_mul_i32 s18, s62, s13
	s_mul_hi_u32 s19, s62, s12
	s_addc_u32 s17, s13, 0
	s_add_i32 s19, s19, s18
	s_mul_i32 s18, s62, s12
	v_mov_b32_e32 v1, s18
	v_sub_co_u32_e32 v1, vcc, s2, v1
	s_cmp_lg_u64 vcc, 0
	s_subb_u32 s2, s3, s19
	v_subrev_co_u32_e32 v4, vcc, s62, v1
	s_cmp_lg_u64 vcc, 0
	s_subb_u32 s3, s2, 0
	v_readfirstlane_b32 s18, v4
	s_cmp_ge_u32 s18, s62
	s_cselect_b32 s18, -1, 0
	s_cmp_eq_u32 s3, 0
	s_cselect_b32 s3, s18, -1
	s_cmp_lg_u32 s3, 0
	s_cselect_b32 s3, s17, s15
	v_readfirstlane_b32 s15, v1
	s_cselect_b32 s14, s16, s14
	s_cmp_ge_u32 s15, s62
	s_cselect_b32 s15, -1, 0
	s_cmp_eq_u32 s2, 0
	s_cselect_b32 s2, s15, -1
	s_cmp_lg_u32 s2, 0
	s_cselect_b32 s3, s3, s13
	s_cselect_b32 s2, s14, s12
	s_xor_b64 s[2:3], s[2:3], s[10:11]
	s_sub_u32 s2, s2, s10
	s_subb_u32 s3, s3, s10
	s_cbranch_execnz .LBB49_5
.LBB49_4:
	v_cvt_f32_u32_e32 v1, s62
	s_sub_i32 s0, 0, s62
	s_mov_b32 s3, 0
	v_rcp_iflag_f32_e32 v1, v1
	v_mul_f32_e32 v1, 0x4f7ffffe, v1
	v_cvt_u32_f32_e32 v1, v1
	v_readfirstlane_b32 s1, v1
	s_mul_i32 s0, s0, s1
	s_mul_hi_u32 s0, s1, s0
	s_add_i32 s1, s1, s0
	s_mul_hi_u32 s0, s9, s1
	s_mul_i32 s2, s0, s62
	s_sub_i32 s2, s9, s2
	s_add_i32 s1, s0, 1
	s_sub_i32 s9, s2, s62
	s_cmp_ge_u32 s2, s62
	s_cselect_b32 s0, s1, s0
	s_cselect_b32 s2, s9, s2
	s_add_i32 s1, s0, 1
	s_cmp_ge_u32 s2, s62
	s_cselect_b32 s2, s1, s0
.LBB49_5:
	v_mov_b32_e32 v14, 0
	v_mov_b32_e32 v1, v14
	;; [unrolled: 1-line block ×3, first 2 shown]
	v_mad_u64_u32 v[16:17], s[0:1], s8, v4, v[0:1]
	s_add_u32 s0, s2, 1
	s_addc_u32 s1, s3, 0
	s_mul_hi_u32 s2, s7, s8
	s_mul_i32 s1, s33, s1
	s_mul_hi_u32 s3, s33, s0
	s_add_i32 s1, s3, s1
	s_mul_i32 s2, s2, s0
	s_add_i32 s1, s1, s2
	s_mul_i32 s0, s33, s0
	s_lshl_b64 s[26:27], s[0:1], 1
	v_cmp_gt_i64_e32 vcc, s[26:27], v[16:17]
	s_and_saveexec_b64 s[0:1], vcc
	s_cbranch_execz .LBB49_58
; %bb.6:
	s_mov_b32 s0, 0x5384540f
	v_mov_b32_e32 v0, v13
	v_add_co_u32_e32 v24, vcc, s0, v12
	s_mov_b32 s0, 0x646e171e
	v_add_co_u32_e32 v25, vcc, s0, v0
	s_mov_b32 s0, 0x1715609d
	;; [unrolled: 2-line block ×6, first 2 shown]
	v_alignbit_b32 v31, v3, v2, 2
	s_mov_b32 s64, 0xd2511f53
	v_add_co_u32_e32 v30, vcc, s0, v12
	v_mad_u64_u32 v[4:5], s[0:1], v31, s64, 0
	v_xor_b32_e32 v1, v5, v13
	v_xor_b32_e32 v1, v1, v17
	s_mov_b32 s65, 0xcd9e8d57
	v_mad_u64_u32 v[6:7], s[0:1], v1, s65, 0
	v_xor_b32_e32 v1, v30, v7
	v_mad_u64_u32 v[8:9], s[0:1], v16, s65, 0
	v_and_b32_e32 v20, 3, v2
	v_xor_b32_e32 v1, v1, v8
	v_xor_b32_e32 v2, v12, v9
	v_lshrrev_b32_e32 v32, 2, v3
	v_mad_u64_u32 v[10:11], s[0:1], v1, s64, 0
	v_xor_b32_e32 v2, v2, v32
	v_xor_b32_e32 v1, v29, v11
	v_mad_u64_u32 v[2:3], s[0:1], v2, s64, 0
	v_xor_b32_e32 v1, v1, v2
	v_mad_u64_u32 v[8:9], s[0:1], v1, s65, 0
	s_mov_b32 s0, 0xbb67ae85
	v_add_co_u32_e32 v33, vcc, s0, v0
	v_xor_b32_e32 v2, v33, v3
	v_xor_b32_e32 v2, v2, v4
	v_xor_b32_e32 v1, v28, v9
	v_mad_u64_u32 v[2:3], s[0:1], v2, s65, 0
	v_xor_b32_e32 v1, v1, v2
	v_mad_u64_u32 v[4:5], s[0:1], v1, s64, 0
	s_mov_b32 s0, 0x3c6ef372
	v_add_co_u32_e32 v34, vcc, s0, v12
	v_xor_b32_e32 v2, v34, v3
	v_xor_b32_e32 v2, v2, v6
	v_xor_b32_e32 v1, v27, v5
	v_mad_u64_u32 v[2:3], s[0:1], v2, s64, 0
	v_xor_b32_e32 v1, v1, v2
	v_mad_u64_u32 v[6:7], s[0:1], v1, s65, 0
	s_mov_b32 s0, 0x32370b8f
	v_add_co_u32_e32 v35, vcc, s0, v0
	v_xor_b32_e32 v2, v35, v3
	v_xor_b32_e32 v2, v2, v10
	v_xor_b32_e32 v1, v26, v7
	v_mad_u64_u32 v[2:3], s[0:1], v2, s65, 0
	v_xor_b32_e32 v1, v1, v2
	v_mad_u64_u32 v[10:11], s[0:1], v1, s64, 0
	s_mov_b32 s0, 0x78dde6e4
	v_add_co_u32_e32 v36, vcc, s0, v12
	v_xor_b32_e32 v2, v36, v3
	v_xor_b32_e32 v2, v2, v8
	v_xor_b32_e32 v1, v25, v11
	v_mad_u64_u32 v[2:3], s[0:1], v2, s64, 0
	v_xor_b32_e32 v1, v1, v2
	v_mad_u64_u32 v[8:9], s[0:1], v1, s65, 0
	s_mov_b32 s0, 0xa9066899
	v_add_co_u32_e32 v37, vcc, s0, v0
	v_xor_b32_e32 v2, v37, v3
	v_xor_b32_e32 v2, v2, v4
	v_xor_b32_e32 v1, v24, v9
	v_mad_u64_u32 v[2:3], s[0:1], v2, s65, 0
	v_xor_b32_e32 v1, v1, v2
	v_mad_u64_u32 v[4:5], s[0:1], v1, s64, 0
	s_mov_b32 s0, 0xb54cda56
	v_add_co_u32_e32 v38, vcc, s0, v12
	v_xor_b32_e32 v2, v38, v3
	v_add_co_u32_e32 v23, vcc, 0xdb3d7428, v0
	v_xor_b32_e32 v2, v2, v6
	v_xor_b32_e32 v1, v23, v5
	v_mad_u64_u32 v[2:3], s[0:1], v2, s64, 0
	v_xor_b32_e32 v1, v1, v2
	v_mad_u64_u32 v[6:7], s[0:1], v1, s65, 0
	s_mov_b32 s0, 0x1fd5c5a3
	v_add_co_u32_e32 v39, vcc, s0, v0
	v_xor_b32_e32 v0, v39, v3
	v_xor_b32_e32 v0, v0, v10
	v_mad_u64_u32 v[0:1], s[0:1], v0, s65, 0
	s_mov_b32 s0, 0xf1bbcdc8
	s_load_dwordx8 s[8:15], s[4:5], 0x30
	v_add_co_u32_e32 v40, vcc, s0, v12
	v_xor_b32_e32 v1, v40, v1
	v_xor_b32_e32 v1, v1, v8
	s_add_u32 s34, s4, 48
	v_mad_u64_u32 v[8:9], s[0:1], v1, s64, 0
	s_addc_u32 s35, s5, 0
	s_waitcnt lgkmcnt(0)
	s_add_i32 s0, s8, -1
	s_cmp_gt_u32 s0, 1
	s_cselect_b64 s[40:41], -1, 0
	s_cmp_lg_u32 s8, 0
	s_cselect_b64 s[42:43], -1, 0
	s_add_u32 s44, s4, 0xf4
	s_addc_u32 s45, s5, 0
	s_min_u32 s1, s0, 15
	s_cmp_gt_u32 s8, 1
	s_cselect_b64 s[46:47], -1, 0
	s_load_dwordx2 s[48:49], s[4:5], 0x148
	s_load_dwordx2 s[50:51], s[4:5], 0xf4
	s_load_dwordx4 s[28:31], s[4:5], 0x138
	s_add_i32 s1, s1, 1
	s_mov_b32 s8, s13
	s_and_b32 s13, s1, 3
	s_cmp_lg_u32 s0, 2
	s_cselect_b64 s[52:53], -1, 0
	s_and_b32 s15, s1, 28
	v_add_u32_e32 v21, 0x8ff34781, v12
	v_add_u32_e32 v22, 0x96a522ad, v13
	v_xor_b32_e32 v0, v7, v0
	v_xor_b32_e32 v1, v9, v4
	s_cmp_lg_u32 s13, 0
	s_mov_b32 s63, 0
	v_xor_b32_e32 v0, v21, v0
	v_xor_b32_e32 v2, v22, v1
	v_mov_b32_e32 v1, v6
	v_mov_b32_e32 v3, v8
	s_mov_b64 s[54:55], 0
	s_cselect_b64 s[56:57], -1, 0
	v_mov_b32_e32 v41, v16
	v_mov_b32_e32 v42, v17
	s_branch .LBB49_9
.LBB49_7:                               ;   in Loop: Header=BB49_9 Depth=1
	s_or_b64 exec, exec, s[0:1]
	v_mov_b32_e32 v1, s49
	v_add_co_u32_e32 v0, vcc, s48, v10
	v_addc_co_u32_e32 v1, vcc, v11, v1, vcc
	global_store_dwordx2 v8, v[0:1], s[28:29]
.LBB49_8:                               ;   in Loop: Header=BB49_9 Depth=1
	s_or_b64 exec, exec, s[36:37]
	v_add_co_u32_e32 v16, vcc, s62, v16
	v_addc_co_u32_e32 v17, vcc, 0, v17, vcc
	v_mov_b32_e32 v7, v18
	v_cmp_le_i64_e32 vcc, s[26:27], v[16:17]
	v_pk_mov_b32 v[0:1], v[4:5], v[4:5] op_sel:[0,1]
	s_or_b64 s[54:55], vcc, s[54:55]
	v_pk_mov_b32 v[2:3], v[6:7], v[6:7] op_sel:[0,1]
	s_waitcnt lgkmcnt(0)
	s_barrier
	s_andn2_b64 exec, exec, s[54:55]
	s_cbranch_execz .LBB49_58
.LBB49_9:                               ; =>This Loop Header: Depth=1
                                        ;     Child Loop BB49_24 Depth 2
                                        ;     Child Loop BB49_30 Depth 2
	;; [unrolled: 1-line block ×4, first 2 shown]
	v_add_co_u32_e32 v31, vcc, 1, v31
	v_cndmask_b32_e64 v4, 0, 1, vcc
	v_addc_co_u32_e32 v32, vcc, 0, v32, vcc
	v_cmp_eq_u32_e32 vcc, 0, v32
	v_cndmask_b32_e32 v4, 0, v4, vcc
	v_add_u32_e32 v41, v4, v41
	v_cmp_eq_u32_e32 vcc, 0, v41
	v_cndmask_b32_e32 v4, 0, v4, vcc
	v_add_u32_e32 v42, v4, v42
	v_mad_u64_u32 v[4:5], s[0:1], v31, s64, 0
	v_mad_u64_u32 v[6:7], s[0:1], v41, s65, 0
	v_xor_b32_e32 v5, v5, v13
	v_xor_b32_e32 v7, v7, v12
	v_xor_b32_e32 v5, v42, v5
	v_xor_b32_e32 v7, v32, v7
	v_mad_u64_u32 v[10:11], s[0:1], v5, s65, 0
	v_mad_u64_u32 v[8:9], s[0:1], v7, s64, 0
	v_xor_b32_e32 v5, v30, v11
	v_xor_b32_e32 v5, v5, v6
	v_xor_b32_e32 v6, v33, v9
	v_xor_b32_e32 v6, v6, v4
	;; [unrolled: 6-line block ×10, first 2 shown]
	v_mov_b32_e32 v5, v10
	v_mov_b32_e32 v6, v11
	v_cmp_lt_i32_e32 vcc, 1, v20
	s_and_saveexec_b64 s[0:1], vcc
	s_xor_b64 s[0:1], exec, s[0:1]
	s_cbranch_execz .LBB49_15
; %bb.10:                               ;   in Loop: Header=BB49_9 Depth=1
	v_cmp_lt_i32_e32 vcc, 2, v20
	s_and_saveexec_b64 s[2:3], vcc
	s_xor_b64 s[2:3], exec, s[2:3]
; %bb.11:                               ;   in Loop: Header=BB49_9 Depth=1
	v_mov_b32_e32 v8, v3
	v_mov_b32_e32 v9, v4
	v_pk_mov_b32 v[0:1], v[8:9], v[8:9] op_sel:[0,1]
	v_pk_mov_b32 v[2:3], v[10:11], v[10:11] op_sel:[0,1]
                                        ; implicit-def: $vgpr10_vgpr11
; %bb.12:                               ;   in Loop: Header=BB49_9 Depth=1
	s_andn2_saveexec_b64 s[2:3], s[2:3]
; %bb.13:                               ;   in Loop: Header=BB49_9 Depth=1
	v_mov_b32_e32 v0, v2
	v_mov_b32_e32 v1, v3
	;; [unrolled: 1-line block ×4, first 2 shown]
; %bb.14:                               ;   in Loop: Header=BB49_9 Depth=1
	s_or_b64 exec, exec, s[2:3]
.LBB49_15:                              ;   in Loop: Header=BB49_9 Depth=1
	s_andn2_saveexec_b64 s[0:1], s[0:1]
	s_cbranch_execz .LBB49_19
; %bb.16:                               ;   in Loop: Header=BB49_9 Depth=1
	v_cmp_eq_u32_e32 vcc, 1, v20
	s_and_saveexec_b64 s[2:3], vcc
; %bb.17:                               ;   in Loop: Header=BB49_9 Depth=1
	v_mov_b32_e32 v0, v1
	v_mov_b32_e32 v1, v2
	;; [unrolled: 1-line block ×4, first 2 shown]
; %bb.18:                               ;   in Loop: Header=BB49_9 Depth=1
	s_or_b64 exec, exec, s[2:3]
.LBB49_19:                              ;   in Loop: Header=BB49_9 Depth=1
	s_or_b64 exec, exec, s[0:1]
	v_cndmask_b32_e64 v7, 0, 1, s[40:41]
	v_cmp_gt_i64_e32 vcc, s[24:25], v[16:17]
	v_cmp_ne_u32_e64 s[0:1], 1, v7
	s_and_saveexec_b64 s[58:59], vcc
	s_cbranch_execz .LBB49_39
; %bb.20:                               ;   in Loop: Header=BB49_9 Depth=1
	s_and_b64 vcc, exec, s[0:1]
	s_cbranch_vccnz .LBB49_26
; %bb.21:                               ;   in Loop: Header=BB49_9 Depth=1
	s_andn2_b64 vcc, exec, s[42:43]
	s_cbranch_vccnz .LBB49_27
; %bb.22:                               ;   in Loop: Header=BB49_9 Depth=1
	s_mov_b32 s4, 0
	s_andn2_b64 vcc, exec, s[52:53]
	v_mov_b32_e32 v8, 0
	s_cbranch_vccnz .LBB49_28
; %bb.23:                               ;   in Loop: Header=BB49_9 Depth=1
	s_mov_b32 s66, 0
	v_mov_b32_e32 v8, 0
	s_mov_b64 s[2:3], s[34:35]
	s_mov_b64 s[60:61], s[44:45]
	v_mov_b32_e32 v7, v16
.LBB49_24:                              ;   Parent Loop BB49_9 Depth=1
                                        ; =>  This Inner Loop Header: Depth=2
	s_load_dwordx8 s[16:23], s[2:3], 0x4
	s_load_dwordx4 s[4:7], s[2:3], 0x24
	s_load_dwordx4 s[36:39], s[60:61], 0x0
	s_add_u32 s2, s2, 48
	s_addc_u32 s3, s3, 0
	s_waitcnt lgkmcnt(0)
	v_mul_hi_u32 v9, s17, v7
	v_add_u32_e32 v9, v7, v9
	v_lshrrev_b32_e32 v9, s18, v9
	v_mul_lo_u32 v10, v9, s16
	v_mul_hi_u32 v11, s20, v9
	v_sub_u32_e32 v7, v7, v10
	v_add_u32_e32 v10, v9, v11
	v_lshrrev_b32_e32 v10, s21, v10
	v_mul_lo_u32 v11, v10, s19
	v_mul_hi_u32 v15, s23, v10
	v_sub_u32_e32 v9, v9, v11
	v_add_u32_e32 v11, v10, v15
	v_mul_lo_u32 v7, v7, s36
	v_mul_lo_u32 v9, v9, s37
	v_lshrrev_b32_e32 v11, s4, v11
	v_add3_u32 v8, v7, v8, v9
	v_mul_lo_u32 v7, v11, s22
	v_mul_hi_u32 v9, s6, v11
	v_sub_u32_e32 v7, v10, v7
	v_add_u32_e32 v9, v11, v9
	v_mul_lo_u32 v10, v7, s38
	v_lshrrev_b32_e32 v7, s7, v9
	s_add_i32 s66, s66, 4
	v_mul_lo_u32 v9, v7, s5
	s_add_u32 s60, s60, 16
	v_sub_u32_e32 v9, v11, v9
	s_addc_u32 s61, s61, 0
	v_mul_lo_u32 v9, v9, s39
	s_cmp_lg_u32 s15, s66
	v_add3_u32 v8, v10, v8, v9
	s_cbranch_scc1 .LBB49_24
; %bb.25:                               ;   in Loop: Header=BB49_9 Depth=1
	s_mov_b32 s4, s15
	s_andn2_b64 vcc, exec, s[56:57]
	s_cbranch_vccz .LBB49_29
	s_branch .LBB49_31
.LBB49_26:                              ;   in Loop: Header=BB49_9 Depth=1
                                        ; implicit-def: $vgpr8
	s_branch .LBB49_32
.LBB49_27:                              ;   in Loop: Header=BB49_9 Depth=1
	v_mov_b32_e32 v8, 0
	s_branch .LBB49_31
.LBB49_28:                              ;   in Loop: Header=BB49_9 Depth=1
	v_mov_b32_e32 v7, v16
	s_andn2_b64 vcc, exec, s[56:57]
	s_cbranch_vccnz .LBB49_31
.LBB49_29:                              ;   in Loop: Header=BB49_9 Depth=1
	s_lshl_b32 s2, s4, 2
	s_add_u32 s2, s44, s2
	s_addc_u32 s3, s45, 0
	s_mul_i32 s4, s4, 12
	s_add_u32 s4, s34, s4
	s_addc_u32 s5, s35, 0
	s_mov_b32 s6, s13
.LBB49_30:                              ;   Parent Loop BB49_9 Depth=1
                                        ; =>  This Inner Loop Header: Depth=2
	s_load_dwordx2 s[16:17], s[4:5], 0x4
	s_load_dword s7, s[4:5], 0xc
	s_load_dword s18, s[2:3], 0x0
	s_add_u32 s4, s4, 12
	s_addc_u32 s5, s5, 0
	s_waitcnt lgkmcnt(0)
	v_mul_hi_u32 v9, s17, v7
	v_add_u32_e32 v9, v7, v9
	v_lshrrev_b32_e32 v9, s7, v9
	s_add_u32 s2, s2, 4
	v_mul_lo_u32 v10, v9, s16
	s_addc_u32 s3, s3, 0
	s_add_i32 s6, s6, -1
	v_sub_u32_e32 v10, v7, v10
	s_cmp_lg_u32 s6, 0
	v_mov_b32_e32 v7, v9
	v_mad_u64_u32 v[8:9], s[16:17], v10, s18, v[8:9]
	s_cbranch_scc1 .LBB49_30
.LBB49_31:                              ;   in Loop: Header=BB49_9 Depth=1
	s_cbranch_execnz .LBB49_34
.LBB49_32:                              ;   in Loop: Header=BB49_9 Depth=1
	v_mul_hi_u32 v7, v16, s10
	v_add_u32_e32 v7, v7, v16
	v_lshrrev_b32_e32 v7, s11, v7
	v_mul_lo_u32 v8, v7, s9
	v_sub_u32_e32 v8, v16, v8
	s_andn2_b64 vcc, exec, s[46:47]
	s_waitcnt lgkmcnt(0)
	v_mul_lo_u32 v8, v8, s50
	s_cbranch_vccnz .LBB49_34
; %bb.33:                               ;   in Loop: Header=BB49_9 Depth=1
	v_mul_hi_u32 v9, s8, v7
	v_add_u32_e32 v9, v7, v9
	v_lshrrev_b32_e32 v9, s14, v9
	v_mul_lo_u32 v9, v9, s12
	v_sub_u32_e32 v7, v7, v9
	v_mad_u64_u32 v[8:9], s[2:3], v7, s51, v[8:9]
.LBB49_34:                              ;   in Loop: Header=BB49_9 Depth=1
	s_waitcnt lgkmcnt(0)
	v_or_b32_e32 v15, s31, v0
	v_cmp_ne_u64_e32 vcc, 0, v[14:15]
                                        ; implicit-def: $vgpr10_vgpr11
	s_and_saveexec_b64 s[2:3], vcc
	s_xor_b64 s[6:7], exec, s[2:3]
	s_cbranch_execz .LBB49_36
; %bb.35:                               ;   in Loop: Header=BB49_9 Depth=1
	v_cvt_f32_u32_e32 v7, s30
	v_cvt_f32_u32_e32 v9, s31
	s_sub_u32 s2, 0, s30
	s_subb_u32 s3, 0, s31
	v_mac_f32_e32 v7, 0x4f800000, v9
	v_rcp_f32_e32 v7, v7
	v_mul_f32_e32 v7, 0x5f7ffffc, v7
	v_mul_f32_e32 v9, 0x2f800000, v7
	v_trunc_f32_e32 v9, v9
	v_mac_f32_e32 v7, 0xcf800000, v9
	v_cvt_u32_f32_e32 v9, v9
	v_cvt_u32_f32_e32 v7, v7
	v_mul_lo_u32 v10, s2, v9
	v_mul_hi_u32 v15, s2, v7
	v_mul_lo_u32 v11, s3, v7
	v_add_u32_e32 v10, v15, v10
	v_mul_lo_u32 v19, s2, v7
	v_add_u32_e32 v10, v10, v11
	v_mul_hi_u32 v15, v7, v19
	v_mul_lo_u32 v43, v7, v10
	v_mul_hi_u32 v11, v7, v10
	v_add_co_u32_e32 v15, vcc, v15, v43
	v_addc_co_u32_e32 v11, vcc, 0, v11, vcc
	v_mul_hi_u32 v44, v9, v19
	v_mul_lo_u32 v19, v9, v19
	v_add_co_u32_e32 v15, vcc, v15, v19
	v_mul_hi_u32 v43, v9, v10
	v_addc_co_u32_e32 v11, vcc, v11, v44, vcc
	v_addc_co_u32_e32 v15, vcc, 0, v43, vcc
	v_mul_lo_u32 v10, v9, v10
	v_add_co_u32_e32 v10, vcc, v11, v10
	v_addc_co_u32_e32 v11, vcc, 0, v15, vcc
	v_add_co_u32_e32 v7, vcc, v7, v10
	v_addc_co_u32_e32 v9, vcc, v9, v11, vcc
	v_mul_lo_u32 v10, s2, v9
	v_mul_hi_u32 v11, s2, v7
	v_add_u32_e32 v10, v11, v10
	v_mul_lo_u32 v11, s3, v7
	v_add_u32_e32 v10, v10, v11
	v_mul_lo_u32 v15, s2, v7
	v_mul_hi_u32 v19, v9, v15
	v_mul_lo_u32 v43, v9, v15
	v_mul_lo_u32 v45, v7, v10
	v_mul_hi_u32 v15, v7, v15
	v_mul_hi_u32 v44, v7, v10
	v_add_co_u32_e32 v15, vcc, v15, v45
	v_addc_co_u32_e32 v44, vcc, 0, v44, vcc
	v_add_co_u32_e32 v15, vcc, v15, v43
	v_mul_hi_u32 v11, v9, v10
	v_addc_co_u32_e32 v15, vcc, v44, v19, vcc
	v_addc_co_u32_e32 v11, vcc, 0, v11, vcc
	v_mul_lo_u32 v10, v9, v10
	v_add_co_u32_e32 v10, vcc, v15, v10
	v_addc_co_u32_e32 v11, vcc, 0, v11, vcc
	v_add_co_u32_e32 v7, vcc, v7, v10
	v_addc_co_u32_e32 v9, vcc, v9, v11, vcc
	v_mad_u64_u32 v[10:11], s[2:3], v1, v9, 0
	v_mul_hi_u32 v15, v1, v7
	v_add_co_u32_e32 v15, vcc, v15, v10
	v_addc_co_u32_e32 v19, vcc, 0, v11, vcc
	v_mad_u64_u32 v[44:45], s[2:3], v0, v7, 0
	v_add_co_u32_e32 v7, vcc, v15, v44
	v_mad_u64_u32 v[10:11], s[2:3], v0, v9, 0
	v_addc_co_u32_e32 v7, vcc, v19, v45, vcc
	v_addc_co_u32_e32 v9, vcc, 0, v11, vcc
	v_add_co_u32_e32 v7, vcc, v7, v10
	v_addc_co_u32_e32 v9, vcc, 0, v9, vcc
	v_mul_lo_u32 v15, s31, v7
	v_mul_lo_u32 v9, s30, v9
	v_mad_u64_u32 v[10:11], s[2:3], s30, v7, 0
	v_add3_u32 v7, v11, v9, v15
	v_sub_u32_e32 v9, v0, v7
	v_mov_b32_e32 v11, s31
	v_sub_co_u32_e32 v10, vcc, v1, v10
	v_subb_co_u32_e64 v9, s[2:3], v9, v11, vcc
	v_subrev_co_u32_e64 v15, s[2:3], s30, v10
	v_subbrev_co_u32_e64 v19, s[4:5], 0, v9, s[2:3]
	v_cmp_le_u32_e64 s[4:5], s31, v19
	v_cndmask_b32_e64 v43, 0, -1, s[4:5]
	v_cmp_le_u32_e64 s[4:5], s30, v15
	v_subb_co_u32_e32 v0, vcc, v0, v7, vcc
	v_cndmask_b32_e64 v44, 0, -1, s[4:5]
	v_cmp_eq_u32_e64 s[4:5], s31, v19
	v_subb_co_u32_e64 v9, s[2:3], v9, v11, s[2:3]
	v_cmp_le_u32_e32 vcc, s31, v0
	v_cndmask_b32_e64 v43, v43, v44, s[4:5]
	v_subrev_co_u32_e64 v44, s[2:3], s30, v15
	v_cndmask_b32_e64 v7, 0, -1, vcc
	v_cmp_le_u32_e32 vcc, s30, v10
	v_subbrev_co_u32_e64 v9, s[2:3], 0, v9, s[2:3]
	v_cndmask_b32_e64 v11, 0, -1, vcc
	v_cmp_eq_u32_e32 vcc, s31, v0
	v_cmp_ne_u32_e64 s[2:3], 0, v43
	v_cndmask_b32_e32 v7, v7, v11, vcc
	v_cndmask_b32_e64 v9, v19, v9, s[2:3]
	v_cmp_ne_u32_e32 vcc, 0, v7
	v_cndmask_b32_e32 v11, v0, v9, vcc
	v_cndmask_b32_e64 v0, v15, v44, s[2:3]
	v_cndmask_b32_e32 v10, v10, v0, vcc
.LBB49_36:                              ;   in Loop: Header=BB49_9 Depth=1
	s_andn2_saveexec_b64 s[2:3], s[6:7]
	s_cbranch_execz .LBB49_38
; %bb.37:                               ;   in Loop: Header=BB49_9 Depth=1
	v_cvt_f32_u32_e32 v0, s30
	s_sub_i32 s4, 0, s30
	v_mov_b32_e32 v11, v14
	v_rcp_iflag_f32_e32 v0, v0
	v_mul_f32_e32 v0, 0x4f7ffffe, v0
	v_cvt_u32_f32_e32 v0, v0
	v_mul_lo_u32 v7, s4, v0
	v_mul_hi_u32 v7, v0, v7
	v_add_u32_e32 v0, v0, v7
	v_mul_hi_u32 v0, v1, v0
	v_mul_lo_u32 v0, v0, s30
	v_sub_u32_e32 v0, v1, v0
	v_subrev_u32_e32 v1, s30, v0
	v_cmp_le_u32_e32 vcc, s30, v0
	v_cndmask_b32_e32 v0, v0, v1, vcc
	v_subrev_u32_e32 v1, s30, v0
	v_cmp_le_u32_e32 vcc, s30, v0
	v_cndmask_b32_e32 v10, v0, v1, vcc
.LBB49_38:                              ;   in Loop: Header=BB49_9 Depth=1
	s_or_b64 exec, exec, s[2:3]
	v_mov_b32_e32 v1, s49
	v_add_co_u32_e32 v0, vcc, s48, v10
	v_addc_co_u32_e32 v1, vcc, v11, v1, vcc
	global_store_dwordx2 v8, v[0:1], s[28:29]
.LBB49_39:                              ;   in Loop: Header=BB49_9 Depth=1
	s_or_b64 exec, exec, s[58:59]
	v_mov_b32_e32 v1, s63
	v_add_co_u32_e32 v0, vcc, s33, v16
	v_addc_co_u32_e32 v1, vcc, v17, v1, vcc
	v_cmp_gt_i64_e32 vcc, s[24:25], v[0:1]
	s_and_saveexec_b64 s[36:37], vcc
	s_cbranch_execz .LBB49_8
; %bb.40:                               ;   in Loop: Header=BB49_9 Depth=1
	s_and_b64 vcc, exec, s[0:1]
	s_cbranch_vccnz .LBB49_46
; %bb.41:                               ;   in Loop: Header=BB49_9 Depth=1
	s_andn2_b64 vcc, exec, s[42:43]
	s_cbranch_vccnz .LBB49_47
; %bb.42:                               ;   in Loop: Header=BB49_9 Depth=1
	s_mov_b32 s2, 0
	s_andn2_b64 vcc, exec, s[52:53]
	v_mov_b32_e32 v8, 0
	s_cbranch_vccnz .LBB49_48
; %bb.43:                               ;   in Loop: Header=BB49_9 Depth=1
	s_mov_b32 s60, 0
	v_mov_b32_e32 v8, 0
	s_mov_b64 s[38:39], s[34:35]
	s_mov_b64 s[58:59], s[44:45]
	v_mov_b32_e32 v1, v0
.LBB49_44:                              ;   Parent Loop BB49_9 Depth=1
                                        ; =>  This Inner Loop Header: Depth=2
	s_load_dwordx8 s[0:7], s[38:39], 0x4
	s_load_dwordx4 s[16:19], s[38:39], 0x24
	s_load_dwordx4 s[20:23], s[58:59], 0x0
	s_add_u32 s38, s38, 48
	s_addc_u32 s39, s39, 0
	s_waitcnt lgkmcnt(0)
	v_mul_hi_u32 v7, s1, v1
	v_add_u32_e32 v7, v1, v7
	v_lshrrev_b32_e32 v7, s2, v7
	v_mul_lo_u32 v9, v7, s0
	v_mul_hi_u32 v10, s4, v7
	v_sub_u32_e32 v1, v1, v9
	v_add_u32_e32 v9, v7, v10
	v_lshrrev_b32_e32 v9, s5, v9
	v_mul_lo_u32 v10, v9, s3
	v_mul_hi_u32 v11, s7, v9
	v_sub_u32_e32 v7, v7, v10
	v_add_u32_e32 v10, v9, v11
	v_mul_lo_u32 v1, v1, s20
	v_mul_lo_u32 v7, v7, s21
	v_lshrrev_b32_e32 v10, s16, v10
	v_add3_u32 v7, v1, v8, v7
	v_mul_lo_u32 v1, v10, s6
	v_mul_hi_u32 v8, s18, v10
	v_sub_u32_e32 v1, v9, v1
	v_add_u32_e32 v8, v10, v8
	v_mul_lo_u32 v9, v1, s22
	v_lshrrev_b32_e32 v1, s19, v8
	s_add_i32 s60, s60, 4
	v_mul_lo_u32 v8, v1, s17
	s_add_u32 s58, s58, 16
	v_sub_u32_e32 v8, v10, v8
	s_addc_u32 s59, s59, 0
	v_mul_lo_u32 v8, v8, s23
	s_cmp_eq_u32 s15, s60
	v_add3_u32 v8, v9, v7, v8
	s_cbranch_scc0 .LBB49_44
; %bb.45:                               ;   in Loop: Header=BB49_9 Depth=1
	s_mov_b32 s2, s15
	s_andn2_b64 vcc, exec, s[56:57]
	s_cbranch_vccz .LBB49_49
	s_branch .LBB49_51
.LBB49_46:                              ;   in Loop: Header=BB49_9 Depth=1
                                        ; implicit-def: $vgpr8
	s_branch .LBB49_52
.LBB49_47:                              ;   in Loop: Header=BB49_9 Depth=1
	v_mov_b32_e32 v8, 0
	s_branch .LBB49_51
.LBB49_48:                              ;   in Loop: Header=BB49_9 Depth=1
	v_mov_b32_e32 v1, v0
	s_andn2_b64 vcc, exec, s[56:57]
	s_cbranch_vccnz .LBB49_51
.LBB49_49:                              ;   in Loop: Header=BB49_9 Depth=1
	s_lshl_b32 s0, s2, 2
	s_add_u32 s0, s44, s0
	s_addc_u32 s1, s45, 0
	s_mul_i32 s2, s2, 12
	s_add_u32 s2, s34, s2
	s_addc_u32 s3, s35, 0
	s_mov_b32 s4, s13
.LBB49_50:                              ;   Parent Loop BB49_9 Depth=1
                                        ; =>  This Inner Loop Header: Depth=2
	s_load_dwordx2 s[6:7], s[2:3], 0x4
	s_load_dword s5, s[2:3], 0xc
	s_load_dword s16, s[0:1], 0x0
	s_add_u32 s2, s2, 12
	s_addc_u32 s3, s3, 0
	s_waitcnt lgkmcnt(0)
	v_mul_hi_u32 v7, s7, v1
	v_add_u32_e32 v7, v1, v7
	v_lshrrev_b32_e32 v7, s5, v7
	s_add_u32 s0, s0, 4
	v_mul_lo_u32 v9, v7, s6
	s_addc_u32 s1, s1, 0
	s_add_i32 s4, s4, -1
	v_sub_u32_e32 v9, v1, v9
	s_cmp_lg_u32 s4, 0
	v_mov_b32_e32 v1, v7
	v_mad_u64_u32 v[8:9], s[6:7], v9, s16, v[8:9]
	s_cbranch_scc1 .LBB49_50
.LBB49_51:                              ;   in Loop: Header=BB49_9 Depth=1
	s_cbranch_execnz .LBB49_54
.LBB49_52:                              ;   in Loop: Header=BB49_9 Depth=1
	v_mul_hi_u32 v1, v0, s10
	v_add_u32_e32 v1, v1, v0
	v_lshrrev_b32_e32 v1, s11, v1
	v_mul_lo_u32 v7, v1, s9
	v_sub_u32_e32 v0, v0, v7
	s_andn2_b64 vcc, exec, s[46:47]
	s_waitcnt lgkmcnt(0)
	v_mul_lo_u32 v8, v0, s50
	s_cbranch_vccnz .LBB49_54
; %bb.53:                               ;   in Loop: Header=BB49_9 Depth=1
	v_mul_hi_u32 v0, s8, v1
	v_add_u32_e32 v0, v1, v0
	v_lshrrev_b32_e32 v0, s14, v0
	v_mul_lo_u32 v0, v0, s12
	v_sub_u32_e32 v0, v1, v0
	v_mad_u64_u32 v[8:9], s[0:1], v0, s51, v[8:9]
.LBB49_54:                              ;   in Loop: Header=BB49_9 Depth=1
	s_waitcnt lgkmcnt(0)
	v_or_b32_e32 v15, s31, v2
	v_cmp_ne_u64_e32 vcc, 0, v[14:15]
                                        ; implicit-def: $vgpr10_vgpr11
	s_and_saveexec_b64 s[0:1], vcc
	s_xor_b64 s[4:5], exec, s[0:1]
	s_cbranch_execz .LBB49_56
; %bb.55:                               ;   in Loop: Header=BB49_9 Depth=1
	v_cvt_f32_u32_e32 v0, s30
	v_cvt_f32_u32_e32 v1, s31
	s_sub_u32 s0, 0, s30
	s_subb_u32 s1, 0, s31
	v_mac_f32_e32 v0, 0x4f800000, v1
	v_rcp_f32_e32 v0, v0
	v_mul_f32_e32 v0, 0x5f7ffffc, v0
	v_mul_f32_e32 v1, 0x2f800000, v0
	v_trunc_f32_e32 v1, v1
	v_mac_f32_e32 v0, 0xcf800000, v1
	v_cvt_u32_f32_e32 v1, v1
	v_cvt_u32_f32_e32 v0, v0
	v_mul_lo_u32 v7, s0, v1
	v_mul_hi_u32 v10, s0, v0
	v_mul_lo_u32 v9, s1, v0
	v_add_u32_e32 v7, v10, v7
	v_mul_lo_u32 v11, s0, v0
	v_add_u32_e32 v7, v7, v9
	v_mul_hi_u32 v10, v0, v11
	v_mul_lo_u32 v15, v0, v7
	v_mul_hi_u32 v9, v0, v7
	v_add_co_u32_e32 v10, vcc, v10, v15
	v_addc_co_u32_e32 v9, vcc, 0, v9, vcc
	v_mul_hi_u32 v19, v1, v11
	v_mul_lo_u32 v11, v1, v11
	v_add_co_u32_e32 v10, vcc, v10, v11
	v_mul_hi_u32 v15, v1, v7
	v_addc_co_u32_e32 v9, vcc, v9, v19, vcc
	v_addc_co_u32_e32 v10, vcc, 0, v15, vcc
	v_mul_lo_u32 v7, v1, v7
	v_add_co_u32_e32 v7, vcc, v9, v7
	v_addc_co_u32_e32 v9, vcc, 0, v10, vcc
	v_add_co_u32_e32 v0, vcc, v0, v7
	v_addc_co_u32_e32 v1, vcc, v1, v9, vcc
	v_mul_lo_u32 v7, s0, v1
	v_mul_hi_u32 v9, s0, v0
	v_add_u32_e32 v7, v9, v7
	v_mul_lo_u32 v9, s1, v0
	v_add_u32_e32 v7, v7, v9
	v_mul_lo_u32 v10, s0, v0
	v_mul_hi_u32 v11, v1, v10
	v_mul_lo_u32 v15, v1, v10
	v_mul_lo_u32 v43, v0, v7
	v_mul_hi_u32 v10, v0, v10
	v_mul_hi_u32 v19, v0, v7
	v_add_co_u32_e32 v10, vcc, v10, v43
	v_addc_co_u32_e32 v19, vcc, 0, v19, vcc
	v_add_co_u32_e32 v10, vcc, v10, v15
	v_mul_hi_u32 v9, v1, v7
	v_addc_co_u32_e32 v10, vcc, v19, v11, vcc
	v_addc_co_u32_e32 v9, vcc, 0, v9, vcc
	v_mul_lo_u32 v7, v1, v7
	v_add_co_u32_e32 v7, vcc, v10, v7
	v_addc_co_u32_e32 v9, vcc, 0, v9, vcc
	v_add_co_u32_e32 v7, vcc, v0, v7
	v_addc_co_u32_e32 v9, vcc, v1, v9, vcc
	v_mad_u64_u32 v[0:1], s[0:1], v3, v9, 0
	v_mul_hi_u32 v10, v3, v7
	v_add_co_u32_e32 v15, vcc, v10, v0
	v_addc_co_u32_e32 v19, vcc, 0, v1, vcc
	v_mad_u64_u32 v[10:11], s[0:1], v2, v7, 0
	v_add_co_u32_e32 v7, vcc, v15, v10
	v_mad_u64_u32 v[0:1], s[0:1], v2, v9, 0
	v_addc_co_u32_e32 v7, vcc, v19, v11, vcc
	v_addc_co_u32_e32 v1, vcc, 0, v1, vcc
	v_add_co_u32_e32 v0, vcc, v7, v0
	v_addc_co_u32_e32 v1, vcc, 0, v1, vcc
	v_mul_lo_u32 v7, s31, v0
	v_mul_lo_u32 v9, s30, v1
	v_mad_u64_u32 v[0:1], s[0:1], s30, v0, 0
	v_add3_u32 v1, v1, v9, v7
	v_sub_u32_e32 v7, v2, v1
	v_mov_b32_e32 v9, s31
	v_sub_co_u32_e32 v0, vcc, v3, v0
	v_subb_co_u32_e64 v3, s[0:1], v7, v9, vcc
	v_subrev_co_u32_e64 v7, s[0:1], s30, v0
	v_subbrev_co_u32_e64 v10, s[2:3], 0, v3, s[0:1]
	v_cmp_le_u32_e64 s[2:3], s31, v10
	v_cndmask_b32_e64 v11, 0, -1, s[2:3]
	v_cmp_le_u32_e64 s[2:3], s30, v7
	v_subb_co_u32_e64 v3, s[0:1], v3, v9, s[0:1]
	v_cndmask_b32_e64 v15, 0, -1, s[2:3]
	v_cmp_eq_u32_e64 s[2:3], s31, v10
	v_subrev_co_u32_e64 v9, s[0:1], s30, v7
	v_subb_co_u32_e32 v1, vcc, v2, v1, vcc
	v_cndmask_b32_e64 v11, v11, v15, s[2:3]
	v_subbrev_co_u32_e64 v3, s[0:1], 0, v3, s[0:1]
	v_cmp_le_u32_e32 vcc, s31, v1
	v_cmp_ne_u32_e64 s[0:1], 0, v11
	v_cndmask_b32_e64 v2, 0, -1, vcc
	v_cmp_le_u32_e32 vcc, s30, v0
	v_cndmask_b32_e64 v3, v10, v3, s[0:1]
	v_cndmask_b32_e64 v10, 0, -1, vcc
	v_cmp_eq_u32_e32 vcc, s31, v1
	v_cndmask_b32_e32 v2, v2, v10, vcc
	v_cmp_ne_u32_e32 vcc, 0, v2
	v_cndmask_b32_e32 v11, v1, v3, vcc
	v_cndmask_b32_e64 v1, v7, v9, s[0:1]
	v_cndmask_b32_e32 v10, v0, v1, vcc
                                        ; implicit-def: $vgpr0_vgpr1_vgpr2_vgpr3
.LBB49_56:                              ;   in Loop: Header=BB49_9 Depth=1
	s_andn2_saveexec_b64 s[0:1], s[4:5]
	s_cbranch_execz .LBB49_7
; %bb.57:                               ;   in Loop: Header=BB49_9 Depth=1
	v_cvt_f32_u32_e32 v0, s30
	s_sub_i32 s2, 0, s30
	v_mov_b32_e32 v11, v14
	v_rcp_iflag_f32_e32 v0, v0
	v_mul_f32_e32 v0, 0x4f7ffffe, v0
	v_cvt_u32_f32_e32 v0, v0
	v_mul_lo_u32 v1, s2, v0
	v_mul_hi_u32 v1, v0, v1
	v_add_u32_e32 v0, v0, v1
	v_mul_hi_u32 v0, v3, v0
	v_mul_lo_u32 v0, v0, s30
	v_sub_u32_e32 v0, v3, v0
	v_subrev_u32_e32 v1, s30, v0
	v_cmp_le_u32_e32 vcc, s30, v0
	v_cndmask_b32_e32 v0, v0, v1, vcc
	v_subrev_u32_e32 v1, s30, v0
	v_cmp_le_u32_e32 vcc, s30, v0
	v_cndmask_b32_e32 v10, v0, v1, vcc
	s_branch .LBB49_7
.LBB49_58:
	s_endpgm
.LBB49_59:
                                        ; implicit-def: $sgpr2_sgpr3
	s_andn2_b64 vcc, exec, s[0:1]
	s_cbranch_vccz .LBB49_4
	s_branch .LBB49_5
	.section	.rodata,"a",@progbits
	.p2align	6, 0x0
	.amdhsa_kernel _ZN2at6native12_GLOBAL__N_143distribution_elementwise_grid_stride_kernelImLi2EZZZNS0_9templates4cuda21random_from_to_kernelIPNS_17CUDAGeneratorImplEEEvRNS_18TensorIteratorBaseEmlT_ENKUlvE_clEvENKUlvE11_clEvEUlP25hiprandStatePhilox4_32_10E_ZNS1_27distribution_nullary_kernelImm15HIP_vector_typeIyLj2EES7_SF_ZZZNS5_IS7_EEvS9_mlSA_ENKSB_clEvENKSC_clEvEUlmE_EEvS9_T2_RKT3_T4_EUlimE0_EEvlNS_15PhiloxCudaStateET1_SK_
		.amdhsa_group_segment_fixed_size 0
		.amdhsa_private_segment_fixed_size 0
		.amdhsa_kernarg_size 592
		.amdhsa_user_sgpr_count 6
		.amdhsa_user_sgpr_private_segment_buffer 1
		.amdhsa_user_sgpr_dispatch_ptr 0
		.amdhsa_user_sgpr_queue_ptr 0
		.amdhsa_user_sgpr_kernarg_segment_ptr 1
		.amdhsa_user_sgpr_dispatch_id 0
		.amdhsa_user_sgpr_flat_scratch_init 0
		.amdhsa_user_sgpr_kernarg_preload_length 0
		.amdhsa_user_sgpr_kernarg_preload_offset 0
		.amdhsa_user_sgpr_private_segment_size 0
		.amdhsa_uses_dynamic_stack 0
		.amdhsa_system_sgpr_private_segment_wavefront_offset 0
		.amdhsa_system_sgpr_workgroup_id_x 1
		.amdhsa_system_sgpr_workgroup_id_y 0
		.amdhsa_system_sgpr_workgroup_id_z 0
		.amdhsa_system_sgpr_workgroup_info 0
		.amdhsa_system_vgpr_workitem_id 0
		.amdhsa_next_free_vgpr 46
		.amdhsa_next_free_sgpr 67
		.amdhsa_accum_offset 48
		.amdhsa_reserve_vcc 1
		.amdhsa_reserve_flat_scratch 0
		.amdhsa_float_round_mode_32 0
		.amdhsa_float_round_mode_16_64 0
		.amdhsa_float_denorm_mode_32 3
		.amdhsa_float_denorm_mode_16_64 3
		.amdhsa_dx10_clamp 1
		.amdhsa_ieee_mode 1
		.amdhsa_fp16_overflow 0
		.amdhsa_tg_split 0
		.amdhsa_exception_fp_ieee_invalid_op 0
		.amdhsa_exception_fp_denorm_src 0
		.amdhsa_exception_fp_ieee_div_zero 0
		.amdhsa_exception_fp_ieee_overflow 0
		.amdhsa_exception_fp_ieee_underflow 0
		.amdhsa_exception_fp_ieee_inexact 0
		.amdhsa_exception_int_div_zero 0
	.end_amdhsa_kernel
	.section	.text._ZN2at6native12_GLOBAL__N_143distribution_elementwise_grid_stride_kernelImLi2EZZZNS0_9templates4cuda21random_from_to_kernelIPNS_17CUDAGeneratorImplEEEvRNS_18TensorIteratorBaseEmlT_ENKUlvE_clEvENKUlvE11_clEvEUlP25hiprandStatePhilox4_32_10E_ZNS1_27distribution_nullary_kernelImm15HIP_vector_typeIyLj2EES7_SF_ZZZNS5_IS7_EEvS9_mlSA_ENKSB_clEvENKSC_clEvEUlmE_EEvS9_T2_RKT3_T4_EUlimE0_EEvlNS_15PhiloxCudaStateET1_SK_,"axG",@progbits,_ZN2at6native12_GLOBAL__N_143distribution_elementwise_grid_stride_kernelImLi2EZZZNS0_9templates4cuda21random_from_to_kernelIPNS_17CUDAGeneratorImplEEEvRNS_18TensorIteratorBaseEmlT_ENKUlvE_clEvENKUlvE11_clEvEUlP25hiprandStatePhilox4_32_10E_ZNS1_27distribution_nullary_kernelImm15HIP_vector_typeIyLj2EES7_SF_ZZZNS5_IS7_EEvS9_mlSA_ENKSB_clEvENKSC_clEvEUlmE_EEvS9_T2_RKT3_T4_EUlimE0_EEvlNS_15PhiloxCudaStateET1_SK_,comdat
.Lfunc_end49:
	.size	_ZN2at6native12_GLOBAL__N_143distribution_elementwise_grid_stride_kernelImLi2EZZZNS0_9templates4cuda21random_from_to_kernelIPNS_17CUDAGeneratorImplEEEvRNS_18TensorIteratorBaseEmlT_ENKUlvE_clEvENKUlvE11_clEvEUlP25hiprandStatePhilox4_32_10E_ZNS1_27distribution_nullary_kernelImm15HIP_vector_typeIyLj2EES7_SF_ZZZNS5_IS7_EEvS9_mlSA_ENKSB_clEvENKSC_clEvEUlmE_EEvS9_T2_RKT3_T4_EUlimE0_EEvlNS_15PhiloxCudaStateET1_SK_, .Lfunc_end49-_ZN2at6native12_GLOBAL__N_143distribution_elementwise_grid_stride_kernelImLi2EZZZNS0_9templates4cuda21random_from_to_kernelIPNS_17CUDAGeneratorImplEEEvRNS_18TensorIteratorBaseEmlT_ENKUlvE_clEvENKUlvE11_clEvEUlP25hiprandStatePhilox4_32_10E_ZNS1_27distribution_nullary_kernelImm15HIP_vector_typeIyLj2EES7_SF_ZZZNS5_IS7_EEvS9_mlSA_ENKSB_clEvENKSC_clEvEUlmE_EEvS9_T2_RKT3_T4_EUlimE0_EEvlNS_15PhiloxCudaStateET1_SK_
                                        ; -- End function
	.section	.AMDGPU.csdata,"",@progbits
; Kernel info:
; codeLenInByte = 4680
; NumSgprs: 71
; NumVgprs: 46
; NumAgprs: 0
; TotalNumVgprs: 46
; ScratchSize: 0
; MemoryBound: 0
; FloatMode: 240
; IeeeMode: 1
; LDSByteSize: 0 bytes/workgroup (compile time only)
; SGPRBlocks: 8
; VGPRBlocks: 5
; NumSGPRsForWavesPerEU: 71
; NumVGPRsForWavesPerEU: 46
; AccumOffset: 48
; Occupancy: 8
; WaveLimiterHint : 1
; COMPUTE_PGM_RSRC2:SCRATCH_EN: 0
; COMPUTE_PGM_RSRC2:USER_SGPR: 6
; COMPUTE_PGM_RSRC2:TRAP_HANDLER: 0
; COMPUTE_PGM_RSRC2:TGID_X_EN: 1
; COMPUTE_PGM_RSRC2:TGID_Y_EN: 0
; COMPUTE_PGM_RSRC2:TGID_Z_EN: 0
; COMPUTE_PGM_RSRC2:TIDIG_COMP_CNT: 0
; COMPUTE_PGM_RSRC3_GFX90A:ACCUM_OFFSET: 11
; COMPUTE_PGM_RSRC3_GFX90A:TG_SPLIT: 0
	.section	.text._ZN2at6native12_GLOBAL__N_143distribution_elementwise_grid_stride_kernelIjLi4EZZZNS0_9templates4cuda21random_from_to_kernelIPNS_17CUDAGeneratorImplEEEvRNS_18TensorIteratorBaseEmlT_ENKUlvE_clEvENKUlvE11_clEvEUlP25hiprandStatePhilox4_32_10E0_ZNS1_27distribution_nullary_kernelImj15HIP_vector_typeIjLj4EES7_SF_ZZZNS5_IS7_EEvS9_mlSA_ENKSB_clEvENKSC_clEvEUljE_EEvS9_T2_RKT3_T4_EUlijE_EEvlNS_15PhiloxCudaStateET1_SK_,"axG",@progbits,_ZN2at6native12_GLOBAL__N_143distribution_elementwise_grid_stride_kernelIjLi4EZZZNS0_9templates4cuda21random_from_to_kernelIPNS_17CUDAGeneratorImplEEEvRNS_18TensorIteratorBaseEmlT_ENKUlvE_clEvENKUlvE11_clEvEUlP25hiprandStatePhilox4_32_10E0_ZNS1_27distribution_nullary_kernelImj15HIP_vector_typeIjLj4EES7_SF_ZZZNS5_IS7_EEvS9_mlSA_ENKSB_clEvENKSC_clEvEUljE_EEvS9_T2_RKT3_T4_EUlijE_EEvlNS_15PhiloxCudaStateET1_SK_,comdat
	.globl	_ZN2at6native12_GLOBAL__N_143distribution_elementwise_grid_stride_kernelIjLi4EZZZNS0_9templates4cuda21random_from_to_kernelIPNS_17CUDAGeneratorImplEEEvRNS_18TensorIteratorBaseEmlT_ENKUlvE_clEvENKUlvE11_clEvEUlP25hiprandStatePhilox4_32_10E0_ZNS1_27distribution_nullary_kernelImj15HIP_vector_typeIjLj4EES7_SF_ZZZNS5_IS7_EEvS9_mlSA_ENKSB_clEvENKSC_clEvEUljE_EEvS9_T2_RKT3_T4_EUlijE_EEvlNS_15PhiloxCudaStateET1_SK_ ; -- Begin function _ZN2at6native12_GLOBAL__N_143distribution_elementwise_grid_stride_kernelIjLi4EZZZNS0_9templates4cuda21random_from_to_kernelIPNS_17CUDAGeneratorImplEEEvRNS_18TensorIteratorBaseEmlT_ENKUlvE_clEvENKUlvE11_clEvEUlP25hiprandStatePhilox4_32_10E0_ZNS1_27distribution_nullary_kernelImj15HIP_vector_typeIjLj4EES7_SF_ZZZNS5_IS7_EEvS9_mlSA_ENKSB_clEvENKSC_clEvEUljE_EEvS9_T2_RKT3_T4_EUlijE_EEvlNS_15PhiloxCudaStateET1_SK_
	.p2align	8
	.type	_ZN2at6native12_GLOBAL__N_143distribution_elementwise_grid_stride_kernelIjLi4EZZZNS0_9templates4cuda21random_from_to_kernelIPNS_17CUDAGeneratorImplEEEvRNS_18TensorIteratorBaseEmlT_ENKUlvE_clEvENKUlvE11_clEvEUlP25hiprandStatePhilox4_32_10E0_ZNS1_27distribution_nullary_kernelImj15HIP_vector_typeIjLj4EES7_SF_ZZZNS5_IS7_EEvS9_mlSA_ENKSB_clEvENKSC_clEvEUljE_EEvS9_T2_RKT3_T4_EUlijE_EEvlNS_15PhiloxCudaStateET1_SK_,@function
_ZN2at6native12_GLOBAL__N_143distribution_elementwise_grid_stride_kernelIjLi4EZZZNS0_9templates4cuda21random_from_to_kernelIPNS_17CUDAGeneratorImplEEEvRNS_18TensorIteratorBaseEmlT_ENKUlvE_clEvENKUlvE11_clEvEUlP25hiprandStatePhilox4_32_10E0_ZNS1_27distribution_nullary_kernelImj15HIP_vector_typeIjLj4EES7_SF_ZZZNS5_IS7_EEvS9_mlSA_ENKSB_clEvENKSC_clEvEUljE_EEvS9_T2_RKT3_T4_EUlijE_EEvlNS_15PhiloxCudaStateET1_SK_: ; @_ZN2at6native12_GLOBAL__N_143distribution_elementwise_grid_stride_kernelIjLi4EZZZNS0_9templates4cuda21random_from_to_kernelIPNS_17CUDAGeneratorImplEEEvRNS_18TensorIteratorBaseEmlT_ENKUlvE_clEvENKUlvE11_clEvEUlP25hiprandStatePhilox4_32_10E0_ZNS1_27distribution_nullary_kernelImj15HIP_vector_typeIjLj4EES7_SF_ZZZNS5_IS7_EEvS9_mlSA_ENKSB_clEvENKSC_clEvEUljE_EEvS9_T2_RKT3_T4_EUlijE_EEvlNS_15PhiloxCudaStateET1_SK_
; %bb.0:
	s_load_dword s7, s[4:5], 0x20
	s_load_dwordx2 s[10:11], s[4:5], 0x10
	s_load_dwordx4 s[0:3], s[4:5], 0x0
	s_mov_b32 s8, 0
	s_waitcnt lgkmcnt(0)
	s_bitcmp0_b32 s7, 0
	v_pk_mov_b32 v[2:3], s[10:11], s[10:11] op_sel:[0,1]
	v_pk_mov_b32 v[14:15], s[2:3], s[2:3] op_sel:[0,1]
	s_cbranch_scc1 .LBB50_2
; %bb.1:
	v_pk_mov_b32 v[2:3], s[10:11], s[10:11] op_sel:[0,1]
	flat_load_dwordx2 v[2:3], v[2:3]
	v_pk_mov_b32 v[4:5], s[2:3], s[2:3] op_sel:[0,1]
	flat_load_dwordx2 v[14:15], v[4:5]
	s_load_dwordx2 s[2:3], s[4:5], 0x18
	s_waitcnt lgkmcnt(0)
	v_mov_b32_e32 v1, s3
	s_waitcnt vmcnt(0)
	v_add_co_u32_e32 v2, vcc, s2, v2
	v_addc_co_u32_e32 v3, vcc, v3, v1, vcc
.LBB50_2:
	s_load_dword s2, s[4:5], 0x5c
	s_load_dword s14, s[4:5], 0x50
	s_waitcnt lgkmcnt(0)
	s_and_b32 s7, s2, 0xffff
	s_add_u32 s10, s0, -1
	s_mul_i32 s16, s14, s7
	s_addc_u32 s9, s1, -1
	s_lshl_b32 s17, s16, 2
	s_cmp_lg_u64 s[8:9], 0
	s_mov_b64 s[2:3], -1
	s_cbranch_scc0 .LBB50_35
; %bb.3:
	v_cvt_f32_u32_e32 v1, s17
	v_cvt_f32_ubyte0_e32 v4, 0
	s_sub_u32 s8, 0, s17
	s_subb_u32 s11, 0, 0
	v_madmk_f32 v1, v4, 0x4f800000, v1
	v_rcp_f32_e32 v1, v1
	v_mul_f32_e32 v1, 0x5f7ffffc, v1
	v_mul_f32_e32 v4, 0x2f800000, v1
	v_trunc_f32_e32 v4, v4
	v_madmk_f32 v1, v4, 0xcf800000, v1
	v_cvt_u32_f32_e32 v4, v4
	v_cvt_u32_f32_e32 v1, v1
	v_readfirstlane_b32 s12, v4
	v_readfirstlane_b32 s13, v1
	s_mul_i32 s15, s8, s12
	s_mul_hi_u32 s19, s8, s13
	s_mul_i32 s18, s11, s13
	s_add_i32 s15, s19, s15
	s_add_i32 s15, s15, s18
	s_mul_i32 s20, s8, s13
	s_mul_hi_u32 s18, s13, s15
	s_mul_i32 s19, s13, s15
	s_mul_hi_u32 s13, s13, s20
	s_add_u32 s13, s13, s19
	s_addc_u32 s18, 0, s18
	s_mul_hi_u32 s21, s12, s20
	s_mul_i32 s20, s12, s20
	s_add_u32 s13, s13, s20
	s_mul_hi_u32 s19, s12, s15
	s_addc_u32 s13, s18, s21
	s_addc_u32 s18, s19, 0
	s_mul_i32 s15, s12, s15
	s_add_u32 s13, s13, s15
	s_addc_u32 s15, 0, s18
	v_add_co_u32_e32 v1, vcc, s13, v1
	s_cmp_lg_u64 vcc, 0
	s_addc_u32 s12, s12, s15
	v_readfirstlane_b32 s15, v1
	s_mul_i32 s13, s8, s12
	s_mul_hi_u32 s18, s8, s15
	s_add_i32 s13, s18, s13
	s_mul_i32 s11, s11, s15
	s_add_i32 s13, s13, s11
	s_mul_i32 s8, s8, s15
	s_mul_hi_u32 s18, s12, s8
	s_mul_i32 s19, s12, s8
	s_mul_i32 s21, s15, s13
	s_mul_hi_u32 s8, s15, s8
	s_mul_hi_u32 s20, s15, s13
	s_add_u32 s8, s8, s21
	s_addc_u32 s15, 0, s20
	s_add_u32 s8, s8, s19
	s_mul_hi_u32 s11, s12, s13
	s_addc_u32 s8, s15, s18
	s_addc_u32 s11, s11, 0
	s_mul_i32 s13, s12, s13
	s_add_u32 s8, s8, s13
	s_addc_u32 s11, 0, s11
	v_add_co_u32_e32 v1, vcc, s8, v1
	s_cmp_lg_u64 vcc, 0
	s_addc_u32 s11, s12, s11
	s_ashr_i32 s12, s9, 31
	s_add_u32 s8, s10, s12
	s_mov_b32 s13, s12
	s_addc_u32 s9, s9, s12
	s_xor_b64 s[8:9], s[8:9], s[12:13]
	v_readfirstlane_b32 s19, v1
	s_mul_i32 s18, s8, s11
	s_mul_hi_u32 s20, s8, s19
	s_mul_hi_u32 s15, s8, s11
	s_add_u32 s18, s20, s18
	s_addc_u32 s15, 0, s15
	s_mul_hi_u32 s21, s9, s19
	s_mul_i32 s19, s9, s19
	s_add_u32 s18, s18, s19
	s_mul_hi_u32 s20, s9, s11
	s_addc_u32 s15, s15, s21
	s_addc_u32 s18, s20, 0
	s_mul_i32 s11, s9, s11
	s_add_u32 s11, s15, s11
	s_addc_u32 s15, 0, s18
	s_add_u32 s18, s11, 1
	s_addc_u32 s19, s15, 0
	s_add_u32 s20, s11, 2
	s_mul_i32 s22, s17, s15
	s_mul_hi_u32 s23, s17, s11
	s_addc_u32 s21, s15, 0
	s_add_i32 s23, s23, s22
	s_mul_i32 s22, s17, s11
	v_mov_b32_e32 v1, s22
	v_sub_co_u32_e32 v1, vcc, s8, v1
	s_cmp_lg_u64 vcc, 0
	s_subb_u32 s8, s9, s23
	v_subrev_co_u32_e32 v4, vcc, s17, v1
	s_cmp_lg_u64 vcc, 0
	s_subb_u32 s9, s8, 0
	v_readfirstlane_b32 s22, v4
	s_cmp_ge_u32 s22, s17
	s_cselect_b32 s22, -1, 0
	s_cmp_eq_u32 s9, 0
	s_cselect_b32 s9, s22, -1
	s_cmp_lg_u32 s9, 0
	s_cselect_b32 s9, s21, s19
	v_readfirstlane_b32 s19, v1
	s_cselect_b32 s18, s20, s18
	s_cmp_ge_u32 s19, s17
	s_cselect_b32 s19, -1, 0
	s_cmp_eq_u32 s8, 0
	s_cselect_b32 s8, s19, -1
	s_cmp_lg_u32 s8, 0
	s_cselect_b32 s9, s9, s15
	s_cselect_b32 s8, s18, s11
	s_xor_b64 s[8:9], s[8:9], s[12:13]
	s_sub_u32 s8, s8, s12
	s_subb_u32 s9, s9, s12
	s_cbranch_execnz .LBB50_5
.LBB50_4:
	v_cvt_f32_u32_e32 v1, s17
	s_sub_i32 s2, 0, s17
	s_mov_b32 s9, 0
	v_rcp_iflag_f32_e32 v1, v1
	v_mul_f32_e32 v1, 0x4f7ffffe, v1
	v_cvt_u32_f32_e32 v1, v1
	v_readfirstlane_b32 s3, v1
	s_mul_i32 s2, s2, s3
	s_mul_hi_u32 s2, s3, s2
	s_add_i32 s3, s3, s2
	s_mul_hi_u32 s2, s10, s3
	s_mul_i32 s8, s2, s17
	s_sub_i32 s8, s10, s8
	s_add_i32 s3, s2, 1
	s_sub_i32 s10, s8, s17
	s_cmp_ge_u32 s8, s17
	s_cselect_b32 s2, s3, s2
	s_cselect_b32 s8, s10, s8
	s_add_i32 s3, s2, 1
	s_cmp_ge_u32 s8, s17
	s_cselect_b32 s8, s3, s2
.LBB50_5:
	v_mov_b32_e32 v1, 0
	v_mov_b32_e32 v4, s6
	v_mad_u64_u32 v[16:17], s[2:3], s7, v4, v[0:1]
	s_add_u32 s2, s8, 1
	s_addc_u32 s3, s9, 0
	s_mul_hi_u32 s8, s14, s7
	s_mul_i32 s3, s16, s3
	s_mul_hi_u32 s9, s16, s2
	s_add_i32 s3, s9, s3
	s_mul_i32 s8, s8, s2
	s_add_i32 s3, s3, s8
	s_mul_i32 s2, s16, s2
	s_lshl_b64 s[2:3], s[2:3], 2
	v_cmp_gt_i64_e32 vcc, s[2:3], v[16:17]
	s_and_saveexec_b64 s[8:9], vcc
	s_cbranch_execz .LBB50_34
; %bb.6:
	s_load_dwordx2 s[12:13], s[4:5], 0x30
	s_load_dword s15, s[4:5], 0x38
	s_load_dwordx4 s[8:11], s[4:5], 0x40
	v_mov_b32_e32 v4, v15
	s_mov_b32 s4, 0xdb3d7428
	v_add_co_u32_e32 v23, vcc, s4, v4
	s_mov_b32 s4, 0x5384540f
	v_add_co_u32_e32 v24, vcc, s4, v14
	;; [unrolled: 2-line block ×7, first 2 shown]
	s_mov_b32 s4, 0x9e3779b9
	v_alignbit_b32 v31, v3, v2, 2
	s_mov_b32 s19, 0xd2511f53
	v_add_co_u32_e32 v30, vcc, s4, v14
	v_mad_u64_u32 v[6:7], s[4:5], v31, s19, 0
	v_and_b32_e32 v20, 3, v2
	v_xor_b32_e32 v2, v7, v15
	v_xor_b32_e32 v2, v2, v17
	s_mov_b32 s20, 0xcd9e8d57
	v_mad_u64_u32 v[8:9], s[4:5], v2, s20, 0
	v_xor_b32_e32 v2, v30, v9
	v_mad_u64_u32 v[10:11], s[4:5], v16, s20, 0
	v_xor_b32_e32 v2, v2, v10
	;; [unrolled: 2-line block ×3, first 2 shown]
	v_lshrrev_b32_e32 v32, 2, v3
	v_xor_b32_e32 v2, v2, v32
	v_xor_b32_e32 v5, v29, v13
	v_mad_u64_u32 v[2:3], s[4:5], v2, s19, 0
	v_xor_b32_e32 v2, v5, v2
	v_mad_u64_u32 v[10:11], s[4:5], v2, s20, 0
	s_mov_b32 s4, 0xbb67ae85
	v_add_co_u32_e32 v33, vcc, s4, v4
	v_xor_b32_e32 v2, v33, v3
	v_xor_b32_e32 v2, v2, v6
	v_xor_b32_e32 v5, v28, v11
	v_mad_u64_u32 v[2:3], s[4:5], v2, s20, 0
	v_xor_b32_e32 v2, v5, v2
	v_mad_u64_u32 v[6:7], s[4:5], v2, s19, 0
	s_mov_b32 s4, 0x3c6ef372
	v_add_co_u32_e32 v34, vcc, s4, v14
	v_xor_b32_e32 v2, v34, v3
	;; [unrolled: 8-line block ×7, first 2 shown]
	v_xor_b32_e32 v2, v2, v12
	v_mad_u64_u32 v[2:3], s[4:5], v2, s20, 0
	s_mov_b32 s4, 0xf1bbcdc8
	v_add_co_u32_e32 v40, vcc, s4, v14
	v_xor_b32_e32 v3, v40, v3
	v_xor_b32_e32 v3, v3, v10
	v_mad_u64_u32 v[10:11], s[4:5], v3, s19, 0
	s_mul_i32 s4, s6, s7
	v_xor_b32_e32 v3, v11, v6
	v_add_u32_e32 v6, s4, v0
	s_waitcnt lgkmcnt(0)
	s_mul_i32 s4, s14, s15
	s_mul_i32 s4, s4, s7
	s_lshl_b32 s25, s4, 2
	s_mul_i32 s4, s14, 3
	s_add_i32 s4, s6, s4
	s_mul_i32 s4, s4, s7
	v_mul_lo_u32 v41, s15, v6
	v_add_u32_e32 v6, s4, v0
	s_lshl_b32 s4, s14, 1
	s_add_i32 s4, s6, s4
	s_mul_i32 s4, s4, s7
	v_mul_lo_u32 v42, s15, v6
	v_add_u32_e32 v6, s4, v0
	s_add_i32 s4, s6, s14
	s_mul_i32 s4, s4, s7
	s_mov_b32 s18, 0
	v_add_u32_e32 v21, 0x8ff34781, v14
	v_add_u32_e32 v22, 0x96a522ad, v15
	v_xor_b32_e32 v2, v9, v2
	v_add_u32_e32 v0, s4, v0
	v_xor_b32_e32 v2, v21, v2
	v_xor_b32_e32 v4, v22, v3
	v_mov_b32_e32 v3, v8
	v_mov_b32_e32 v5, v10
	s_lshl_b32 s21, s16, 1
	s_mov_b32 s22, s18
	s_mul_i32 s23, s16, 3
	s_mov_b32 s24, s18
	v_mul_lo_u32 v43, s15, v6
	v_mul_lo_u32 v44, s15, v0
	s_mov_b64 s[4:5], 0
	s_mov_b32 s26, s18
	v_mov_b32_e32 v45, v16
	v_mov_b32_e32 v46, v17
	s_branch .LBB50_9
.LBB50_7:                               ;   in Loop: Header=BB50_9 Depth=1
	s_or_b64 exec, exec, s[14:15]
	v_add_u32_e32 v2, s26, v42
	v_ashrrev_i32_e32 v3, 31, v2
	v_mov_b32_e32 v4, s13
	v_add_co_u32_e32 v2, vcc, s12, v2
	v_addc_co_u32_e32 v3, vcc, v4, v3, vcc
	v_mov_b32_e32 v5, s11
	v_add_co_u32_e32 v4, vcc, s10, v0
	v_addc_co_u32_e32 v5, vcc, v1, v5, vcc
	global_store_dwordx2 v[2:3], v[4:5], off
.LBB50_8:                               ;   in Loop: Header=BB50_9 Depth=1
	s_or_b64 exec, exec, s[6:7]
	v_add_co_u32_e32 v16, vcc, s17, v16
	v_addc_co_u32_e32 v17, vcc, 0, v17, vcc
	v_mov_b32_e32 v9, v18
	s_add_i32 s26, s26, s25
	v_cmp_le_i64_e32 vcc, s[2:3], v[16:17]
	v_pk_mov_b32 v[2:3], v[6:7], v[6:7] op_sel:[0,1]
	s_or_b64 s[4:5], vcc, s[4:5]
	v_pk_mov_b32 v[4:5], v[8:9], v[8:9] op_sel:[0,1]
	s_barrier
	s_andn2_b64 exec, exec, s[4:5]
	s_cbranch_execz .LBB50_34
.LBB50_9:                               ; =>This Inner Loop Header: Depth=1
	v_add_co_u32_e32 v31, vcc, 1, v31
	v_cndmask_b32_e64 v0, 0, 1, vcc
	v_addc_co_u32_e32 v32, vcc, 0, v32, vcc
	v_cmp_eq_u32_e32 vcc, 0, v32
	v_cndmask_b32_e32 v0, 0, v0, vcc
	v_add_u32_e32 v45, v0, v45
	v_cmp_eq_u32_e32 vcc, 0, v45
	v_cndmask_b32_e32 v0, 0, v0, vcc
	v_mad_u64_u32 v[6:7], s[6:7], v31, s19, 0
	v_mad_u64_u32 v[8:9], s[6:7], v45, s20, 0
	v_add_u32_e32 v46, v0, v46
	v_xor_b32_e32 v0, v9, v14
	v_xor_b32_e32 v7, v7, v15
	v_xor_b32_e32 v0, v32, v0
	v_xor_b32_e32 v7, v46, v7
	v_mad_u64_u32 v[10:11], s[6:7], v0, s19, 0
	v_mad_u64_u32 v[12:13], s[6:7], v7, s20, 0
	v_xor_b32_e32 v0, v30, v13
	v_xor_b32_e32 v7, v33, v11
	v_xor_b32_e32 v0, v0, v8
	v_xor_b32_e32 v8, v7, v6
	v_mad_u64_u32 v[6:7], s[6:7], v0, s19, 0
	v_mad_u64_u32 v[8:9], s[6:7], v8, s20, 0
	;; [unrolled: 6-line block ×9, first 2 shown]
	v_xor_b32_e32 v0, v13, v6
	v_xor_b32_e32 v6, v21, v0
	;; [unrolled: 1-line block ×4, first 2 shown]
	v_mov_b32_e32 v7, v12
	v_mov_b32_e32 v8, v13
	v_cmp_lt_i32_e32 vcc, 1, v20
	s_and_saveexec_b64 s[6:7], vcc
	s_xor_b64 s[6:7], exec, s[6:7]
	s_cbranch_execnz .LBB50_12
; %bb.10:                               ;   in Loop: Header=BB50_9 Depth=1
	s_andn2_saveexec_b64 s[6:7], s[6:7]
	s_cbranch_execnz .LBB50_17
.LBB50_11:                              ;   in Loop: Header=BB50_9 Depth=1
	s_or_b64 exec, exec, s[6:7]
	v_cmp_gt_i64_e32 vcc, s[0:1], v[16:17]
	s_and_saveexec_b64 s[6:7], vcc
	s_cbranch_execnz .LBB50_20
	s_branch .LBB50_23
.LBB50_12:                              ;   in Loop: Header=BB50_9 Depth=1
	v_cmp_lt_i32_e32 vcc, 2, v20
	s_and_saveexec_b64 s[14:15], vcc
	s_xor_b64 s[14:15], exec, s[14:15]
; %bb.13:                               ;   in Loop: Header=BB50_9 Depth=1
	v_mov_b32_e32 v10, v5
	v_mov_b32_e32 v11, v6
	v_pk_mov_b32 v[2:3], v[10:11], v[10:11] op_sel:[0,1]
	v_pk_mov_b32 v[4:5], v[12:13], v[12:13] op_sel:[0,1]
                                        ; implicit-def: $vgpr12_vgpr13
; %bb.14:                               ;   in Loop: Header=BB50_9 Depth=1
	s_andn2_saveexec_b64 s[14:15], s[14:15]
; %bb.15:                               ;   in Loop: Header=BB50_9 Depth=1
	v_mov_b32_e32 v2, v4
	v_mov_b32_e32 v3, v5
	;; [unrolled: 1-line block ×4, first 2 shown]
; %bb.16:                               ;   in Loop: Header=BB50_9 Depth=1
	s_or_b64 exec, exec, s[14:15]
	s_andn2_saveexec_b64 s[6:7], s[6:7]
	s_cbranch_execz .LBB50_11
.LBB50_17:                              ;   in Loop: Header=BB50_9 Depth=1
	v_cmp_eq_u32_e32 vcc, 1, v20
	s_and_saveexec_b64 s[14:15], vcc
; %bb.18:                               ;   in Loop: Header=BB50_9 Depth=1
	v_mov_b32_e32 v2, v3
	v_mov_b32_e32 v3, v4
	;; [unrolled: 1-line block ×4, first 2 shown]
; %bb.19:                               ;   in Loop: Header=BB50_9 Depth=1
	s_or_b64 exec, exec, s[14:15]
	s_or_b64 exec, exec, s[6:7]
	v_cmp_gt_i64_e32 vcc, s[0:1], v[16:17]
	s_and_saveexec_b64 s[6:7], vcc
	s_cbranch_execz .LBB50_23
.LBB50_20:                              ;   in Loop: Header=BB50_9 Depth=1
	v_mov_b32_e32 v0, v2
	v_cmp_le_u64_e32 vcc, s[8:9], v[0:1]
	s_and_saveexec_b64 s[14:15], vcc
	s_cbranch_execz .LBB50_22
; %bb.21:                               ;   in Loop: Header=BB50_9 Depth=1
	v_cvt_f32_u32_e32 v2, s8
	s_sub_i32 s27, 0, s8
	v_rcp_iflag_f32_e32 v2, v2
	v_mul_f32_e32 v2, 0x4f7ffffe, v2
	v_cvt_u32_f32_e32 v2, v2
	v_mul_lo_u32 v9, s27, v2
	v_mul_hi_u32 v9, v2, v9
	v_add_u32_e32 v2, v2, v9
	v_mul_hi_u32 v2, v0, v2
	v_mul_lo_u32 v2, v2, s8
	v_sub_u32_e32 v0, v0, v2
	v_subrev_u32_e32 v2, s8, v0
	v_cmp_le_u32_e32 vcc, s8, v0
	v_cndmask_b32_e32 v0, v0, v2, vcc
	v_subrev_u32_e32 v2, s8, v0
	v_cmp_le_u32_e32 vcc, s8, v0
	v_cndmask_b32_e32 v0, v0, v2, vcc
.LBB50_22:                              ;   in Loop: Header=BB50_9 Depth=1
	s_or_b64 exec, exec, s[14:15]
	v_add_u32_e32 v2, s26, v41
	v_ashrrev_i32_e32 v9, 31, v2
	v_mov_b32_e32 v11, s13
	v_add_co_u32_e32 v10, vcc, s12, v2
	v_addc_co_u32_e32 v11, vcc, v11, v9, vcc
	v_mov_b32_e32 v2, s11
	v_add_co_u32_e32 v12, vcc, s10, v0
	v_addc_co_u32_e32 v13, vcc, v1, v2, vcc
	global_store_dwordx2 v[10:11], v[12:13], off
.LBB50_23:                              ;   in Loop: Header=BB50_9 Depth=1
	s_or_b64 exec, exec, s[6:7]
	v_mov_b32_e32 v0, s18
	v_add_co_u32_e32 v10, vcc, s16, v16
	v_addc_co_u32_e32 v11, vcc, v0, v17, vcc
	v_cmp_gt_i64_e32 vcc, s[0:1], v[10:11]
	s_and_saveexec_b64 s[6:7], vcc
	s_cbranch_execz .LBB50_27
; %bb.24:                               ;   in Loop: Header=BB50_9 Depth=1
	v_mov_b32_e32 v0, v3
	v_cmp_le_u64_e32 vcc, s[8:9], v[0:1]
	s_and_saveexec_b64 s[14:15], vcc
	s_cbranch_execz .LBB50_26
; %bb.25:                               ;   in Loop: Header=BB50_9 Depth=1
	v_cvt_f32_u32_e32 v2, s8
	s_sub_i32 s27, 0, s8
	v_rcp_iflag_f32_e32 v2, v2
	v_mul_f32_e32 v2, 0x4f7ffffe, v2
	v_cvt_u32_f32_e32 v2, v2
	v_mul_lo_u32 v3, s27, v2
	v_mul_hi_u32 v3, v2, v3
	v_add_u32_e32 v2, v2, v3
	v_mul_hi_u32 v2, v0, v2
	v_mul_lo_u32 v2, v2, s8
	v_sub_u32_e32 v0, v0, v2
	v_subrev_u32_e32 v2, s8, v0
	v_cmp_le_u32_e32 vcc, s8, v0
	v_cndmask_b32_e32 v0, v0, v2, vcc
	v_subrev_u32_e32 v2, s8, v0
	v_cmp_le_u32_e32 vcc, s8, v0
	v_cndmask_b32_e32 v0, v0, v2, vcc
.LBB50_26:                              ;   in Loop: Header=BB50_9 Depth=1
	s_or_b64 exec, exec, s[14:15]
	v_add_u32_e32 v2, s26, v44
	v_ashrrev_i32_e32 v3, 31, v2
	v_mov_b32_e32 v9, s13
	v_add_co_u32_e32 v2, vcc, s12, v2
	v_addc_co_u32_e32 v3, vcc, v9, v3, vcc
	v_mov_b32_e32 v9, s11
	v_add_co_u32_e32 v10, vcc, s10, v0
	v_addc_co_u32_e32 v11, vcc, v1, v9, vcc
	global_store_dwordx2 v[2:3], v[10:11], off
.LBB50_27:                              ;   in Loop: Header=BB50_9 Depth=1
	s_or_b64 exec, exec, s[6:7]
	v_mov_b32_e32 v0, s22
	v_add_co_u32_e32 v2, vcc, s21, v16
	v_addc_co_u32_e32 v3, vcc, v0, v17, vcc
	v_cmp_gt_i64_e32 vcc, s[0:1], v[2:3]
	s_and_saveexec_b64 s[6:7], vcc
	s_cbranch_execz .LBB50_31
; %bb.28:                               ;   in Loop: Header=BB50_9 Depth=1
	v_mov_b32_e32 v0, v4
	v_cmp_le_u64_e32 vcc, s[8:9], v[0:1]
	s_and_saveexec_b64 s[14:15], vcc
	s_cbranch_execz .LBB50_30
; %bb.29:                               ;   in Loop: Header=BB50_9 Depth=1
	v_cvt_f32_u32_e32 v2, s8
	s_sub_i32 s27, 0, s8
	v_rcp_iflag_f32_e32 v2, v2
	v_mul_f32_e32 v2, 0x4f7ffffe, v2
	v_cvt_u32_f32_e32 v2, v2
	v_mul_lo_u32 v3, s27, v2
	v_mul_hi_u32 v3, v2, v3
	v_add_u32_e32 v2, v2, v3
	v_mul_hi_u32 v2, v0, v2
	v_mul_lo_u32 v2, v2, s8
	v_sub_u32_e32 v0, v0, v2
	v_subrev_u32_e32 v2, s8, v0
	v_cmp_le_u32_e32 vcc, s8, v0
	v_cndmask_b32_e32 v0, v0, v2, vcc
	v_subrev_u32_e32 v2, s8, v0
	v_cmp_le_u32_e32 vcc, s8, v0
	v_cndmask_b32_e32 v0, v0, v2, vcc
.LBB50_30:                              ;   in Loop: Header=BB50_9 Depth=1
	s_or_b64 exec, exec, s[14:15]
	v_add_u32_e32 v2, s26, v43
	v_ashrrev_i32_e32 v3, 31, v2
	v_mov_b32_e32 v4, s13
	v_add_co_u32_e32 v2, vcc, s12, v2
	v_addc_co_u32_e32 v3, vcc, v4, v3, vcc
	v_mov_b32_e32 v4, s11
	v_add_co_u32_e32 v10, vcc, s10, v0
	v_addc_co_u32_e32 v11, vcc, v1, v4, vcc
	global_store_dwordx2 v[2:3], v[10:11], off
.LBB50_31:                              ;   in Loop: Header=BB50_9 Depth=1
	s_or_b64 exec, exec, s[6:7]
	v_mov_b32_e32 v0, s24
	v_add_co_u32_e32 v2, vcc, s23, v16
	v_addc_co_u32_e32 v3, vcc, v0, v17, vcc
	v_cmp_gt_i64_e32 vcc, s[0:1], v[2:3]
	s_and_saveexec_b64 s[6:7], vcc
	s_cbranch_execz .LBB50_8
; %bb.32:                               ;   in Loop: Header=BB50_9 Depth=1
	v_mov_b32_e32 v0, v5
	v_cmp_le_u64_e32 vcc, s[8:9], v[0:1]
	s_and_saveexec_b64 s[14:15], vcc
	s_cbranch_execz .LBB50_7
; %bb.33:                               ;   in Loop: Header=BB50_9 Depth=1
	v_cvt_f32_u32_e32 v2, s8
	s_sub_i32 s27, 0, s8
	v_rcp_iflag_f32_e32 v2, v2
	v_mul_f32_e32 v2, 0x4f7ffffe, v2
	v_cvt_u32_f32_e32 v2, v2
	v_mul_lo_u32 v3, s27, v2
	v_mul_hi_u32 v3, v2, v3
	v_add_u32_e32 v2, v2, v3
	v_mul_hi_u32 v2, v0, v2
	v_mul_lo_u32 v2, v2, s8
	v_sub_u32_e32 v0, v0, v2
	v_subrev_u32_e32 v2, s8, v0
	v_cmp_le_u32_e32 vcc, s8, v0
	v_cndmask_b32_e32 v0, v0, v2, vcc
	v_subrev_u32_e32 v2, s8, v0
	v_cmp_le_u32_e32 vcc, s8, v0
	v_cndmask_b32_e32 v0, v0, v2, vcc
	s_branch .LBB50_7
.LBB50_34:
	s_endpgm
.LBB50_35:
                                        ; implicit-def: $sgpr8_sgpr9
	s_andn2_b64 vcc, exec, s[2:3]
	s_cbranch_vccz .LBB50_4
	s_branch .LBB50_5
	.section	.rodata,"a",@progbits
	.p2align	6, 0x0
	.amdhsa_kernel _ZN2at6native12_GLOBAL__N_143distribution_elementwise_grid_stride_kernelIjLi4EZZZNS0_9templates4cuda21random_from_to_kernelIPNS_17CUDAGeneratorImplEEEvRNS_18TensorIteratorBaseEmlT_ENKUlvE_clEvENKUlvE11_clEvEUlP25hiprandStatePhilox4_32_10E0_ZNS1_27distribution_nullary_kernelImj15HIP_vector_typeIjLj4EES7_SF_ZZZNS5_IS7_EEvS9_mlSA_ENKSB_clEvENKSC_clEvEUljE_EEvS9_T2_RKT3_T4_EUlijE_EEvlNS_15PhiloxCudaStateET1_SK_
		.amdhsa_group_segment_fixed_size 0
		.amdhsa_private_segment_fixed_size 0
		.amdhsa_kernarg_size 336
		.amdhsa_user_sgpr_count 6
		.amdhsa_user_sgpr_private_segment_buffer 1
		.amdhsa_user_sgpr_dispatch_ptr 0
		.amdhsa_user_sgpr_queue_ptr 0
		.amdhsa_user_sgpr_kernarg_segment_ptr 1
		.amdhsa_user_sgpr_dispatch_id 0
		.amdhsa_user_sgpr_flat_scratch_init 0
		.amdhsa_user_sgpr_kernarg_preload_length 0
		.amdhsa_user_sgpr_kernarg_preload_offset 0
		.amdhsa_user_sgpr_private_segment_size 0
		.amdhsa_uses_dynamic_stack 0
		.amdhsa_system_sgpr_private_segment_wavefront_offset 0
		.amdhsa_system_sgpr_workgroup_id_x 1
		.amdhsa_system_sgpr_workgroup_id_y 0
		.amdhsa_system_sgpr_workgroup_id_z 0
		.amdhsa_system_sgpr_workgroup_info 0
		.amdhsa_system_vgpr_workitem_id 0
		.amdhsa_next_free_vgpr 47
		.amdhsa_next_free_sgpr 28
		.amdhsa_accum_offset 48
		.amdhsa_reserve_vcc 1
		.amdhsa_reserve_flat_scratch 0
		.amdhsa_float_round_mode_32 0
		.amdhsa_float_round_mode_16_64 0
		.amdhsa_float_denorm_mode_32 3
		.amdhsa_float_denorm_mode_16_64 3
		.amdhsa_dx10_clamp 1
		.amdhsa_ieee_mode 1
		.amdhsa_fp16_overflow 0
		.amdhsa_tg_split 0
		.amdhsa_exception_fp_ieee_invalid_op 0
		.amdhsa_exception_fp_denorm_src 0
		.amdhsa_exception_fp_ieee_div_zero 0
		.amdhsa_exception_fp_ieee_overflow 0
		.amdhsa_exception_fp_ieee_underflow 0
		.amdhsa_exception_fp_ieee_inexact 0
		.amdhsa_exception_int_div_zero 0
	.end_amdhsa_kernel
	.section	.text._ZN2at6native12_GLOBAL__N_143distribution_elementwise_grid_stride_kernelIjLi4EZZZNS0_9templates4cuda21random_from_to_kernelIPNS_17CUDAGeneratorImplEEEvRNS_18TensorIteratorBaseEmlT_ENKUlvE_clEvENKUlvE11_clEvEUlP25hiprandStatePhilox4_32_10E0_ZNS1_27distribution_nullary_kernelImj15HIP_vector_typeIjLj4EES7_SF_ZZZNS5_IS7_EEvS9_mlSA_ENKSB_clEvENKSC_clEvEUljE_EEvS9_T2_RKT3_T4_EUlijE_EEvlNS_15PhiloxCudaStateET1_SK_,"axG",@progbits,_ZN2at6native12_GLOBAL__N_143distribution_elementwise_grid_stride_kernelIjLi4EZZZNS0_9templates4cuda21random_from_to_kernelIPNS_17CUDAGeneratorImplEEEvRNS_18TensorIteratorBaseEmlT_ENKUlvE_clEvENKUlvE11_clEvEUlP25hiprandStatePhilox4_32_10E0_ZNS1_27distribution_nullary_kernelImj15HIP_vector_typeIjLj4EES7_SF_ZZZNS5_IS7_EEvS9_mlSA_ENKSB_clEvENKSC_clEvEUljE_EEvS9_T2_RKT3_T4_EUlijE_EEvlNS_15PhiloxCudaStateET1_SK_,comdat
.Lfunc_end50:
	.size	_ZN2at6native12_GLOBAL__N_143distribution_elementwise_grid_stride_kernelIjLi4EZZZNS0_9templates4cuda21random_from_to_kernelIPNS_17CUDAGeneratorImplEEEvRNS_18TensorIteratorBaseEmlT_ENKUlvE_clEvENKUlvE11_clEvEUlP25hiprandStatePhilox4_32_10E0_ZNS1_27distribution_nullary_kernelImj15HIP_vector_typeIjLj4EES7_SF_ZZZNS5_IS7_EEvS9_mlSA_ENKSB_clEvENKSC_clEvEUljE_EEvS9_T2_RKT3_T4_EUlijE_EEvlNS_15PhiloxCudaStateET1_SK_, .Lfunc_end50-_ZN2at6native12_GLOBAL__N_143distribution_elementwise_grid_stride_kernelIjLi4EZZZNS0_9templates4cuda21random_from_to_kernelIPNS_17CUDAGeneratorImplEEEvRNS_18TensorIteratorBaseEmlT_ENKUlvE_clEvENKUlvE11_clEvEUlP25hiprandStatePhilox4_32_10E0_ZNS1_27distribution_nullary_kernelImj15HIP_vector_typeIjLj4EES7_SF_ZZZNS5_IS7_EEvS9_mlSA_ENKSB_clEvENKSC_clEvEUljE_EEvS9_T2_RKT3_T4_EUlijE_EEvlNS_15PhiloxCudaStateET1_SK_
                                        ; -- End function
	.section	.AMDGPU.csdata,"",@progbits
; Kernel info:
; codeLenInByte = 2828
; NumSgprs: 32
; NumVgprs: 47
; NumAgprs: 0
; TotalNumVgprs: 47
; ScratchSize: 0
; MemoryBound: 0
; FloatMode: 240
; IeeeMode: 1
; LDSByteSize: 0 bytes/workgroup (compile time only)
; SGPRBlocks: 3
; VGPRBlocks: 5
; NumSGPRsForWavesPerEU: 32
; NumVGPRsForWavesPerEU: 47
; AccumOffset: 48
; Occupancy: 8
; WaveLimiterHint : 0
; COMPUTE_PGM_RSRC2:SCRATCH_EN: 0
; COMPUTE_PGM_RSRC2:USER_SGPR: 6
; COMPUTE_PGM_RSRC2:TRAP_HANDLER: 0
; COMPUTE_PGM_RSRC2:TGID_X_EN: 1
; COMPUTE_PGM_RSRC2:TGID_Y_EN: 0
; COMPUTE_PGM_RSRC2:TGID_Z_EN: 0
; COMPUTE_PGM_RSRC2:TIDIG_COMP_CNT: 0
; COMPUTE_PGM_RSRC3_GFX90A:ACCUM_OFFSET: 11
; COMPUTE_PGM_RSRC3_GFX90A:TG_SPLIT: 0
	.section	.text._ZN2at6native12_GLOBAL__N_143distribution_elementwise_grid_stride_kernelIjLi4EZZZNS0_9templates4cuda21random_from_to_kernelIPNS_17CUDAGeneratorImplEEEvRNS_18TensorIteratorBaseEmlT_ENKUlvE_clEvENKUlvE11_clEvEUlP25hiprandStatePhilox4_32_10E0_ZNS1_27distribution_nullary_kernelImj15HIP_vector_typeIjLj4EES7_SF_ZZZNS5_IS7_EEvS9_mlSA_ENKSB_clEvENKSC_clEvEUljE_EEvS9_T2_RKT3_T4_EUlijE0_EEvlNS_15PhiloxCudaStateET1_SK_,"axG",@progbits,_ZN2at6native12_GLOBAL__N_143distribution_elementwise_grid_stride_kernelIjLi4EZZZNS0_9templates4cuda21random_from_to_kernelIPNS_17CUDAGeneratorImplEEEvRNS_18TensorIteratorBaseEmlT_ENKUlvE_clEvENKUlvE11_clEvEUlP25hiprandStatePhilox4_32_10E0_ZNS1_27distribution_nullary_kernelImj15HIP_vector_typeIjLj4EES7_SF_ZZZNS5_IS7_EEvS9_mlSA_ENKSB_clEvENKSC_clEvEUljE_EEvS9_T2_RKT3_T4_EUlijE0_EEvlNS_15PhiloxCudaStateET1_SK_,comdat
	.globl	_ZN2at6native12_GLOBAL__N_143distribution_elementwise_grid_stride_kernelIjLi4EZZZNS0_9templates4cuda21random_from_to_kernelIPNS_17CUDAGeneratorImplEEEvRNS_18TensorIteratorBaseEmlT_ENKUlvE_clEvENKUlvE11_clEvEUlP25hiprandStatePhilox4_32_10E0_ZNS1_27distribution_nullary_kernelImj15HIP_vector_typeIjLj4EES7_SF_ZZZNS5_IS7_EEvS9_mlSA_ENKSB_clEvENKSC_clEvEUljE_EEvS9_T2_RKT3_T4_EUlijE0_EEvlNS_15PhiloxCudaStateET1_SK_ ; -- Begin function _ZN2at6native12_GLOBAL__N_143distribution_elementwise_grid_stride_kernelIjLi4EZZZNS0_9templates4cuda21random_from_to_kernelIPNS_17CUDAGeneratorImplEEEvRNS_18TensorIteratorBaseEmlT_ENKUlvE_clEvENKUlvE11_clEvEUlP25hiprandStatePhilox4_32_10E0_ZNS1_27distribution_nullary_kernelImj15HIP_vector_typeIjLj4EES7_SF_ZZZNS5_IS7_EEvS9_mlSA_ENKSB_clEvENKSC_clEvEUljE_EEvS9_T2_RKT3_T4_EUlijE0_EEvlNS_15PhiloxCudaStateET1_SK_
	.p2align	8
	.type	_ZN2at6native12_GLOBAL__N_143distribution_elementwise_grid_stride_kernelIjLi4EZZZNS0_9templates4cuda21random_from_to_kernelIPNS_17CUDAGeneratorImplEEEvRNS_18TensorIteratorBaseEmlT_ENKUlvE_clEvENKUlvE11_clEvEUlP25hiprandStatePhilox4_32_10E0_ZNS1_27distribution_nullary_kernelImj15HIP_vector_typeIjLj4EES7_SF_ZZZNS5_IS7_EEvS9_mlSA_ENKSB_clEvENKSC_clEvEUljE_EEvS9_T2_RKT3_T4_EUlijE0_EEvlNS_15PhiloxCudaStateET1_SK_,@function
_ZN2at6native12_GLOBAL__N_143distribution_elementwise_grid_stride_kernelIjLi4EZZZNS0_9templates4cuda21random_from_to_kernelIPNS_17CUDAGeneratorImplEEEvRNS_18TensorIteratorBaseEmlT_ENKUlvE_clEvENKUlvE11_clEvEUlP25hiprandStatePhilox4_32_10E0_ZNS1_27distribution_nullary_kernelImj15HIP_vector_typeIjLj4EES7_SF_ZZZNS5_IS7_EEvS9_mlSA_ENKSB_clEvENKSC_clEvEUljE_EEvS9_T2_RKT3_T4_EUlijE0_EEvlNS_15PhiloxCudaStateET1_SK_: ; @_ZN2at6native12_GLOBAL__N_143distribution_elementwise_grid_stride_kernelIjLi4EZZZNS0_9templates4cuda21random_from_to_kernelIPNS_17CUDAGeneratorImplEEEvRNS_18TensorIteratorBaseEmlT_ENKUlvE_clEvENKUlvE11_clEvEUlP25hiprandStatePhilox4_32_10E0_ZNS1_27distribution_nullary_kernelImj15HIP_vector_typeIjLj4EES7_SF_ZZZNS5_IS7_EEvS9_mlSA_ENKSB_clEvENKSC_clEvEUljE_EEvS9_T2_RKT3_T4_EUlijE0_EEvlNS_15PhiloxCudaStateET1_SK_
; %bb.0:
	s_load_dword s2, s[4:5], 0x20
	s_load_dwordx2 s[0:1], s[4:5], 0x10
	s_load_dwordx4 s[24:27], s[4:5], 0x0
	s_waitcnt lgkmcnt(0)
	s_bitcmp0_b32 s2, 0
	s_mov_b32 s2, 0
	v_pk_mov_b32 v[2:3], s[0:1], s[0:1] op_sel:[0,1]
	v_pk_mov_b32 v[14:15], s[26:27], s[26:27] op_sel:[0,1]
	s_cbranch_scc1 .LBB51_2
; %bb.1:
	v_pk_mov_b32 v[2:3], s[0:1], s[0:1] op_sel:[0,1]
	flat_load_dwordx2 v[2:3], v[2:3]
	v_pk_mov_b32 v[4:5], s[26:27], s[26:27] op_sel:[0,1]
	flat_load_dwordx2 v[14:15], v[4:5]
	s_load_dwordx2 s[0:1], s[4:5], 0x18
	s_waitcnt lgkmcnt(0)
	v_mov_b32_e32 v1, s1
	s_waitcnt vmcnt(0)
	v_add_co_u32_e32 v2, vcc, s0, v2
	v_addc_co_u32_e32 v3, vcc, v3, v1, vcc
.LBB51_2:
	s_load_dword s0, s[4:5], 0x15c
	s_load_dword s7, s[4:5], 0x150
	s_waitcnt lgkmcnt(0)
	s_and_b32 s8, s0, 0xffff
	s_add_u32 s9, s24, -1
	s_mul_i32 s33, s7, s8
	s_addc_u32 s3, s25, -1
	s_lshl_b32 s62, s33, 2
	s_cmp_lg_u64 s[2:3], 0
	s_mov_b64 s[0:1], -1
	s_cbranch_scc0 .LBB51_91
; %bb.3:
	v_cvt_f32_u32_e32 v1, s62
	v_cvt_f32_ubyte0_e32 v4, 0
	s_sub_u32 s2, 0, s62
	s_subb_u32 s10, 0, 0
	v_madmk_f32 v1, v4, 0x4f800000, v1
	v_rcp_f32_e32 v1, v1
	v_mul_f32_e32 v1, 0x5f7ffffc, v1
	v_mul_f32_e32 v4, 0x2f800000, v1
	v_trunc_f32_e32 v4, v4
	v_madmk_f32 v1, v4, 0xcf800000, v1
	v_cvt_u32_f32_e32 v4, v4
	v_cvt_u32_f32_e32 v1, v1
	v_readfirstlane_b32 s11, v4
	v_readfirstlane_b32 s12, v1
	s_mul_i32 s13, s2, s11
	s_mul_hi_u32 s15, s2, s12
	s_mul_i32 s14, s10, s12
	s_add_i32 s13, s15, s13
	s_add_i32 s13, s13, s14
	s_mul_i32 s16, s2, s12
	s_mul_hi_u32 s14, s12, s13
	s_mul_i32 s15, s12, s13
	s_mul_hi_u32 s12, s12, s16
	s_add_u32 s12, s12, s15
	s_addc_u32 s14, 0, s14
	s_mul_hi_u32 s17, s11, s16
	s_mul_i32 s16, s11, s16
	s_add_u32 s12, s12, s16
	s_mul_hi_u32 s15, s11, s13
	s_addc_u32 s12, s14, s17
	s_addc_u32 s14, s15, 0
	s_mul_i32 s13, s11, s13
	s_add_u32 s12, s12, s13
	s_addc_u32 s13, 0, s14
	v_add_co_u32_e32 v1, vcc, s12, v1
	s_cmp_lg_u64 vcc, 0
	s_addc_u32 s11, s11, s13
	v_readfirstlane_b32 s13, v1
	s_mul_i32 s12, s2, s11
	s_mul_hi_u32 s14, s2, s13
	s_add_i32 s12, s14, s12
	s_mul_i32 s10, s10, s13
	s_add_i32 s12, s12, s10
	s_mul_i32 s2, s2, s13
	s_mul_hi_u32 s14, s11, s2
	s_mul_i32 s15, s11, s2
	s_mul_i32 s17, s13, s12
	s_mul_hi_u32 s2, s13, s2
	s_mul_hi_u32 s16, s13, s12
	s_add_u32 s2, s2, s17
	s_addc_u32 s13, 0, s16
	s_add_u32 s2, s2, s15
	s_mul_hi_u32 s10, s11, s12
	s_addc_u32 s2, s13, s14
	s_addc_u32 s10, s10, 0
	s_mul_i32 s12, s11, s12
	s_add_u32 s2, s2, s12
	s_addc_u32 s10, 0, s10
	v_add_co_u32_e32 v1, vcc, s2, v1
	s_cmp_lg_u64 vcc, 0
	s_addc_u32 s12, s11, s10
	s_ashr_i32 s10, s3, 31
	s_add_u32 s2, s9, s10
	s_mov_b32 s11, s10
	s_addc_u32 s3, s3, s10
	s_xor_b64 s[2:3], s[2:3], s[10:11]
	v_readfirstlane_b32 s15, v1
	s_mul_i32 s14, s2, s12
	s_mul_hi_u32 s16, s2, s15
	s_mul_hi_u32 s13, s2, s12
	s_add_u32 s14, s16, s14
	s_addc_u32 s13, 0, s13
	s_mul_hi_u32 s17, s3, s15
	s_mul_i32 s15, s3, s15
	s_add_u32 s14, s14, s15
	s_mul_hi_u32 s16, s3, s12
	s_addc_u32 s13, s13, s17
	s_addc_u32 s14, s16, 0
	s_mul_i32 s12, s3, s12
	s_add_u32 s12, s13, s12
	s_addc_u32 s13, 0, s14
	s_add_u32 s14, s12, 1
	s_addc_u32 s15, s13, 0
	s_add_u32 s16, s12, 2
	s_mul_i32 s18, s62, s13
	s_mul_hi_u32 s19, s62, s12
	s_addc_u32 s17, s13, 0
	s_add_i32 s19, s19, s18
	s_mul_i32 s18, s62, s12
	v_mov_b32_e32 v1, s18
	v_sub_co_u32_e32 v1, vcc, s2, v1
	s_cmp_lg_u64 vcc, 0
	s_subb_u32 s2, s3, s19
	v_subrev_co_u32_e32 v4, vcc, s62, v1
	s_cmp_lg_u64 vcc, 0
	s_subb_u32 s3, s2, 0
	v_readfirstlane_b32 s18, v4
	s_cmp_ge_u32 s18, s62
	s_cselect_b32 s18, -1, 0
	s_cmp_eq_u32 s3, 0
	s_cselect_b32 s3, s18, -1
	s_cmp_lg_u32 s3, 0
	s_cselect_b32 s3, s17, s15
	v_readfirstlane_b32 s15, v1
	s_cselect_b32 s14, s16, s14
	s_cmp_ge_u32 s15, s62
	s_cselect_b32 s15, -1, 0
	s_cmp_eq_u32 s2, 0
	s_cselect_b32 s2, s15, -1
	s_cmp_lg_u32 s2, 0
	s_cselect_b32 s3, s3, s13
	s_cselect_b32 s2, s14, s12
	s_xor_b64 s[2:3], s[2:3], s[10:11]
	s_sub_u32 s2, s2, s10
	s_subb_u32 s3, s3, s10
	s_cbranch_execnz .LBB51_5
.LBB51_4:
	v_cvt_f32_u32_e32 v1, s62
	s_sub_i32 s0, 0, s62
	s_mov_b32 s3, 0
	v_rcp_iflag_f32_e32 v1, v1
	v_mul_f32_e32 v1, 0x4f7ffffe, v1
	v_cvt_u32_f32_e32 v1, v1
	v_readfirstlane_b32 s1, v1
	s_mul_i32 s0, s0, s1
	s_mul_hi_u32 s0, s1, s0
	s_add_i32 s1, s1, s0
	s_mul_hi_u32 s0, s9, s1
	s_mul_i32 s2, s0, s62
	s_sub_i32 s2, s9, s2
	s_add_i32 s1, s0, 1
	s_sub_i32 s9, s2, s62
	s_cmp_ge_u32 s2, s62
	s_cselect_b32 s0, s1, s0
	s_cselect_b32 s2, s9, s2
	s_add_i32 s1, s0, 1
	s_cmp_ge_u32 s2, s62
	s_cselect_b32 s2, s1, s0
.LBB51_5:
	v_mov_b32_e32 v1, 0
	v_mov_b32_e32 v4, s6
	v_mad_u64_u32 v[16:17], s[0:1], s8, v4, v[0:1]
	s_add_u32 s0, s2, 1
	s_addc_u32 s1, s3, 0
	s_mul_hi_u32 s2, s7, s8
	s_mul_i32 s1, s33, s1
	s_mul_hi_u32 s3, s33, s0
	s_add_i32 s1, s3, s1
	s_mul_i32 s2, s2, s0
	s_add_i32 s1, s1, s2
	s_mul_i32 s0, s33, s0
	s_lshl_b64 s[26:27], s[0:1], 2
	v_cmp_gt_i64_e32 vcc, s[26:27], v[16:17]
	s_and_saveexec_b64 s[0:1], vcc
	s_cbranch_execz .LBB51_90
; %bb.6:
	s_mov_b32 s0, 0x5384540f
	v_mov_b32_e32 v0, v15
	v_add_co_u32_e32 v24, vcc, s0, v14
	s_mov_b32 s0, 0x646e171e
	v_add_co_u32_e32 v25, vcc, s0, v0
	s_mov_b32 s0, 0x1715609d
	;; [unrolled: 2-line block ×6, first 2 shown]
	v_alignbit_b32 v31, v3, v2, 2
	s_mov_b32 s64, 0xd2511f53
	v_add_co_u32_e32 v30, vcc, s0, v14
	v_mad_u64_u32 v[4:5], s[0:1], v31, s64, 0
	v_and_b32_e32 v20, 3, v2
	v_xor_b32_e32 v2, v5, v15
	v_xor_b32_e32 v2, v2, v17
	s_mov_b32 s65, 0xcd9e8d57
	v_mad_u64_u32 v[6:7], s[0:1], v2, s65, 0
	v_xor_b32_e32 v2, v30, v7
	v_mad_u64_u32 v[8:9], s[0:1], v16, s65, 0
	v_xor_b32_e32 v2, v2, v8
	;; [unrolled: 2-line block ×3, first 2 shown]
	v_lshrrev_b32_e32 v32, 2, v3
	v_xor_b32_e32 v2, v2, v32
	v_xor_b32_e32 v5, v29, v11
	v_mad_u64_u32 v[2:3], s[0:1], v2, s64, 0
	v_xor_b32_e32 v2, v5, v2
	v_mad_u64_u32 v[8:9], s[0:1], v2, s65, 0
	s_mov_b32 s0, 0xbb67ae85
	v_add_co_u32_e32 v33, vcc, s0, v0
	v_xor_b32_e32 v2, v33, v3
	v_xor_b32_e32 v2, v2, v4
	v_xor_b32_e32 v5, v28, v9
	v_mad_u64_u32 v[2:3], s[0:1], v2, s65, 0
	v_xor_b32_e32 v2, v5, v2
	v_mad_u64_u32 v[4:5], s[0:1], v2, s64, 0
	s_mov_b32 s0, 0x3c6ef372
	v_add_co_u32_e32 v34, vcc, s0, v14
	v_xor_b32_e32 v2, v34, v3
	;; [unrolled: 8-line block ×6, first 2 shown]
	v_add_co_u32_e32 v23, vcc, 0xdb3d7428, v0
	v_xor_b32_e32 v2, v2, v6
	v_xor_b32_e32 v5, v23, v5
	v_mad_u64_u32 v[2:3], s[0:1], v2, s64, 0
	v_xor_b32_e32 v2, v5, v2
	v_mad_u64_u32 v[6:7], s[0:1], v2, s65, 0
	s_mov_b32 s0, 0x1fd5c5a3
	v_add_co_u32_e32 v39, vcc, s0, v0
	v_xor_b32_e32 v0, v39, v3
	v_xor_b32_e32 v0, v0, v10
	v_mad_u64_u32 v[2:3], s[0:1], v0, s65, 0
	s_mov_b32 s0, 0xf1bbcdc8
	s_load_dwordx8 s[8:15], s[4:5], 0x30
	v_add_u32_e32 v21, 0x8ff34781, v14
	v_xor_b32_e32 v0, v7, v2
	v_add_co_u32_e32 v40, vcc, s0, v14
	v_xor_b32_e32 v2, v21, v0
	v_xor_b32_e32 v0, v40, v3
	;; [unrolled: 1-line block ×3, first 2 shown]
	s_add_u32 s34, s4, 48
	v_mad_u64_u32 v[8:9], s[0:1], v0, s64, 0
	s_addc_u32 s35, s5, 0
	s_waitcnt lgkmcnt(0)
	s_add_i32 s0, s8, -1
	s_cmp_gt_u32 s0, 1
	s_cselect_b64 s[40:41], -1, 0
	s_cmp_lg_u32 s8, 0
	s_cselect_b64 s[42:43], -1, 0
	s_add_u32 s44, s4, 0xf4
	s_addc_u32 s45, s5, 0
	s_min_u32 s1, s0, 15
	s_cmp_gt_u32 s8, 1
	s_cselect_b64 s[46:47], -1, 0
	s_load_dwordx2 s[48:49], s[4:5], 0x148
	s_load_dwordx2 s[50:51], s[4:5], 0xf4
	s_load_dwordx4 s[28:31], s[4:5], 0x138
	s_add_i32 s1, s1, 1
	s_mov_b32 s8, s13
	s_lshl_b32 s13, s33, 1
	s_and_b32 s68, s1, 3
	s_cmp_lg_u32 s0, 2
	s_cselect_b64 s[52:53], -1, 0
	s_and_b32 s69, s1, 28
	s_mov_b32 s63, 0
	v_add_u32_e32 v22, 0x96a522ad, v15
	v_xor_b32_e32 v0, v9, v4
	s_cmp_lg_u32 s68, 0
	v_xor_b32_e32 v4, v22, v0
	v_mov_b32_e32 v3, v6
	v_mov_b32_e32 v5, v8
	s_mov_b32 s15, s63
	s_mul_i32 s66, s33, 3
	s_mov_b32 s67, s63
	s_mov_b64 s[54:55], 0
	s_cselect_b64 s[56:57], -1, 0
	v_mov_b32_e32 v41, v16
	v_mov_b32_e32 v42, v17
	s_branch .LBB51_9
.LBB51_7:                               ;   in Loop: Header=BB51_9 Depth=1
	s_or_b64 exec, exec, s[0:1]
	v_mov_b32_e32 v3, s49
	v_add_co_u32_e32 v4, vcc, s48, v0
	v_addc_co_u32_e32 v5, vcc, v1, v3, vcc
	global_store_dwordx2 v2, v[4:5], s[28:29]
.LBB51_8:                               ;   in Loop: Header=BB51_9 Depth=1
	s_or_b64 exec, exec, s[36:37]
	v_add_co_u32_e32 v16, vcc, s62, v16
	v_addc_co_u32_e32 v17, vcc, 0, v17, vcc
	v_mov_b32_e32 v9, v18
	v_cmp_le_i64_e32 vcc, s[26:27], v[16:17]
	v_pk_mov_b32 v[2:3], v[6:7], v[6:7] op_sel:[0,1]
	s_or_b64 s[54:55], vcc, s[54:55]
	v_pk_mov_b32 v[4:5], v[8:9], v[8:9] op_sel:[0,1]
	s_waitcnt lgkmcnt(0)
	s_barrier
	s_andn2_b64 exec, exec, s[54:55]
	s_cbranch_execz .LBB51_90
.LBB51_9:                               ; =>This Loop Header: Depth=1
                                        ;     Child Loop BB51_24 Depth 2
                                        ;     Child Loop BB51_30 Depth 2
	;; [unrolled: 1-line block ×8, first 2 shown]
	v_add_co_u32_e32 v31, vcc, 1, v31
	v_cndmask_b32_e64 v0, 0, 1, vcc
	v_addc_co_u32_e32 v32, vcc, 0, v32, vcc
	v_cmp_eq_u32_e32 vcc, 0, v32
	v_cndmask_b32_e32 v0, 0, v0, vcc
	v_add_u32_e32 v41, v0, v41
	v_cmp_eq_u32_e32 vcc, 0, v41
	v_cndmask_b32_e32 v0, 0, v0, vcc
	v_mad_u64_u32 v[6:7], s[0:1], v31, s64, 0
	v_mad_u64_u32 v[8:9], s[0:1], v41, s65, 0
	v_add_u32_e32 v42, v0, v42
	v_xor_b32_e32 v0, v9, v14
	v_xor_b32_e32 v7, v7, v15
	v_xor_b32_e32 v0, v32, v0
	v_xor_b32_e32 v7, v42, v7
	v_mad_u64_u32 v[10:11], s[0:1], v0, s64, 0
	v_mad_u64_u32 v[12:13], s[0:1], v7, s65, 0
	v_xor_b32_e32 v0, v30, v13
	v_xor_b32_e32 v7, v33, v11
	v_xor_b32_e32 v0, v0, v8
	v_xor_b32_e32 v8, v7, v6
	v_mad_u64_u32 v[6:7], s[0:1], v0, s64, 0
	v_mad_u64_u32 v[8:9], s[0:1], v8, s65, 0
	;; [unrolled: 6-line block ×9, first 2 shown]
	v_xor_b32_e32 v0, v13, v6
	v_xor_b32_e32 v6, v21, v0
	;; [unrolled: 1-line block ×4, first 2 shown]
	v_mov_b32_e32 v7, v12
	v_mov_b32_e32 v8, v13
	v_cmp_lt_i32_e32 vcc, 1, v20
	s_and_saveexec_b64 s[0:1], vcc
	s_xor_b64 s[0:1], exec, s[0:1]
	s_cbranch_execz .LBB51_15
; %bb.10:                               ;   in Loop: Header=BB51_9 Depth=1
	v_cmp_lt_i32_e32 vcc, 2, v20
	s_and_saveexec_b64 s[2:3], vcc
	s_xor_b64 s[2:3], exec, s[2:3]
; %bb.11:                               ;   in Loop: Header=BB51_9 Depth=1
	v_mov_b32_e32 v10, v5
	v_mov_b32_e32 v11, v6
	v_pk_mov_b32 v[2:3], v[10:11], v[10:11] op_sel:[0,1]
	v_pk_mov_b32 v[4:5], v[12:13], v[12:13] op_sel:[0,1]
                                        ; implicit-def: $vgpr12_vgpr13
; %bb.12:                               ;   in Loop: Header=BB51_9 Depth=1
	s_andn2_saveexec_b64 s[2:3], s[2:3]
; %bb.13:                               ;   in Loop: Header=BB51_9 Depth=1
	v_mov_b32_e32 v2, v4
	v_mov_b32_e32 v3, v5
	;; [unrolled: 1-line block ×4, first 2 shown]
; %bb.14:                               ;   in Loop: Header=BB51_9 Depth=1
	s_or_b64 exec, exec, s[2:3]
.LBB51_15:                              ;   in Loop: Header=BB51_9 Depth=1
	s_andn2_saveexec_b64 s[0:1], s[0:1]
	s_cbranch_execz .LBB51_19
; %bb.16:                               ;   in Loop: Header=BB51_9 Depth=1
	v_cmp_eq_u32_e32 vcc, 1, v20
	s_and_saveexec_b64 s[2:3], vcc
; %bb.17:                               ;   in Loop: Header=BB51_9 Depth=1
	v_mov_b32_e32 v2, v3
	v_mov_b32_e32 v3, v4
	;; [unrolled: 1-line block ×4, first 2 shown]
; %bb.18:                               ;   in Loop: Header=BB51_9 Depth=1
	s_or_b64 exec, exec, s[2:3]
.LBB51_19:                              ;   in Loop: Header=BB51_9 Depth=1
	s_or_b64 exec, exec, s[0:1]
	v_cndmask_b32_e64 v0, 0, 1, s[40:41]
	v_cmp_gt_i64_e32 vcc, s[24:25], v[16:17]
	v_cmp_ne_u32_e64 s[0:1], 1, v0
	s_and_saveexec_b64 s[2:3], vcc
	s_cbranch_execz .LBB51_37
; %bb.20:                               ;   in Loop: Header=BB51_9 Depth=1
	s_and_b64 vcc, exec, s[0:1]
	s_cbranch_vccnz .LBB51_26
; %bb.21:                               ;   in Loop: Header=BB51_9 Depth=1
	s_andn2_b64 vcc, exec, s[42:43]
	s_cbranch_vccnz .LBB51_27
; %bb.22:                               ;   in Loop: Header=BB51_9 Depth=1
	s_mov_b32 s6, 0
	s_andn2_b64 vcc, exec, s[52:53]
	v_mov_b32_e32 v10, 0
	s_cbranch_vccnz .LBB51_28
; %bb.23:                               ;   in Loop: Header=BB51_9 Depth=1
	s_mov_b32 s70, 0
	v_mov_b32_e32 v10, 0
	s_mov_b64 s[58:59], s[34:35]
	s_mov_b64 s[60:61], s[44:45]
	v_mov_b32_e32 v0, v16
.LBB51_24:                              ;   Parent Loop BB51_9 Depth=1
                                        ; =>  This Inner Loop Header: Depth=2
	s_load_dwordx8 s[16:23], s[58:59], 0x4
	s_load_dwordx4 s[4:7], s[58:59], 0x24
	s_load_dwordx4 s[36:39], s[60:61], 0x0
	s_add_u32 s58, s58, 48
	s_addc_u32 s59, s59, 0
	s_waitcnt lgkmcnt(0)
	v_mul_hi_u32 v9, s17, v0
	v_add_u32_e32 v9, v0, v9
	v_lshrrev_b32_e32 v9, s18, v9
	v_mul_lo_u32 v11, v9, s16
	v_mul_hi_u32 v12, s20, v9
	v_sub_u32_e32 v0, v0, v11
	v_add_u32_e32 v11, v9, v12
	v_lshrrev_b32_e32 v11, s21, v11
	v_mul_lo_u32 v12, v11, s19
	v_mul_hi_u32 v13, s23, v11
	v_sub_u32_e32 v9, v9, v12
	v_add_u32_e32 v12, v11, v13
	v_mul_lo_u32 v0, v0, s36
	v_mul_lo_u32 v9, v9, s37
	v_lshrrev_b32_e32 v12, s4, v12
	v_add3_u32 v9, v0, v10, v9
	v_mul_lo_u32 v0, v12, s22
	v_mul_hi_u32 v10, s6, v12
	v_sub_u32_e32 v0, v11, v0
	v_add_u32_e32 v10, v12, v10
	v_mul_lo_u32 v11, v0, s38
	v_lshrrev_b32_e32 v0, s7, v10
	s_add_i32 s70, s70, 4
	v_mul_lo_u32 v10, v0, s5
	s_add_u32 s60, s60, 16
	v_sub_u32_e32 v10, v12, v10
	s_addc_u32 s61, s61, 0
	v_mul_lo_u32 v10, v10, s39
	s_cmp_lg_u32 s69, s70
	v_add3_u32 v10, v11, v9, v10
	s_cbranch_scc1 .LBB51_24
; %bb.25:                               ;   in Loop: Header=BB51_9 Depth=1
	s_mov_b32 s6, s69
	s_andn2_b64 vcc, exec, s[56:57]
	s_cbranch_vccz .LBB51_29
	s_branch .LBB51_31
.LBB51_26:                              ;   in Loop: Header=BB51_9 Depth=1
                                        ; implicit-def: $vgpr10
	s_branch .LBB51_32
.LBB51_27:                              ;   in Loop: Header=BB51_9 Depth=1
	v_mov_b32_e32 v10, 0
	s_branch .LBB51_31
.LBB51_28:                              ;   in Loop: Header=BB51_9 Depth=1
	v_mov_b32_e32 v0, v16
	s_andn2_b64 vcc, exec, s[56:57]
	s_cbranch_vccnz .LBB51_31
.LBB51_29:                              ;   in Loop: Header=BB51_9 Depth=1
	s_lshl_b32 s4, s6, 2
	s_add_u32 s4, s44, s4
	s_addc_u32 s5, s45, 0
	s_mul_i32 s6, s6, 12
	s_add_u32 s6, s34, s6
	s_addc_u32 s7, s35, 0
	s_mov_b32 s16, s68
.LBB51_30:                              ;   Parent Loop BB51_9 Depth=1
                                        ; =>  This Inner Loop Header: Depth=2
	s_load_dwordx2 s[18:19], s[6:7], 0x4
	s_load_dword s17, s[6:7], 0xc
	s_load_dword s20, s[4:5], 0x0
	s_add_u32 s6, s6, 12
	s_addc_u32 s7, s7, 0
	s_waitcnt lgkmcnt(0)
	v_mul_hi_u32 v9, s19, v0
	v_add_u32_e32 v9, v0, v9
	v_lshrrev_b32_e32 v9, s17, v9
	s_add_u32 s4, s4, 4
	v_mul_lo_u32 v11, v9, s18
	s_addc_u32 s5, s5, 0
	s_add_i32 s16, s16, -1
	v_sub_u32_e32 v11, v0, v11
	s_cmp_lg_u32 s16, 0
	v_mov_b32_e32 v0, v9
	v_mad_u64_u32 v[10:11], s[18:19], v11, s20, v[10:11]
	s_cbranch_scc1 .LBB51_30
.LBB51_31:                              ;   in Loop: Header=BB51_9 Depth=1
	s_cbranch_execnz .LBB51_34
.LBB51_32:                              ;   in Loop: Header=BB51_9 Depth=1
	v_mul_hi_u32 v0, v16, s10
	v_add_u32_e32 v0, v0, v16
	v_lshrrev_b32_e32 v0, s11, v0
	v_mul_lo_u32 v9, v0, s9
	v_sub_u32_e32 v9, v16, v9
	s_andn2_b64 vcc, exec, s[46:47]
	s_waitcnt lgkmcnt(0)
	v_mul_lo_u32 v10, v9, s50
	s_cbranch_vccnz .LBB51_34
; %bb.33:                               ;   in Loop: Header=BB51_9 Depth=1
	v_mul_hi_u32 v9, s8, v0
	v_add_u32_e32 v9, v0, v9
	v_lshrrev_b32_e32 v9, s14, v9
	v_mul_lo_u32 v9, v9, s12
	v_sub_u32_e32 v0, v0, v9
	v_mad_u64_u32 v[10:11], s[4:5], v0, s51, v[10:11]
.LBB51_34:                              ;   in Loop: Header=BB51_9 Depth=1
	v_mov_b32_e32 v0, v2
	s_waitcnt lgkmcnt(0)
	v_cmp_le_u64_e32 vcc, s[30:31], v[0:1]
	s_and_saveexec_b64 s[4:5], vcc
	s_cbranch_execz .LBB51_36
; %bb.35:                               ;   in Loop: Header=BB51_9 Depth=1
	v_cvt_f32_u32_e32 v2, s30
	s_sub_i32 s6, 0, s30
	v_rcp_iflag_f32_e32 v2, v2
	v_mul_f32_e32 v2, 0x4f7ffffe, v2
	v_cvt_u32_f32_e32 v2, v2
	v_mul_lo_u32 v9, s6, v2
	v_mul_hi_u32 v9, v2, v9
	v_add_u32_e32 v2, v2, v9
	v_mul_hi_u32 v2, v0, v2
	v_mul_lo_u32 v2, v2, s30
	v_sub_u32_e32 v0, v0, v2
	v_subrev_u32_e32 v2, s30, v0
	v_cmp_le_u32_e32 vcc, s30, v0
	v_cndmask_b32_e32 v0, v0, v2, vcc
	v_subrev_u32_e32 v2, s30, v0
	v_cmp_le_u32_e32 vcc, s30, v0
	v_cndmask_b32_e32 v0, v0, v2, vcc
.LBB51_36:                              ;   in Loop: Header=BB51_9 Depth=1
	s_or_b64 exec, exec, s[4:5]
	v_mov_b32_e32 v2, s49
	v_add_co_u32_e32 v12, vcc, s48, v0
	v_addc_co_u32_e32 v13, vcc, v1, v2, vcc
	global_store_dwordx2 v10, v[12:13], s[28:29]
.LBB51_37:                              ;   in Loop: Header=BB51_9 Depth=1
	s_or_b64 exec, exec, s[2:3]
	v_mov_b32_e32 v0, s63
	v_add_co_u32_e32 v12, vcc, s33, v16
	v_addc_co_u32_e32 v13, vcc, v17, v0, vcc
	v_cmp_gt_i64_e32 vcc, s[24:25], v[12:13]
	s_and_saveexec_b64 s[2:3], vcc
	s_cbranch_execz .LBB51_55
; %bb.38:                               ;   in Loop: Header=BB51_9 Depth=1
	s_and_b64 vcc, exec, s[0:1]
	s_cbranch_vccnz .LBB51_44
; %bb.39:                               ;   in Loop: Header=BB51_9 Depth=1
	s_andn2_b64 vcc, exec, s[42:43]
	s_cbranch_vccnz .LBB51_45
; %bb.40:                               ;   in Loop: Header=BB51_9 Depth=1
	s_mov_b32 s6, 0
	s_andn2_b64 vcc, exec, s[52:53]
	v_mov_b32_e32 v10, 0
	s_cbranch_vccnz .LBB51_46
; %bb.41:                               ;   in Loop: Header=BB51_9 Depth=1
	s_mov_b32 s70, 0
	v_mov_b32_e32 v10, 0
	s_mov_b64 s[58:59], s[34:35]
	s_mov_b64 s[60:61], s[44:45]
	v_mov_b32_e32 v0, v12
.LBB51_42:                              ;   Parent Loop BB51_9 Depth=1
                                        ; =>  This Inner Loop Header: Depth=2
	s_load_dwordx8 s[16:23], s[58:59], 0x4
	s_load_dwordx4 s[4:7], s[58:59], 0x24
	s_load_dwordx4 s[36:39], s[60:61], 0x0
	s_add_u32 s58, s58, 48
	s_addc_u32 s59, s59, 0
	s_waitcnt lgkmcnt(0)
	v_mul_hi_u32 v2, s17, v0
	v_add_u32_e32 v2, v0, v2
	v_lshrrev_b32_e32 v2, s18, v2
	v_mul_lo_u32 v9, v2, s16
	v_mul_hi_u32 v11, s20, v2
	v_sub_u32_e32 v0, v0, v9
	v_add_u32_e32 v9, v2, v11
	v_lshrrev_b32_e32 v9, s21, v9
	v_mul_lo_u32 v11, v9, s19
	v_mul_hi_u32 v13, s23, v9
	v_sub_u32_e32 v2, v2, v11
	v_add_u32_e32 v11, v9, v13
	v_mul_lo_u32 v0, v0, s36
	v_mul_lo_u32 v2, v2, s37
	v_lshrrev_b32_e32 v11, s4, v11
	v_add3_u32 v2, v0, v10, v2
	v_mul_lo_u32 v0, v11, s22
	v_mul_hi_u32 v10, s6, v11
	v_sub_u32_e32 v0, v9, v0
	v_add_u32_e32 v9, v11, v10
	v_mul_lo_u32 v10, v0, s38
	v_lshrrev_b32_e32 v0, s7, v9
	s_add_i32 s70, s70, 4
	v_mul_lo_u32 v9, v0, s5
	s_add_u32 s60, s60, 16
	v_sub_u32_e32 v9, v11, v9
	s_addc_u32 s61, s61, 0
	v_mul_lo_u32 v9, v9, s39
	s_cmp_eq_u32 s69, s70
	v_add3_u32 v10, v10, v2, v9
	s_cbranch_scc0 .LBB51_42
; %bb.43:                               ;   in Loop: Header=BB51_9 Depth=1
	s_mov_b32 s6, s69
	s_andn2_b64 vcc, exec, s[56:57]
	s_cbranch_vccz .LBB51_47
	s_branch .LBB51_49
.LBB51_44:                              ;   in Loop: Header=BB51_9 Depth=1
                                        ; implicit-def: $vgpr10
	s_branch .LBB51_50
.LBB51_45:                              ;   in Loop: Header=BB51_9 Depth=1
	v_mov_b32_e32 v10, 0
	s_branch .LBB51_49
.LBB51_46:                              ;   in Loop: Header=BB51_9 Depth=1
	v_mov_b32_e32 v0, v12
	s_andn2_b64 vcc, exec, s[56:57]
	s_cbranch_vccnz .LBB51_49
.LBB51_47:                              ;   in Loop: Header=BB51_9 Depth=1
	s_lshl_b32 s4, s6, 2
	s_add_u32 s4, s44, s4
	s_addc_u32 s5, s45, 0
	s_mul_i32 s6, s6, 12
	s_add_u32 s6, s34, s6
	s_addc_u32 s7, s35, 0
	s_mov_b32 s16, s68
.LBB51_48:                              ;   Parent Loop BB51_9 Depth=1
                                        ; =>  This Inner Loop Header: Depth=2
	s_load_dwordx2 s[18:19], s[6:7], 0x4
	s_load_dword s17, s[6:7], 0xc
	s_load_dword s20, s[4:5], 0x0
	s_add_u32 s6, s6, 12
	s_addc_u32 s7, s7, 0
	s_waitcnt lgkmcnt(0)
	v_mul_hi_u32 v2, s19, v0
	v_add_u32_e32 v2, v0, v2
	v_lshrrev_b32_e32 v2, s17, v2
	s_add_u32 s4, s4, 4
	v_mul_lo_u32 v9, v2, s18
	s_addc_u32 s5, s5, 0
	s_add_i32 s16, s16, -1
	v_sub_u32_e32 v9, v0, v9
	s_cmp_lg_u32 s16, 0
	v_mov_b32_e32 v0, v2
	v_mad_u64_u32 v[10:11], s[18:19], v9, s20, v[10:11]
	s_cbranch_scc1 .LBB51_48
.LBB51_49:                              ;   in Loop: Header=BB51_9 Depth=1
	s_cbranch_execnz .LBB51_52
.LBB51_50:                              ;   in Loop: Header=BB51_9 Depth=1
	v_mul_hi_u32 v0, v12, s10
	v_add_u32_e32 v0, v0, v12
	v_lshrrev_b32_e32 v0, s11, v0
	v_mul_lo_u32 v2, v0, s9
	v_sub_u32_e32 v2, v12, v2
	s_andn2_b64 vcc, exec, s[46:47]
	s_waitcnt lgkmcnt(0)
	v_mul_lo_u32 v10, v2, s50
	s_cbranch_vccnz .LBB51_52
; %bb.51:                               ;   in Loop: Header=BB51_9 Depth=1
	v_mul_hi_u32 v2, s8, v0
	v_add_u32_e32 v2, v0, v2
	v_lshrrev_b32_e32 v2, s14, v2
	v_mul_lo_u32 v2, v2, s12
	v_sub_u32_e32 v0, v0, v2
	v_mad_u64_u32 v[10:11], s[4:5], v0, s51, v[10:11]
.LBB51_52:                              ;   in Loop: Header=BB51_9 Depth=1
	v_mov_b32_e32 v0, v3
	s_waitcnt lgkmcnt(0)
	v_cmp_le_u64_e32 vcc, s[30:31], v[0:1]
	s_and_saveexec_b64 s[4:5], vcc
	s_cbranch_execz .LBB51_54
; %bb.53:                               ;   in Loop: Header=BB51_9 Depth=1
	v_cvt_f32_u32_e32 v2, s30
	s_sub_i32 s6, 0, s30
	v_rcp_iflag_f32_e32 v2, v2
	v_mul_f32_e32 v2, 0x4f7ffffe, v2
	v_cvt_u32_f32_e32 v2, v2
	v_mul_lo_u32 v3, s6, v2
	v_mul_hi_u32 v3, v2, v3
	v_add_u32_e32 v2, v2, v3
	v_mul_hi_u32 v2, v0, v2
	v_mul_lo_u32 v2, v2, s30
	v_sub_u32_e32 v0, v0, v2
	v_subrev_u32_e32 v2, s30, v0
	v_cmp_le_u32_e32 vcc, s30, v0
	v_cndmask_b32_e32 v0, v0, v2, vcc
	v_subrev_u32_e32 v2, s30, v0
	v_cmp_le_u32_e32 vcc, s30, v0
	v_cndmask_b32_e32 v0, v0, v2, vcc
.LBB51_54:                              ;   in Loop: Header=BB51_9 Depth=1
	s_or_b64 exec, exec, s[4:5]
	v_mov_b32_e32 v3, s49
	v_add_co_u32_e32 v2, vcc, s48, v0
	v_addc_co_u32_e32 v3, vcc, v1, v3, vcc
	global_store_dwordx2 v10, v[2:3], s[28:29]
.LBB51_55:                              ;   in Loop: Header=BB51_9 Depth=1
	s_or_b64 exec, exec, s[2:3]
	v_mov_b32_e32 v0, s15
	v_add_co_u32_e32 v10, vcc, s13, v16
	v_addc_co_u32_e32 v11, vcc, v17, v0, vcc
	v_cmp_gt_i64_e32 vcc, s[24:25], v[10:11]
	s_and_saveexec_b64 s[2:3], vcc
	s_cbranch_execz .LBB51_73
; %bb.56:                               ;   in Loop: Header=BB51_9 Depth=1
	s_and_b64 vcc, exec, s[0:1]
	s_cbranch_vccnz .LBB51_62
; %bb.57:                               ;   in Loop: Header=BB51_9 Depth=1
	s_andn2_b64 vcc, exec, s[42:43]
	s_cbranch_vccnz .LBB51_63
; %bb.58:                               ;   in Loop: Header=BB51_9 Depth=1
	s_mov_b32 s6, 0
	s_andn2_b64 vcc, exec, s[52:53]
	v_mov_b32_e32 v2, 0
	s_cbranch_vccnz .LBB51_64
; %bb.59:                               ;   in Loop: Header=BB51_9 Depth=1
	s_mov_b32 s70, 0
	v_mov_b32_e32 v2, 0
	s_mov_b64 s[58:59], s[34:35]
	s_mov_b64 s[60:61], s[44:45]
	v_mov_b32_e32 v0, v10
.LBB51_60:                              ;   Parent Loop BB51_9 Depth=1
                                        ; =>  This Inner Loop Header: Depth=2
	s_load_dwordx8 s[16:23], s[58:59], 0x4
	s_load_dwordx4 s[4:7], s[58:59], 0x24
	s_load_dwordx4 s[36:39], s[60:61], 0x0
	s_add_u32 s58, s58, 48
	s_addc_u32 s59, s59, 0
	s_waitcnt lgkmcnt(0)
	v_mul_hi_u32 v3, s17, v0
	v_add_u32_e32 v3, v0, v3
	v_lshrrev_b32_e32 v3, s18, v3
	v_mul_lo_u32 v9, v3, s16
	v_mul_hi_u32 v11, s20, v3
	v_sub_u32_e32 v0, v0, v9
	v_add_u32_e32 v9, v3, v11
	v_lshrrev_b32_e32 v9, s21, v9
	v_mul_lo_u32 v11, v9, s19
	v_mul_hi_u32 v12, s23, v9
	v_sub_u32_e32 v3, v3, v11
	v_add_u32_e32 v11, v9, v12
	v_mul_lo_u32 v0, v0, s36
	v_mul_lo_u32 v3, v3, s37
	v_lshrrev_b32_e32 v11, s4, v11
	v_add3_u32 v2, v0, v2, v3
	v_mul_lo_u32 v0, v11, s22
	v_mul_hi_u32 v3, s6, v11
	v_sub_u32_e32 v0, v9, v0
	v_add_u32_e32 v3, v11, v3
	v_mul_lo_u32 v9, v0, s38
	v_lshrrev_b32_e32 v0, s7, v3
	s_add_i32 s70, s70, 4
	v_mul_lo_u32 v3, v0, s5
	s_add_u32 s60, s60, 16
	v_sub_u32_e32 v3, v11, v3
	s_addc_u32 s61, s61, 0
	v_mul_lo_u32 v3, v3, s39
	s_cmp_eq_u32 s69, s70
	v_add3_u32 v2, v9, v2, v3
	s_cbranch_scc0 .LBB51_60
; %bb.61:                               ;   in Loop: Header=BB51_9 Depth=1
	s_mov_b32 s6, s69
	s_andn2_b64 vcc, exec, s[56:57]
	s_cbranch_vccz .LBB51_65
	s_branch .LBB51_67
.LBB51_62:                              ;   in Loop: Header=BB51_9 Depth=1
                                        ; implicit-def: $vgpr2
	s_branch .LBB51_68
.LBB51_63:                              ;   in Loop: Header=BB51_9 Depth=1
	v_mov_b32_e32 v2, 0
	s_branch .LBB51_67
.LBB51_64:                              ;   in Loop: Header=BB51_9 Depth=1
	v_mov_b32_e32 v0, v10
	s_andn2_b64 vcc, exec, s[56:57]
	s_cbranch_vccnz .LBB51_67
.LBB51_65:                              ;   in Loop: Header=BB51_9 Depth=1
	s_lshl_b32 s4, s6, 2
	s_add_u32 s4, s44, s4
	s_addc_u32 s5, s45, 0
	s_mul_i32 s6, s6, 12
	s_add_u32 s6, s34, s6
	s_addc_u32 s7, s35, 0
	s_mov_b32 s16, s68
.LBB51_66:                              ;   Parent Loop BB51_9 Depth=1
                                        ; =>  This Inner Loop Header: Depth=2
	s_load_dwordx2 s[18:19], s[6:7], 0x4
	s_load_dword s17, s[6:7], 0xc
	s_load_dword s20, s[4:5], 0x0
	s_add_u32 s6, s6, 12
	s_addc_u32 s7, s7, 0
	s_waitcnt lgkmcnt(0)
	v_mul_hi_u32 v3, s19, v0
	v_add_u32_e32 v3, v0, v3
	v_lshrrev_b32_e32 v3, s17, v3
	s_add_u32 s4, s4, 4
	v_mul_lo_u32 v9, v3, s18
	s_addc_u32 s5, s5, 0
	s_add_i32 s16, s16, -1
	v_sub_u32_e32 v9, v0, v9
	s_cmp_lg_u32 s16, 0
	v_mov_b32_e32 v0, v3
	v_mad_u64_u32 v[2:3], s[18:19], v9, s20, v[2:3]
	s_cbranch_scc1 .LBB51_66
.LBB51_67:                              ;   in Loop: Header=BB51_9 Depth=1
	s_cbranch_execnz .LBB51_70
.LBB51_68:                              ;   in Loop: Header=BB51_9 Depth=1
	v_mul_hi_u32 v0, v10, s10
	v_add_u32_e32 v0, v0, v10
	v_lshrrev_b32_e32 v0, s11, v0
	v_mul_lo_u32 v2, v0, s9
	v_sub_u32_e32 v2, v10, v2
	s_andn2_b64 vcc, exec, s[46:47]
	s_waitcnt lgkmcnt(0)
	v_mul_lo_u32 v2, v2, s50
	s_cbranch_vccnz .LBB51_70
; %bb.69:                               ;   in Loop: Header=BB51_9 Depth=1
	v_mul_hi_u32 v3, s8, v0
	v_add_u32_e32 v3, v0, v3
	v_lshrrev_b32_e32 v3, s14, v3
	v_mul_lo_u32 v3, v3, s12
	v_sub_u32_e32 v0, v0, v3
	v_mad_u64_u32 v[2:3], s[4:5], v0, s51, v[2:3]
.LBB51_70:                              ;   in Loop: Header=BB51_9 Depth=1
	v_mov_b32_e32 v0, v4
	s_waitcnt lgkmcnt(0)
	v_cmp_le_u64_e32 vcc, s[30:31], v[0:1]
	s_and_saveexec_b64 s[4:5], vcc
	s_cbranch_execz .LBB51_72
; %bb.71:                               ;   in Loop: Header=BB51_9 Depth=1
	v_cvt_f32_u32_e32 v3, s30
	s_sub_i32 s6, 0, s30
	v_rcp_iflag_f32_e32 v3, v3
	v_mul_f32_e32 v3, 0x4f7ffffe, v3
	v_cvt_u32_f32_e32 v3, v3
	v_mul_lo_u32 v4, s6, v3
	v_mul_hi_u32 v4, v3, v4
	v_add_u32_e32 v3, v3, v4
	v_mul_hi_u32 v3, v0, v3
	v_mul_lo_u32 v3, v3, s30
	v_sub_u32_e32 v0, v0, v3
	v_subrev_u32_e32 v3, s30, v0
	v_cmp_le_u32_e32 vcc, s30, v0
	v_cndmask_b32_e32 v0, v0, v3, vcc
	v_subrev_u32_e32 v3, s30, v0
	v_cmp_le_u32_e32 vcc, s30, v0
	v_cndmask_b32_e32 v0, v0, v3, vcc
.LBB51_72:                              ;   in Loop: Header=BB51_9 Depth=1
	s_or_b64 exec, exec, s[4:5]
	v_mov_b32_e32 v3, s49
	v_add_co_u32_e32 v10, vcc, s48, v0
	v_addc_co_u32_e32 v11, vcc, v1, v3, vcc
	global_store_dwordx2 v2, v[10:11], s[28:29]
.LBB51_73:                              ;   in Loop: Header=BB51_9 Depth=1
	s_or_b64 exec, exec, s[2:3]
	v_mov_b32_e32 v0, s67
	v_add_co_u32_e32 v10, vcc, s66, v16
	v_addc_co_u32_e32 v11, vcc, v17, v0, vcc
	v_cmp_gt_i64_e32 vcc, s[24:25], v[10:11]
	s_and_saveexec_b64 s[36:37], vcc
	s_cbranch_execz .LBB51_8
; %bb.74:                               ;   in Loop: Header=BB51_9 Depth=1
	s_and_b64 vcc, exec, s[0:1]
	s_cbranch_vccnz .LBB51_80
; %bb.75:                               ;   in Loop: Header=BB51_9 Depth=1
	s_andn2_b64 vcc, exec, s[42:43]
	s_cbranch_vccnz .LBB51_81
; %bb.76:                               ;   in Loop: Header=BB51_9 Depth=1
	s_mov_b32 s2, 0
	s_andn2_b64 vcc, exec, s[52:53]
	v_mov_b32_e32 v2, 0
	s_cbranch_vccnz .LBB51_82
; %bb.77:                               ;   in Loop: Header=BB51_9 Depth=1
	s_mov_b32 s60, 0
	v_mov_b32_e32 v2, 0
	s_mov_b64 s[38:39], s[34:35]
	s_mov_b64 s[58:59], s[44:45]
	v_mov_b32_e32 v0, v10
.LBB51_78:                              ;   Parent Loop BB51_9 Depth=1
                                        ; =>  This Inner Loop Header: Depth=2
	s_load_dwordx8 s[0:7], s[38:39], 0x4
	s_load_dwordx4 s[16:19], s[38:39], 0x24
	s_load_dwordx4 s[20:23], s[58:59], 0x0
	s_add_u32 s38, s38, 48
	s_addc_u32 s39, s39, 0
	s_waitcnt lgkmcnt(0)
	v_mul_hi_u32 v3, s1, v0
	v_add_u32_e32 v3, v0, v3
	v_lshrrev_b32_e32 v3, s2, v3
	v_mul_lo_u32 v4, v3, s0
	v_mul_hi_u32 v9, s4, v3
	v_sub_u32_e32 v0, v0, v4
	v_add_u32_e32 v4, v3, v9
	v_lshrrev_b32_e32 v4, s5, v4
	v_mul_lo_u32 v9, v4, s3
	v_mul_hi_u32 v11, s7, v4
	v_sub_u32_e32 v3, v3, v9
	v_add_u32_e32 v9, v4, v11
	v_mul_lo_u32 v0, v0, s20
	v_mul_lo_u32 v3, v3, s21
	v_lshrrev_b32_e32 v9, s16, v9
	v_add3_u32 v2, v0, v2, v3
	v_mul_lo_u32 v0, v9, s6
	v_mul_hi_u32 v3, s18, v9
	v_sub_u32_e32 v0, v4, v0
	v_add_u32_e32 v3, v9, v3
	v_mul_lo_u32 v4, v0, s22
	v_lshrrev_b32_e32 v0, s19, v3
	s_add_i32 s60, s60, 4
	v_mul_lo_u32 v3, v0, s17
	s_add_u32 s58, s58, 16
	v_sub_u32_e32 v3, v9, v3
	s_addc_u32 s59, s59, 0
	v_mul_lo_u32 v3, v3, s23
	s_cmp_eq_u32 s69, s60
	v_add3_u32 v2, v4, v2, v3
	s_cbranch_scc0 .LBB51_78
; %bb.79:                               ;   in Loop: Header=BB51_9 Depth=1
	s_mov_b32 s2, s69
	s_andn2_b64 vcc, exec, s[56:57]
	s_cbranch_vccz .LBB51_83
	s_branch .LBB51_85
.LBB51_80:                              ;   in Loop: Header=BB51_9 Depth=1
                                        ; implicit-def: $vgpr2
	s_branch .LBB51_86
.LBB51_81:                              ;   in Loop: Header=BB51_9 Depth=1
	v_mov_b32_e32 v2, 0
	s_branch .LBB51_85
.LBB51_82:                              ;   in Loop: Header=BB51_9 Depth=1
	v_mov_b32_e32 v0, v10
	s_andn2_b64 vcc, exec, s[56:57]
	s_cbranch_vccnz .LBB51_85
.LBB51_83:                              ;   in Loop: Header=BB51_9 Depth=1
	s_lshl_b32 s0, s2, 2
	s_add_u32 s0, s44, s0
	s_addc_u32 s1, s45, 0
	s_mul_i32 s2, s2, 12
	s_add_u32 s2, s34, s2
	s_addc_u32 s3, s35, 0
	s_mov_b32 s4, s68
.LBB51_84:                              ;   Parent Loop BB51_9 Depth=1
                                        ; =>  This Inner Loop Header: Depth=2
	s_load_dwordx2 s[6:7], s[2:3], 0x4
	s_load_dword s5, s[2:3], 0xc
	s_load_dword s16, s[0:1], 0x0
	s_add_u32 s2, s2, 12
	s_addc_u32 s3, s3, 0
	s_waitcnt lgkmcnt(0)
	v_mul_hi_u32 v3, s7, v0
	v_add_u32_e32 v3, v0, v3
	v_lshrrev_b32_e32 v3, s5, v3
	s_add_u32 s0, s0, 4
	v_mul_lo_u32 v4, v3, s6
	s_addc_u32 s1, s1, 0
	s_add_i32 s4, s4, -1
	v_sub_u32_e32 v4, v0, v4
	s_cmp_lg_u32 s4, 0
	v_mov_b32_e32 v0, v3
	v_mad_u64_u32 v[2:3], s[6:7], v4, s16, v[2:3]
	s_cbranch_scc1 .LBB51_84
.LBB51_85:                              ;   in Loop: Header=BB51_9 Depth=1
	s_cbranch_execnz .LBB51_88
.LBB51_86:                              ;   in Loop: Header=BB51_9 Depth=1
	v_mul_hi_u32 v0, v10, s10
	v_add_u32_e32 v0, v0, v10
	v_lshrrev_b32_e32 v0, s11, v0
	v_mul_lo_u32 v2, v0, s9
	v_sub_u32_e32 v2, v10, v2
	s_andn2_b64 vcc, exec, s[46:47]
	s_waitcnt lgkmcnt(0)
	v_mul_lo_u32 v2, v2, s50
	s_cbranch_vccnz .LBB51_88
; %bb.87:                               ;   in Loop: Header=BB51_9 Depth=1
	v_mul_hi_u32 v3, s8, v0
	v_add_u32_e32 v3, v0, v3
	v_lshrrev_b32_e32 v3, s14, v3
	v_mul_lo_u32 v3, v3, s12
	v_sub_u32_e32 v0, v0, v3
	v_mad_u64_u32 v[2:3], s[0:1], v0, s51, v[2:3]
.LBB51_88:                              ;   in Loop: Header=BB51_9 Depth=1
	v_mov_b32_e32 v0, v5
	s_waitcnt lgkmcnt(0)
	v_cmp_le_u64_e32 vcc, s[30:31], v[0:1]
	s_and_saveexec_b64 s[0:1], vcc
	s_cbranch_execz .LBB51_7
; %bb.89:                               ;   in Loop: Header=BB51_9 Depth=1
	v_cvt_f32_u32_e32 v3, s30
	s_sub_i32 s2, 0, s30
	v_rcp_iflag_f32_e32 v3, v3
	v_mul_f32_e32 v3, 0x4f7ffffe, v3
	v_cvt_u32_f32_e32 v3, v3
	v_mul_lo_u32 v4, s2, v3
	v_mul_hi_u32 v4, v3, v4
	v_add_u32_e32 v3, v3, v4
	v_mul_hi_u32 v3, v0, v3
	v_mul_lo_u32 v3, v3, s30
	v_sub_u32_e32 v0, v0, v3
	v_subrev_u32_e32 v3, s30, v0
	v_cmp_le_u32_e32 vcc, s30, v0
	v_cndmask_b32_e32 v0, v0, v3, vcc
	v_subrev_u32_e32 v3, s30, v0
	v_cmp_le_u32_e32 vcc, s30, v0
	v_cndmask_b32_e32 v0, v0, v3, vcc
	s_branch .LBB51_7
.LBB51_90:
	s_endpgm
.LBB51_91:
                                        ; implicit-def: $sgpr2_sgpr3
	s_andn2_b64 vcc, exec, s[0:1]
	s_cbranch_vccz .LBB51_4
	s_branch .LBB51_5
	.section	.rodata,"a",@progbits
	.p2align	6, 0x0
	.amdhsa_kernel _ZN2at6native12_GLOBAL__N_143distribution_elementwise_grid_stride_kernelIjLi4EZZZNS0_9templates4cuda21random_from_to_kernelIPNS_17CUDAGeneratorImplEEEvRNS_18TensorIteratorBaseEmlT_ENKUlvE_clEvENKUlvE11_clEvEUlP25hiprandStatePhilox4_32_10E0_ZNS1_27distribution_nullary_kernelImj15HIP_vector_typeIjLj4EES7_SF_ZZZNS5_IS7_EEvS9_mlSA_ENKSB_clEvENKSC_clEvEUljE_EEvS9_T2_RKT3_T4_EUlijE0_EEvlNS_15PhiloxCudaStateET1_SK_
		.amdhsa_group_segment_fixed_size 0
		.amdhsa_private_segment_fixed_size 0
		.amdhsa_kernarg_size 592
		.amdhsa_user_sgpr_count 6
		.amdhsa_user_sgpr_private_segment_buffer 1
		.amdhsa_user_sgpr_dispatch_ptr 0
		.amdhsa_user_sgpr_queue_ptr 0
		.amdhsa_user_sgpr_kernarg_segment_ptr 1
		.amdhsa_user_sgpr_dispatch_id 0
		.amdhsa_user_sgpr_flat_scratch_init 0
		.amdhsa_user_sgpr_kernarg_preload_length 0
		.amdhsa_user_sgpr_kernarg_preload_offset 0
		.amdhsa_user_sgpr_private_segment_size 0
		.amdhsa_uses_dynamic_stack 0
		.amdhsa_system_sgpr_private_segment_wavefront_offset 0
		.amdhsa_system_sgpr_workgroup_id_x 1
		.amdhsa_system_sgpr_workgroup_id_y 0
		.amdhsa_system_sgpr_workgroup_id_z 0
		.amdhsa_system_sgpr_workgroup_info 0
		.amdhsa_system_vgpr_workitem_id 0
		.amdhsa_next_free_vgpr 43
		.amdhsa_next_free_sgpr 71
		.amdhsa_accum_offset 44
		.amdhsa_reserve_vcc 1
		.amdhsa_reserve_flat_scratch 0
		.amdhsa_float_round_mode_32 0
		.amdhsa_float_round_mode_16_64 0
		.amdhsa_float_denorm_mode_32 3
		.amdhsa_float_denorm_mode_16_64 3
		.amdhsa_dx10_clamp 1
		.amdhsa_ieee_mode 1
		.amdhsa_fp16_overflow 0
		.amdhsa_tg_split 0
		.amdhsa_exception_fp_ieee_invalid_op 0
		.amdhsa_exception_fp_denorm_src 0
		.amdhsa_exception_fp_ieee_div_zero 0
		.amdhsa_exception_fp_ieee_overflow 0
		.amdhsa_exception_fp_ieee_underflow 0
		.amdhsa_exception_fp_ieee_inexact 0
		.amdhsa_exception_int_div_zero 0
	.end_amdhsa_kernel
	.section	.text._ZN2at6native12_GLOBAL__N_143distribution_elementwise_grid_stride_kernelIjLi4EZZZNS0_9templates4cuda21random_from_to_kernelIPNS_17CUDAGeneratorImplEEEvRNS_18TensorIteratorBaseEmlT_ENKUlvE_clEvENKUlvE11_clEvEUlP25hiprandStatePhilox4_32_10E0_ZNS1_27distribution_nullary_kernelImj15HIP_vector_typeIjLj4EES7_SF_ZZZNS5_IS7_EEvS9_mlSA_ENKSB_clEvENKSC_clEvEUljE_EEvS9_T2_RKT3_T4_EUlijE0_EEvlNS_15PhiloxCudaStateET1_SK_,"axG",@progbits,_ZN2at6native12_GLOBAL__N_143distribution_elementwise_grid_stride_kernelIjLi4EZZZNS0_9templates4cuda21random_from_to_kernelIPNS_17CUDAGeneratorImplEEEvRNS_18TensorIteratorBaseEmlT_ENKUlvE_clEvENKUlvE11_clEvEUlP25hiprandStatePhilox4_32_10E0_ZNS1_27distribution_nullary_kernelImj15HIP_vector_typeIjLj4EES7_SF_ZZZNS5_IS7_EEvS9_mlSA_ENKSB_clEvENKSC_clEvEUljE_EEvS9_T2_RKT3_T4_EUlijE0_EEvlNS_15PhiloxCudaStateET1_SK_,comdat
.Lfunc_end51:
	.size	_ZN2at6native12_GLOBAL__N_143distribution_elementwise_grid_stride_kernelIjLi4EZZZNS0_9templates4cuda21random_from_to_kernelIPNS_17CUDAGeneratorImplEEEvRNS_18TensorIteratorBaseEmlT_ENKUlvE_clEvENKUlvE11_clEvEUlP25hiprandStatePhilox4_32_10E0_ZNS1_27distribution_nullary_kernelImj15HIP_vector_typeIjLj4EES7_SF_ZZZNS5_IS7_EEvS9_mlSA_ENKSB_clEvENKSC_clEvEUljE_EEvS9_T2_RKT3_T4_EUlijE0_EEvlNS_15PhiloxCudaStateET1_SK_, .Lfunc_end51-_ZN2at6native12_GLOBAL__N_143distribution_elementwise_grid_stride_kernelIjLi4EZZZNS0_9templates4cuda21random_from_to_kernelIPNS_17CUDAGeneratorImplEEEvRNS_18TensorIteratorBaseEmlT_ENKUlvE_clEvENKUlvE11_clEvEUlP25hiprandStatePhilox4_32_10E0_ZNS1_27distribution_nullary_kernelImj15HIP_vector_typeIjLj4EES7_SF_ZZZNS5_IS7_EEvS9_mlSA_ENKSB_clEvENKSC_clEvEUljE_EEvS9_T2_RKT3_T4_EUlijE0_EEvlNS_15PhiloxCudaStateET1_SK_
                                        ; -- End function
	.section	.AMDGPU.csdata,"",@progbits
; Kernel info:
; codeLenInByte = 4820
; NumSgprs: 75
; NumVgprs: 43
; NumAgprs: 0
; TotalNumVgprs: 43
; ScratchSize: 0
; MemoryBound: 0
; FloatMode: 240
; IeeeMode: 1
; LDSByteSize: 0 bytes/workgroup (compile time only)
; SGPRBlocks: 9
; VGPRBlocks: 5
; NumSGPRsForWavesPerEU: 75
; NumVGPRsForWavesPerEU: 43
; AccumOffset: 44
; Occupancy: 8
; WaveLimiterHint : 1
; COMPUTE_PGM_RSRC2:SCRATCH_EN: 0
; COMPUTE_PGM_RSRC2:USER_SGPR: 6
; COMPUTE_PGM_RSRC2:TRAP_HANDLER: 0
; COMPUTE_PGM_RSRC2:TGID_X_EN: 1
; COMPUTE_PGM_RSRC2:TGID_Y_EN: 0
; COMPUTE_PGM_RSRC2:TGID_Z_EN: 0
; COMPUTE_PGM_RSRC2:TIDIG_COMP_CNT: 0
; COMPUTE_PGM_RSRC3_GFX90A:ACCUM_OFFSET: 10
; COMPUTE_PGM_RSRC3_GFX90A:TG_SPLIT: 0
	.section	.text._ZN2at6native12_GLOBAL__N_143distribution_elementwise_grid_stride_kernelImLi2EZZZNS0_9templates4cuda32random_full_64_bits_range_kernelIPNS_17CUDAGeneratorImplEEEvRNS_18TensorIteratorBaseET_ENKUlvE_clEvENKUlvE_clEvEUlP25hiprandStatePhilox4_32_10E_ZNS1_27distribution_nullary_kernelIhm15HIP_vector_typeIyLj2EES7_SF_ZZZNS5_IS7_EEvS9_SA_ENKSB_clEvENKSC_clEvEUlmE_EEvS9_T2_RKT3_T4_EUlimE_EEvlNS_15PhiloxCudaStateET1_SK_,"axG",@progbits,_ZN2at6native12_GLOBAL__N_143distribution_elementwise_grid_stride_kernelImLi2EZZZNS0_9templates4cuda32random_full_64_bits_range_kernelIPNS_17CUDAGeneratorImplEEEvRNS_18TensorIteratorBaseET_ENKUlvE_clEvENKUlvE_clEvEUlP25hiprandStatePhilox4_32_10E_ZNS1_27distribution_nullary_kernelIhm15HIP_vector_typeIyLj2EES7_SF_ZZZNS5_IS7_EEvS9_SA_ENKSB_clEvENKSC_clEvEUlmE_EEvS9_T2_RKT3_T4_EUlimE_EEvlNS_15PhiloxCudaStateET1_SK_,comdat
	.globl	_ZN2at6native12_GLOBAL__N_143distribution_elementwise_grid_stride_kernelImLi2EZZZNS0_9templates4cuda32random_full_64_bits_range_kernelIPNS_17CUDAGeneratorImplEEEvRNS_18TensorIteratorBaseET_ENKUlvE_clEvENKUlvE_clEvEUlP25hiprandStatePhilox4_32_10E_ZNS1_27distribution_nullary_kernelIhm15HIP_vector_typeIyLj2EES7_SF_ZZZNS5_IS7_EEvS9_SA_ENKSB_clEvENKSC_clEvEUlmE_EEvS9_T2_RKT3_T4_EUlimE_EEvlNS_15PhiloxCudaStateET1_SK_ ; -- Begin function _ZN2at6native12_GLOBAL__N_143distribution_elementwise_grid_stride_kernelImLi2EZZZNS0_9templates4cuda32random_full_64_bits_range_kernelIPNS_17CUDAGeneratorImplEEEvRNS_18TensorIteratorBaseET_ENKUlvE_clEvENKUlvE_clEvEUlP25hiprandStatePhilox4_32_10E_ZNS1_27distribution_nullary_kernelIhm15HIP_vector_typeIyLj2EES7_SF_ZZZNS5_IS7_EEvS9_SA_ENKSB_clEvENKSC_clEvEUlmE_EEvS9_T2_RKT3_T4_EUlimE_EEvlNS_15PhiloxCudaStateET1_SK_
	.p2align	8
	.type	_ZN2at6native12_GLOBAL__N_143distribution_elementwise_grid_stride_kernelImLi2EZZZNS0_9templates4cuda32random_full_64_bits_range_kernelIPNS_17CUDAGeneratorImplEEEvRNS_18TensorIteratorBaseET_ENKUlvE_clEvENKUlvE_clEvEUlP25hiprandStatePhilox4_32_10E_ZNS1_27distribution_nullary_kernelIhm15HIP_vector_typeIyLj2EES7_SF_ZZZNS5_IS7_EEvS9_SA_ENKSB_clEvENKSC_clEvEUlmE_EEvS9_T2_RKT3_T4_EUlimE_EEvlNS_15PhiloxCudaStateET1_SK_,@function
_ZN2at6native12_GLOBAL__N_143distribution_elementwise_grid_stride_kernelImLi2EZZZNS0_9templates4cuda32random_full_64_bits_range_kernelIPNS_17CUDAGeneratorImplEEEvRNS_18TensorIteratorBaseET_ENKUlvE_clEvENKUlvE_clEvEUlP25hiprandStatePhilox4_32_10E_ZNS1_27distribution_nullary_kernelIhm15HIP_vector_typeIyLj2EES7_SF_ZZZNS5_IS7_EEvS9_SA_ENKSB_clEvENKSC_clEvEUlmE_EEvS9_T2_RKT3_T4_EUlimE_EEvlNS_15PhiloxCudaStateET1_SK_: ; @_ZN2at6native12_GLOBAL__N_143distribution_elementwise_grid_stride_kernelImLi2EZZZNS0_9templates4cuda32random_full_64_bits_range_kernelIPNS_17CUDAGeneratorImplEEEvRNS_18TensorIteratorBaseET_ENKUlvE_clEvENKUlvE_clEvEUlP25hiprandStatePhilox4_32_10E_ZNS1_27distribution_nullary_kernelIhm15HIP_vector_typeIyLj2EES7_SF_ZZZNS5_IS7_EEvS9_SA_ENKSB_clEvENKSC_clEvEUlmE_EEvS9_T2_RKT3_T4_EUlimE_EEvlNS_15PhiloxCudaStateET1_SK_
; %bb.0:
	s_load_dword s7, s[4:5], 0x20
	s_load_dwordx2 s[10:11], s[4:5], 0x10
	s_load_dwordx4 s[0:3], s[4:5], 0x0
	s_mov_b32 s8, 0
	s_waitcnt lgkmcnt(0)
	s_bitcmp0_b32 s7, 0
	v_pk_mov_b32 v[2:3], s[10:11], s[10:11] op_sel:[0,1]
	v_pk_mov_b32 v[12:13], s[2:3], s[2:3] op_sel:[0,1]
	s_cbranch_scc1 .LBB52_2
; %bb.1:
	v_pk_mov_b32 v[2:3], s[10:11], s[10:11] op_sel:[0,1]
	flat_load_dwordx2 v[2:3], v[2:3]
	v_pk_mov_b32 v[4:5], s[2:3], s[2:3] op_sel:[0,1]
	flat_load_dwordx2 v[12:13], v[4:5]
	s_load_dwordx2 s[2:3], s[4:5], 0x18
	s_waitcnt lgkmcnt(0)
	v_mov_b32_e32 v1, s3
	s_waitcnt vmcnt(0)
	v_add_co_u32_e32 v2, vcc, s2, v2
	v_addc_co_u32_e32 v3, vcc, v3, v1, vcc
.LBB52_2:
	s_load_dword s2, s[4:5], 0x4c
	s_load_dword s10, s[4:5], 0x40
	s_waitcnt lgkmcnt(0)
	s_and_b32 s7, s2, 0xffff
	s_add_u32 s11, s0, -1
	s_mul_i32 s12, s10, s7
	s_addc_u32 s9, s1, -1
	s_lshl_b32 s13, s12, 1
	s_cmp_lg_u64 s[8:9], 0
	s_mov_b64 s[2:3], -1
	s_cbranch_scc0 .LBB52_23
; %bb.3:
	v_cvt_f32_u32_e32 v1, s13
	v_cvt_f32_ubyte0_e32 v4, 0
	s_sub_u32 s8, 0, s13
	s_subb_u32 s14, 0, 0
	v_madmk_f32 v1, v4, 0x4f800000, v1
	v_rcp_f32_e32 v1, v1
	v_mul_f32_e32 v1, 0x5f7ffffc, v1
	v_mul_f32_e32 v4, 0x2f800000, v1
	v_trunc_f32_e32 v4, v4
	v_madmk_f32 v1, v4, 0xcf800000, v1
	v_cvt_u32_f32_e32 v4, v4
	v_cvt_u32_f32_e32 v1, v1
	v_readfirstlane_b32 s15, v4
	v_readfirstlane_b32 s16, v1
	s_mul_i32 s17, s8, s15
	s_mul_hi_u32 s19, s8, s16
	s_mul_i32 s18, s14, s16
	s_add_i32 s17, s19, s17
	s_add_i32 s17, s17, s18
	s_mul_i32 s20, s8, s16
	s_mul_hi_u32 s18, s16, s17
	s_mul_i32 s19, s16, s17
	s_mul_hi_u32 s16, s16, s20
	s_add_u32 s16, s16, s19
	s_addc_u32 s18, 0, s18
	s_mul_hi_u32 s21, s15, s20
	s_mul_i32 s20, s15, s20
	s_add_u32 s16, s16, s20
	s_mul_hi_u32 s19, s15, s17
	s_addc_u32 s16, s18, s21
	s_addc_u32 s18, s19, 0
	s_mul_i32 s17, s15, s17
	s_add_u32 s16, s16, s17
	s_addc_u32 s17, 0, s18
	v_add_co_u32_e32 v1, vcc, s16, v1
	s_cmp_lg_u64 vcc, 0
	s_addc_u32 s15, s15, s17
	v_readfirstlane_b32 s17, v1
	s_mul_i32 s16, s8, s15
	s_mul_hi_u32 s18, s8, s17
	s_add_i32 s16, s18, s16
	s_mul_i32 s14, s14, s17
	s_add_i32 s16, s16, s14
	s_mul_i32 s8, s8, s17
	s_mul_hi_u32 s18, s15, s8
	s_mul_i32 s19, s15, s8
	s_mul_i32 s21, s17, s16
	s_mul_hi_u32 s8, s17, s8
	s_mul_hi_u32 s20, s17, s16
	s_add_u32 s8, s8, s21
	s_addc_u32 s17, 0, s20
	s_add_u32 s8, s8, s19
	s_mul_hi_u32 s14, s15, s16
	s_addc_u32 s8, s17, s18
	s_addc_u32 s14, s14, 0
	s_mul_i32 s16, s15, s16
	s_add_u32 s8, s8, s16
	s_addc_u32 s14, 0, s14
	v_add_co_u32_e32 v1, vcc, s8, v1
	s_cmp_lg_u64 vcc, 0
	s_addc_u32 s16, s15, s14
	s_ashr_i32 s14, s9, 31
	s_add_u32 s8, s11, s14
	s_mov_b32 s15, s14
	s_addc_u32 s9, s9, s14
	s_xor_b64 s[8:9], s[8:9], s[14:15]
	v_readfirstlane_b32 s19, v1
	s_mul_i32 s18, s8, s16
	s_mul_hi_u32 s20, s8, s19
	s_mul_hi_u32 s17, s8, s16
	s_add_u32 s18, s20, s18
	s_addc_u32 s17, 0, s17
	s_mul_hi_u32 s21, s9, s19
	s_mul_i32 s19, s9, s19
	s_add_u32 s18, s18, s19
	s_mul_hi_u32 s20, s9, s16
	s_addc_u32 s17, s17, s21
	s_addc_u32 s18, s20, 0
	s_mul_i32 s16, s9, s16
	s_add_u32 s16, s17, s16
	s_addc_u32 s17, 0, s18
	s_add_u32 s18, s16, 1
	s_addc_u32 s19, s17, 0
	s_add_u32 s20, s16, 2
	s_mul_i32 s22, s13, s17
	s_mul_hi_u32 s23, s13, s16
	s_addc_u32 s21, s17, 0
	s_add_i32 s23, s23, s22
	s_mul_i32 s22, s13, s16
	v_mov_b32_e32 v1, s22
	v_sub_co_u32_e32 v1, vcc, s8, v1
	s_cmp_lg_u64 vcc, 0
	s_subb_u32 s8, s9, s23
	v_subrev_co_u32_e32 v4, vcc, s13, v1
	s_cmp_lg_u64 vcc, 0
	s_subb_u32 s9, s8, 0
	v_readfirstlane_b32 s22, v4
	s_cmp_ge_u32 s22, s13
	s_cselect_b32 s22, -1, 0
	s_cmp_eq_u32 s9, 0
	s_cselect_b32 s9, s22, -1
	s_cmp_lg_u32 s9, 0
	s_cselect_b32 s9, s21, s19
	v_readfirstlane_b32 s19, v1
	s_cselect_b32 s18, s20, s18
	s_cmp_ge_u32 s19, s13
	s_cselect_b32 s19, -1, 0
	s_cmp_eq_u32 s8, 0
	s_cselect_b32 s8, s19, -1
	s_cmp_lg_u32 s8, 0
	s_cselect_b32 s9, s9, s17
	s_cselect_b32 s8, s18, s16
	s_xor_b64 s[8:9], s[8:9], s[14:15]
	s_sub_u32 s8, s8, s14
	s_subb_u32 s9, s9, s14
	s_cbranch_execnz .LBB52_5
.LBB52_4:
	v_cvt_f32_u32_e32 v1, s13
	s_sub_i32 s2, 0, s13
	s_mov_b32 s9, 0
	v_rcp_iflag_f32_e32 v1, v1
	v_mul_f32_e32 v1, 0x4f7ffffe, v1
	v_cvt_u32_f32_e32 v1, v1
	v_readfirstlane_b32 s3, v1
	s_mul_i32 s2, s2, s3
	s_mul_hi_u32 s2, s3, s2
	s_add_i32 s3, s3, s2
	s_mul_hi_u32 s2, s11, s3
	s_mul_i32 s8, s2, s13
	s_sub_i32 s8, s11, s8
	s_add_i32 s3, s2, 1
	s_sub_i32 s11, s8, s13
	s_cmp_ge_u32 s8, s13
	s_cselect_b32 s2, s3, s2
	s_cselect_b32 s8, s11, s8
	s_add_i32 s3, s2, 1
	s_cmp_ge_u32 s8, s13
	s_cselect_b32 s8, s3, s2
.LBB52_5:
	v_mov_b32_e32 v1, 0
	v_mov_b32_e32 v4, s6
	v_mad_u64_u32 v[14:15], s[2:3], s7, v4, v[0:1]
	s_add_u32 s2, s8, 1
	s_addc_u32 s3, s9, 0
	s_mul_hi_u32 s8, s10, s7
	s_mul_i32 s3, s12, s3
	s_mul_hi_u32 s9, s12, s2
	s_add_i32 s3, s9, s3
	s_mul_i32 s8, s8, s2
	s_add_i32 s3, s3, s8
	s_mul_i32 s2, s12, s2
	s_lshl_b64 s[2:3], s[2:3], 1
	v_cmp_gt_i64_e32 vcc, s[2:3], v[14:15]
	s_and_saveexec_b64 s[8:9], vcc
	s_cbranch_execz .LBB52_22
; %bb.6:
	s_load_dwordx2 s[8:9], s[4:5], 0x30
	s_load_dword s11, s[4:5], 0x38
	s_mov_b32 s4, 0x5384540f
	v_mov_b32_e32 v4, v13
	v_add_co_u32_e32 v20, vcc, s4, v12
	s_mov_b32 s4, 0x646e171e
	v_add_co_u32_e32 v21, vcc, s4, v4
	s_mov_b32 s4, 0x1715609d
	;; [unrolled: 2-line block ×6, first 2 shown]
	v_alignbit_b32 v27, v3, v2, 2
	s_mov_b32 s15, 0xd2511f53
	v_add_co_u32_e32 v26, vcc, s4, v12
	v_mad_u64_u32 v[6:7], s[4:5], v27, s15, 0
	v_xor_b32_e32 v1, v7, v13
	v_xor_b32_e32 v1, v1, v15
	s_mov_b32 s16, 0xcd9e8d57
	v_mad_u64_u32 v[8:9], s[4:5], v1, s16, 0
	v_xor_b32_e32 v1, v26, v9
	v_mad_u64_u32 v[10:11], s[4:5], v14, s16, 0
	v_and_b32_e32 v16, 3, v2
	v_xor_b32_e32 v1, v1, v10
	v_xor_b32_e32 v2, v12, v11
	v_lshrrev_b32_e32 v28, 2, v3
	v_mad_u64_u32 v[32:33], s[4:5], v1, s15, 0
	v_xor_b32_e32 v2, v2, v28
	v_xor_b32_e32 v1, v25, v33
	v_mad_u64_u32 v[2:3], s[4:5], v2, s15, 0
	v_xor_b32_e32 v1, v1, v2
	v_mad_u64_u32 v[10:11], s[4:5], v1, s16, 0
	s_mov_b32 s4, 0xbb67ae85
	v_add_co_u32_e32 v29, vcc, s4, v4
	v_xor_b32_e32 v2, v29, v3
	v_xor_b32_e32 v2, v2, v6
	v_xor_b32_e32 v1, v24, v11
	v_mad_u64_u32 v[2:3], s[4:5], v2, s16, 0
	v_xor_b32_e32 v1, v1, v2
	v_mad_u64_u32 v[6:7], s[4:5], v1, s15, 0
	s_mov_b32 s4, 0x3c6ef372
	v_add_co_u32_e32 v30, vcc, s4, v12
	v_xor_b32_e32 v2, v30, v3
	;; [unrolled: 8-line block ×6, first 2 shown]
	v_add_co_u32_e32 v19, vcc, 0xdb3d7428, v4
	v_xor_b32_e32 v2, v2, v8
	v_xor_b32_e32 v1, v19, v7
	v_mad_u64_u32 v[2:3], s[4:5], v2, s15, 0
	v_xor_b32_e32 v1, v1, v2
	v_mad_u64_u32 v[8:9], s[4:5], v1, s16, 0
	s_mov_b32 s4, 0x1fd5c5a3
	v_add_co_u32_e32 v35, vcc, s4, v4
	v_xor_b32_e32 v1, v35, v3
	v_xor_b32_e32 v1, v1, v36
	v_mad_u64_u32 v[2:3], s[4:5], v1, s16, 0
	s_mov_b32 s4, 0xf1bbcdc8
	v_add_co_u32_e32 v36, vcc, s4, v12
	v_xor_b32_e32 v1, v36, v3
	v_xor_b32_e32 v1, v1, v10
	v_mad_u64_u32 v[4:5], s[4:5], v1, s15, 0
	s_mul_i32 s4, s6, s7
	v_mov_b32_e32 v3, v4
	v_add_u32_e32 v4, s4, v0
	s_waitcnt lgkmcnt(0)
	s_mul_i32 s4, s10, s11
	s_mul_i32 s4, s4, s7
	s_lshl_b32 s17, s4, 1
	s_add_i32 s4, s6, s10
	s_mul_i32 s4, s4, s7
	s_mov_b32 s14, 0
	v_add_u32_e32 v18, 0x96a522ad, v13
	v_xor_b32_e32 v1, v5, v6
	v_add_u32_e32 v0, s4, v0
	v_add_u32_e32 v17, 0x8ff34781, v12
	v_xor_b32_e32 v2, v18, v1
	v_mov_b32_e32 v1, v8
	v_mul_lo_u32 v37, s11, v4
	v_mul_lo_u32 v38, s11, v0
	s_mov_b64 s[4:5], 0
	s_mov_b32 s18, s14
	v_mov_b32_e32 v39, v14
	v_mov_b32_e32 v40, v15
	s_branch .LBB52_8
.LBB52_7:                               ;   in Loop: Header=BB52_8 Depth=1
	s_or_b64 exec, exec, s[6:7]
	v_add_co_u32_e32 v14, vcc, s13, v14
	v_addc_co_u32_e32 v15, vcc, 0, v15, vcc
	v_mov_b32_e32 v7, v4
	s_add_i32 s18, s18, s17
	v_cmp_le_i64_e32 vcc, s[2:3], v[14:15]
	v_pk_mov_b32 v[0:1], v[4:5], v[4:5] op_sel:[0,1]
	s_or_b64 s[4:5], vcc, s[4:5]
	v_pk_mov_b32 v[2:3], v[6:7], v[6:7] op_sel:[0,1]
	s_barrier
	s_andn2_b64 exec, exec, s[4:5]
	s_cbranch_execz .LBB52_22
.LBB52_8:                               ; =>This Inner Loop Header: Depth=1
	v_add_co_u32_e32 v27, vcc, 1, v27
	v_cndmask_b32_e64 v0, 0, 1, vcc
	v_addc_co_u32_e32 v28, vcc, 0, v28, vcc
	v_cmp_eq_u32_e32 vcc, 0, v28
	v_cndmask_b32_e32 v0, 0, v0, vcc
	v_add_u32_e32 v39, v0, v39
	v_cmp_eq_u32_e32 vcc, 0, v39
	v_cndmask_b32_e32 v0, 0, v0, vcc
	v_mad_u64_u32 v[4:5], s[6:7], v27, s15, 0
	v_add_u32_e32 v40, v0, v40
	v_mad_u64_u32 v[6:7], s[6:7], v39, s16, 0
	v_xor_b32_e32 v5, v5, v13
	v_xor_b32_e32 v0, v7, v12
	v_xor_b32_e32 v5, v40, v5
	v_xor_b32_e32 v0, v28, v0
	v_mad_u64_u32 v[10:11], s[6:7], v5, s16, 0
	v_mad_u64_u32 v[8:9], s[6:7], v0, s15, 0
	v_xor_b32_e32 v0, v26, v11
	v_xor_b32_e32 v0, v0, v6
	v_xor_b32_e32 v5, v29, v9
	v_xor_b32_e32 v6, v5, v4
	v_mad_u64_u32 v[4:5], s[6:7], v0, s15, 0
	v_mad_u64_u32 v[6:7], s[6:7], v6, s16, 0
	v_xor_b32_e32 v5, v25, v5
	v_xor_b32_e32 v0, v30, v7
	v_xor_b32_e32 v5, v5, v8
	v_xor_b32_e32 v0, v0, v10
	v_mad_u64_u32 v[10:11], s[6:7], v5, s16, 0
	v_mad_u64_u32 v[8:9], s[6:7], v0, s15, 0
	v_xor_b32_e32 v0, v24, v11
	v_xor_b32_e32 v0, v0, v6
	v_xor_b32_e32 v5, v31, v9
	v_xor_b32_e32 v6, v5, v4
	v_mad_u64_u32 v[4:5], s[6:7], v0, s15, 0
	v_mad_u64_u32 v[6:7], s[6:7], v6, s16, 0
	v_xor_b32_e32 v5, v23, v5
	v_xor_b32_e32 v0, v32, v7
	v_xor_b32_e32 v5, v5, v8
	v_xor_b32_e32 v0, v0, v10
	v_mad_u64_u32 v[10:11], s[6:7], v5, s16, 0
	v_mad_u64_u32 v[8:9], s[6:7], v0, s15, 0
	v_xor_b32_e32 v0, v22, v11
	v_xor_b32_e32 v0, v0, v6
	v_xor_b32_e32 v5, v33, v9
	v_xor_b32_e32 v6, v5, v4
	v_mad_u64_u32 v[4:5], s[6:7], v0, s15, 0
	v_mad_u64_u32 v[6:7], s[6:7], v6, s16, 0
	v_xor_b32_e32 v5, v21, v5
	v_xor_b32_e32 v0, v34, v7
	v_xor_b32_e32 v5, v5, v8
	v_xor_b32_e32 v0, v0, v10
	v_mad_u64_u32 v[10:11], s[6:7], v5, s16, 0
	v_mad_u64_u32 v[8:9], s[6:7], v0, s15, 0
	v_xor_b32_e32 v0, v20, v11
	v_xor_b32_e32 v0, v0, v6
	v_xor_b32_e32 v5, v35, v9
	v_xor_b32_e32 v4, v5, v4
	v_mad_u64_u32 v[6:7], s[6:7], v0, s15, 0
	v_mad_u64_u32 v[42:43], s[6:7], v4, s16, 0
	v_xor_b32_e32 v4, v19, v7
	v_xor_b32_e32 v0, v36, v43
	v_xor_b32_e32 v7, v4, v8
	v_xor_b32_e32 v0, v0, v10
	v_mad_u64_u32 v[10:11], s[6:7], v7, s16, 0
	v_mad_u64_u32 v[4:5], s[6:7], v0, s15, 0
	v_xor_b32_e32 v0, v11, v42
	v_xor_b32_e32 v8, v17, v0
	;; [unrolled: 1-line block ×4, first 2 shown]
	v_mov_b32_e32 v5, v10
	v_mov_b32_e32 v6, v9
	v_cmp_lt_i32_e32 vcc, 1, v16
	s_and_saveexec_b64 s[6:7], vcc
	s_xor_b64 s[6:7], exec, s[6:7]
	s_cbranch_execnz .LBB52_14
; %bb.9:                                ;   in Loop: Header=BB52_8 Depth=1
	s_andn2_saveexec_b64 s[6:7], s[6:7]
	s_cbranch_execnz .LBB52_19
.LBB52_10:                              ;   in Loop: Header=BB52_8 Depth=1
	s_or_b64 exec, exec, s[6:7]
	v_cmp_gt_i64_e32 vcc, s[0:1], v[14:15]
	s_and_saveexec_b64 s[6:7], vcc
	s_cbranch_execz .LBB52_12
.LBB52_11:                              ;   in Loop: Header=BB52_8 Depth=1
	v_add_u32_e32 v0, s18, v37
	v_ashrrev_i32_e32 v2, 31, v0
	v_mov_b32_e32 v7, s9
	v_add_co_u32_e32 v8, vcc, s8, v0
	v_addc_co_u32_e32 v9, vcc, v7, v2, vcc
	global_store_byte v[8:9], v1, off
.LBB52_12:                              ;   in Loop: Header=BB52_8 Depth=1
	s_or_b64 exec, exec, s[6:7]
	v_mov_b32_e32 v1, s14
	v_add_co_u32_e32 v0, vcc, s12, v14
	v_addc_co_u32_e32 v1, vcc, v1, v15, vcc
	v_cmp_gt_i64_e32 vcc, s[0:1], v[0:1]
	s_and_saveexec_b64 s[6:7], vcc
	s_cbranch_execz .LBB52_7
; %bb.13:                               ;   in Loop: Header=BB52_8 Depth=1
	v_add_u32_e32 v0, s18, v38
	v_ashrrev_i32_e32 v1, 31, v0
	v_mov_b32_e32 v2, s9
	v_add_co_u32_e32 v0, vcc, s8, v0
	v_addc_co_u32_e32 v1, vcc, v2, v1, vcc
	global_store_byte v[0:1], v3, off
	s_branch .LBB52_7
.LBB52_14:                              ;   in Loop: Header=BB52_8 Depth=1
	v_cmp_lt_i32_e32 vcc, 2, v16
	s_and_saveexec_b64 s[10:11], vcc
	s_xor_b64 s[10:11], exec, s[10:11]
; %bb.15:                               ;   in Loop: Header=BB52_8 Depth=1
	v_mov_b32_e32 v7, v8
	v_pk_mov_b32 v[0:1], v[6:7], v[6:7] op_sel:[0,1]
	v_pk_mov_b32 v[2:3], v[8:9], v[8:9] op_sel:[0,1]
                                        ; implicit-def: $vgpr10_vgpr11
; %bb.16:                               ;   in Loop: Header=BB52_8 Depth=1
	s_andn2_saveexec_b64 s[10:11], s[10:11]
; %bb.17:                               ;   in Loop: Header=BB52_8 Depth=1
	v_mov_b32_e32 v1, v3
	v_mov_b32_e32 v3, v10
; %bb.18:                               ;   in Loop: Header=BB52_8 Depth=1
	s_or_b64 exec, exec, s[10:11]
                                        ; implicit-def: $vgpr8_vgpr9_vgpr10_vgpr11
	s_andn2_saveexec_b64 s[6:7], s[6:7]
	s_cbranch_execz .LBB52_10
.LBB52_19:                              ;   in Loop: Header=BB52_8 Depth=1
	v_cmp_eq_u32_e32 vcc, 1, v16
	s_and_saveexec_b64 s[10:11], vcc
; %bb.20:                               ;   in Loop: Header=BB52_8 Depth=1
	v_mov_b32_e32 v1, v2
	v_mov_b32_e32 v3, v8
; %bb.21:                               ;   in Loop: Header=BB52_8 Depth=1
	s_or_b64 exec, exec, s[10:11]
	s_or_b64 exec, exec, s[6:7]
	v_cmp_gt_i64_e32 vcc, s[0:1], v[14:15]
	s_and_saveexec_b64 s[6:7], vcc
	s_cbranch_execnz .LBB52_11
	s_branch .LBB52_12
.LBB52_22:
	s_endpgm
.LBB52_23:
                                        ; implicit-def: $sgpr8_sgpr9
	s_andn2_b64 vcc, exec, s[2:3]
	s_cbranch_vccz .LBB52_4
	s_branch .LBB52_5
	.section	.rodata,"a",@progbits
	.p2align	6, 0x0
	.amdhsa_kernel _ZN2at6native12_GLOBAL__N_143distribution_elementwise_grid_stride_kernelImLi2EZZZNS0_9templates4cuda32random_full_64_bits_range_kernelIPNS_17CUDAGeneratorImplEEEvRNS_18TensorIteratorBaseET_ENKUlvE_clEvENKUlvE_clEvEUlP25hiprandStatePhilox4_32_10E_ZNS1_27distribution_nullary_kernelIhm15HIP_vector_typeIyLj2EES7_SF_ZZZNS5_IS7_EEvS9_SA_ENKSB_clEvENKSC_clEvEUlmE_EEvS9_T2_RKT3_T4_EUlimE_EEvlNS_15PhiloxCudaStateET1_SK_
		.amdhsa_group_segment_fixed_size 0
		.amdhsa_private_segment_fixed_size 0
		.amdhsa_kernarg_size 320
		.amdhsa_user_sgpr_count 6
		.amdhsa_user_sgpr_private_segment_buffer 1
		.amdhsa_user_sgpr_dispatch_ptr 0
		.amdhsa_user_sgpr_queue_ptr 0
		.amdhsa_user_sgpr_kernarg_segment_ptr 1
		.amdhsa_user_sgpr_dispatch_id 0
		.amdhsa_user_sgpr_flat_scratch_init 0
		.amdhsa_user_sgpr_kernarg_preload_length 0
		.amdhsa_user_sgpr_kernarg_preload_offset 0
		.amdhsa_user_sgpr_private_segment_size 0
		.amdhsa_uses_dynamic_stack 0
		.amdhsa_system_sgpr_private_segment_wavefront_offset 0
		.amdhsa_system_sgpr_workgroup_id_x 1
		.amdhsa_system_sgpr_workgroup_id_y 0
		.amdhsa_system_sgpr_workgroup_id_z 0
		.amdhsa_system_sgpr_workgroup_info 0
		.amdhsa_system_vgpr_workitem_id 0
		.amdhsa_next_free_vgpr 44
		.amdhsa_next_free_sgpr 24
		.amdhsa_accum_offset 44
		.amdhsa_reserve_vcc 1
		.amdhsa_reserve_flat_scratch 0
		.amdhsa_float_round_mode_32 0
		.amdhsa_float_round_mode_16_64 0
		.amdhsa_float_denorm_mode_32 3
		.amdhsa_float_denorm_mode_16_64 3
		.amdhsa_dx10_clamp 1
		.amdhsa_ieee_mode 1
		.amdhsa_fp16_overflow 0
		.amdhsa_tg_split 0
		.amdhsa_exception_fp_ieee_invalid_op 0
		.amdhsa_exception_fp_denorm_src 0
		.amdhsa_exception_fp_ieee_div_zero 0
		.amdhsa_exception_fp_ieee_overflow 0
		.amdhsa_exception_fp_ieee_underflow 0
		.amdhsa_exception_fp_ieee_inexact 0
		.amdhsa_exception_int_div_zero 0
	.end_amdhsa_kernel
	.section	.text._ZN2at6native12_GLOBAL__N_143distribution_elementwise_grid_stride_kernelImLi2EZZZNS0_9templates4cuda32random_full_64_bits_range_kernelIPNS_17CUDAGeneratorImplEEEvRNS_18TensorIteratorBaseET_ENKUlvE_clEvENKUlvE_clEvEUlP25hiprandStatePhilox4_32_10E_ZNS1_27distribution_nullary_kernelIhm15HIP_vector_typeIyLj2EES7_SF_ZZZNS5_IS7_EEvS9_SA_ENKSB_clEvENKSC_clEvEUlmE_EEvS9_T2_RKT3_T4_EUlimE_EEvlNS_15PhiloxCudaStateET1_SK_,"axG",@progbits,_ZN2at6native12_GLOBAL__N_143distribution_elementwise_grid_stride_kernelImLi2EZZZNS0_9templates4cuda32random_full_64_bits_range_kernelIPNS_17CUDAGeneratorImplEEEvRNS_18TensorIteratorBaseET_ENKUlvE_clEvENKUlvE_clEvEUlP25hiprandStatePhilox4_32_10E_ZNS1_27distribution_nullary_kernelIhm15HIP_vector_typeIyLj2EES7_SF_ZZZNS5_IS7_EEvS9_SA_ENKSB_clEvENKSC_clEvEUlmE_EEvS9_T2_RKT3_T4_EUlimE_EEvlNS_15PhiloxCudaStateET1_SK_,comdat
.Lfunc_end52:
	.size	_ZN2at6native12_GLOBAL__N_143distribution_elementwise_grid_stride_kernelImLi2EZZZNS0_9templates4cuda32random_full_64_bits_range_kernelIPNS_17CUDAGeneratorImplEEEvRNS_18TensorIteratorBaseET_ENKUlvE_clEvENKUlvE_clEvEUlP25hiprandStatePhilox4_32_10E_ZNS1_27distribution_nullary_kernelIhm15HIP_vector_typeIyLj2EES7_SF_ZZZNS5_IS7_EEvS9_SA_ENKSB_clEvENKSC_clEvEUlmE_EEvS9_T2_RKT3_T4_EUlimE_EEvlNS_15PhiloxCudaStateET1_SK_, .Lfunc_end52-_ZN2at6native12_GLOBAL__N_143distribution_elementwise_grid_stride_kernelImLi2EZZZNS0_9templates4cuda32random_full_64_bits_range_kernelIPNS_17CUDAGeneratorImplEEEvRNS_18TensorIteratorBaseET_ENKUlvE_clEvENKUlvE_clEvEUlP25hiprandStatePhilox4_32_10E_ZNS1_27distribution_nullary_kernelIhm15HIP_vector_typeIyLj2EES7_SF_ZZZNS5_IS7_EEvS9_SA_ENKSB_clEvENKSC_clEvEUlmE_EEvS9_T2_RKT3_T4_EUlimE_EEvlNS_15PhiloxCudaStateET1_SK_
                                        ; -- End function
	.section	.AMDGPU.csdata,"",@progbits
; Kernel info:
; codeLenInByte = 2132
; NumSgprs: 28
; NumVgprs: 44
; NumAgprs: 0
; TotalNumVgprs: 44
; ScratchSize: 0
; MemoryBound: 0
; FloatMode: 240
; IeeeMode: 1
; LDSByteSize: 0 bytes/workgroup (compile time only)
; SGPRBlocks: 3
; VGPRBlocks: 5
; NumSGPRsForWavesPerEU: 28
; NumVGPRsForWavesPerEU: 44
; AccumOffset: 44
; Occupancy: 8
; WaveLimiterHint : 0
; COMPUTE_PGM_RSRC2:SCRATCH_EN: 0
; COMPUTE_PGM_RSRC2:USER_SGPR: 6
; COMPUTE_PGM_RSRC2:TRAP_HANDLER: 0
; COMPUTE_PGM_RSRC2:TGID_X_EN: 1
; COMPUTE_PGM_RSRC2:TGID_Y_EN: 0
; COMPUTE_PGM_RSRC2:TGID_Z_EN: 0
; COMPUTE_PGM_RSRC2:TIDIG_COMP_CNT: 0
; COMPUTE_PGM_RSRC3_GFX90A:ACCUM_OFFSET: 10
; COMPUTE_PGM_RSRC3_GFX90A:TG_SPLIT: 0
	.section	.text._ZN2at6native12_GLOBAL__N_143distribution_elementwise_grid_stride_kernelImLi2EZZZNS0_9templates4cuda32random_full_64_bits_range_kernelIPNS_17CUDAGeneratorImplEEEvRNS_18TensorIteratorBaseET_ENKUlvE_clEvENKUlvE_clEvEUlP25hiprandStatePhilox4_32_10E_ZNS1_27distribution_nullary_kernelIhm15HIP_vector_typeIyLj2EES7_SF_ZZZNS5_IS7_EEvS9_SA_ENKSB_clEvENKSC_clEvEUlmE_EEvS9_T2_RKT3_T4_EUlimE0_EEvlNS_15PhiloxCudaStateET1_SK_,"axG",@progbits,_ZN2at6native12_GLOBAL__N_143distribution_elementwise_grid_stride_kernelImLi2EZZZNS0_9templates4cuda32random_full_64_bits_range_kernelIPNS_17CUDAGeneratorImplEEEvRNS_18TensorIteratorBaseET_ENKUlvE_clEvENKUlvE_clEvEUlP25hiprandStatePhilox4_32_10E_ZNS1_27distribution_nullary_kernelIhm15HIP_vector_typeIyLj2EES7_SF_ZZZNS5_IS7_EEvS9_SA_ENKSB_clEvENKSC_clEvEUlmE_EEvS9_T2_RKT3_T4_EUlimE0_EEvlNS_15PhiloxCudaStateET1_SK_,comdat
	.globl	_ZN2at6native12_GLOBAL__N_143distribution_elementwise_grid_stride_kernelImLi2EZZZNS0_9templates4cuda32random_full_64_bits_range_kernelIPNS_17CUDAGeneratorImplEEEvRNS_18TensorIteratorBaseET_ENKUlvE_clEvENKUlvE_clEvEUlP25hiprandStatePhilox4_32_10E_ZNS1_27distribution_nullary_kernelIhm15HIP_vector_typeIyLj2EES7_SF_ZZZNS5_IS7_EEvS9_SA_ENKSB_clEvENKSC_clEvEUlmE_EEvS9_T2_RKT3_T4_EUlimE0_EEvlNS_15PhiloxCudaStateET1_SK_ ; -- Begin function _ZN2at6native12_GLOBAL__N_143distribution_elementwise_grid_stride_kernelImLi2EZZZNS0_9templates4cuda32random_full_64_bits_range_kernelIPNS_17CUDAGeneratorImplEEEvRNS_18TensorIteratorBaseET_ENKUlvE_clEvENKUlvE_clEvEUlP25hiprandStatePhilox4_32_10E_ZNS1_27distribution_nullary_kernelIhm15HIP_vector_typeIyLj2EES7_SF_ZZZNS5_IS7_EEvS9_SA_ENKSB_clEvENKSC_clEvEUlmE_EEvS9_T2_RKT3_T4_EUlimE0_EEvlNS_15PhiloxCudaStateET1_SK_
	.p2align	8
	.type	_ZN2at6native12_GLOBAL__N_143distribution_elementwise_grid_stride_kernelImLi2EZZZNS0_9templates4cuda32random_full_64_bits_range_kernelIPNS_17CUDAGeneratorImplEEEvRNS_18TensorIteratorBaseET_ENKUlvE_clEvENKUlvE_clEvEUlP25hiprandStatePhilox4_32_10E_ZNS1_27distribution_nullary_kernelIhm15HIP_vector_typeIyLj2EES7_SF_ZZZNS5_IS7_EEvS9_SA_ENKSB_clEvENKSC_clEvEUlmE_EEvS9_T2_RKT3_T4_EUlimE0_EEvlNS_15PhiloxCudaStateET1_SK_,@function
_ZN2at6native12_GLOBAL__N_143distribution_elementwise_grid_stride_kernelImLi2EZZZNS0_9templates4cuda32random_full_64_bits_range_kernelIPNS_17CUDAGeneratorImplEEEvRNS_18TensorIteratorBaseET_ENKUlvE_clEvENKUlvE_clEvEUlP25hiprandStatePhilox4_32_10E_ZNS1_27distribution_nullary_kernelIhm15HIP_vector_typeIyLj2EES7_SF_ZZZNS5_IS7_EEvS9_SA_ENKSB_clEvENKSC_clEvEUlmE_EEvS9_T2_RKT3_T4_EUlimE0_EEvlNS_15PhiloxCudaStateET1_SK_: ; @_ZN2at6native12_GLOBAL__N_143distribution_elementwise_grid_stride_kernelImLi2EZZZNS0_9templates4cuda32random_full_64_bits_range_kernelIPNS_17CUDAGeneratorImplEEEvRNS_18TensorIteratorBaseET_ENKUlvE_clEvENKUlvE_clEvEUlP25hiprandStatePhilox4_32_10E_ZNS1_27distribution_nullary_kernelIhm15HIP_vector_typeIyLj2EES7_SF_ZZZNS5_IS7_EEvS9_SA_ENKSB_clEvENKSC_clEvEUlmE_EEvS9_T2_RKT3_T4_EUlimE0_EEvlNS_15PhiloxCudaStateET1_SK_
; %bb.0:
	s_load_dword s2, s[4:5], 0x20
	s_load_dwordx2 s[0:1], s[4:5], 0x10
	s_load_dwordx4 s[24:27], s[4:5], 0x0
	s_waitcnt lgkmcnt(0)
	s_bitcmp0_b32 s2, 0
	s_mov_b32 s2, 0
	v_pk_mov_b32 v[2:3], s[0:1], s[0:1] op_sel:[0,1]
	v_pk_mov_b32 v[12:13], s[26:27], s[26:27] op_sel:[0,1]
	s_cbranch_scc1 .LBB53_2
; %bb.1:
	v_pk_mov_b32 v[2:3], s[0:1], s[0:1] op_sel:[0,1]
	flat_load_dwordx2 v[2:3], v[2:3]
	v_pk_mov_b32 v[4:5], s[26:27], s[26:27] op_sel:[0,1]
	flat_load_dwordx2 v[12:13], v[4:5]
	s_load_dwordx2 s[0:1], s[4:5], 0x18
	s_waitcnt lgkmcnt(0)
	v_mov_b32_e32 v1, s1
	s_waitcnt vmcnt(0)
	v_add_co_u32_e32 v2, vcc, s0, v2
	v_addc_co_u32_e32 v3, vcc, v3, v1, vcc
.LBB53_2:
	s_load_dword s0, s[4:5], 0x154
	s_load_dword s7, s[4:5], 0x148
	s_waitcnt lgkmcnt(0)
	s_and_b32 s8, s0, 0xffff
	s_add_u32 s9, s24, -1
	s_mul_i32 s33, s7, s8
	s_addc_u32 s3, s25, -1
	s_lshl_b32 s58, s33, 1
	s_cmp_lg_u64 s[2:3], 0
	s_mov_b64 s[0:1], -1
	s_cbranch_scc0 .LBB53_51
; %bb.3:
	v_cvt_f32_u32_e32 v1, s58
	v_cvt_f32_ubyte0_e32 v4, 0
	s_sub_u32 s2, 0, s58
	s_subb_u32 s10, 0, 0
	v_madmk_f32 v1, v4, 0x4f800000, v1
	v_rcp_f32_e32 v1, v1
	v_mul_f32_e32 v1, 0x5f7ffffc, v1
	v_mul_f32_e32 v4, 0x2f800000, v1
	v_trunc_f32_e32 v4, v4
	v_madmk_f32 v1, v4, 0xcf800000, v1
	v_cvt_u32_f32_e32 v4, v4
	v_cvt_u32_f32_e32 v1, v1
	v_readfirstlane_b32 s11, v4
	v_readfirstlane_b32 s12, v1
	s_mul_i32 s13, s2, s11
	s_mul_hi_u32 s15, s2, s12
	s_mul_i32 s14, s10, s12
	s_add_i32 s13, s15, s13
	s_add_i32 s13, s13, s14
	s_mul_i32 s16, s2, s12
	s_mul_hi_u32 s14, s12, s13
	s_mul_i32 s15, s12, s13
	s_mul_hi_u32 s12, s12, s16
	s_add_u32 s12, s12, s15
	s_addc_u32 s14, 0, s14
	s_mul_hi_u32 s17, s11, s16
	s_mul_i32 s16, s11, s16
	s_add_u32 s12, s12, s16
	s_mul_hi_u32 s15, s11, s13
	s_addc_u32 s12, s14, s17
	s_addc_u32 s14, s15, 0
	s_mul_i32 s13, s11, s13
	s_add_u32 s12, s12, s13
	s_addc_u32 s13, 0, s14
	v_add_co_u32_e32 v1, vcc, s12, v1
	s_cmp_lg_u64 vcc, 0
	s_addc_u32 s11, s11, s13
	v_readfirstlane_b32 s13, v1
	s_mul_i32 s12, s2, s11
	s_mul_hi_u32 s14, s2, s13
	s_add_i32 s12, s14, s12
	s_mul_i32 s10, s10, s13
	s_add_i32 s12, s12, s10
	s_mul_i32 s2, s2, s13
	s_mul_hi_u32 s14, s11, s2
	s_mul_i32 s15, s11, s2
	s_mul_i32 s17, s13, s12
	s_mul_hi_u32 s2, s13, s2
	s_mul_hi_u32 s16, s13, s12
	s_add_u32 s2, s2, s17
	s_addc_u32 s13, 0, s16
	s_add_u32 s2, s2, s15
	s_mul_hi_u32 s10, s11, s12
	s_addc_u32 s2, s13, s14
	s_addc_u32 s10, s10, 0
	s_mul_i32 s12, s11, s12
	s_add_u32 s2, s2, s12
	s_addc_u32 s10, 0, s10
	v_add_co_u32_e32 v1, vcc, s2, v1
	s_cmp_lg_u64 vcc, 0
	s_addc_u32 s12, s11, s10
	s_ashr_i32 s10, s3, 31
	s_add_u32 s2, s9, s10
	s_mov_b32 s11, s10
	s_addc_u32 s3, s3, s10
	s_xor_b64 s[2:3], s[2:3], s[10:11]
	v_readfirstlane_b32 s15, v1
	s_mul_i32 s14, s2, s12
	s_mul_hi_u32 s16, s2, s15
	s_mul_hi_u32 s13, s2, s12
	s_add_u32 s14, s16, s14
	s_addc_u32 s13, 0, s13
	s_mul_hi_u32 s17, s3, s15
	s_mul_i32 s15, s3, s15
	s_add_u32 s14, s14, s15
	s_mul_hi_u32 s16, s3, s12
	s_addc_u32 s13, s13, s17
	s_addc_u32 s14, s16, 0
	s_mul_i32 s12, s3, s12
	s_add_u32 s12, s13, s12
	s_addc_u32 s13, 0, s14
	s_add_u32 s14, s12, 1
	s_addc_u32 s15, s13, 0
	s_add_u32 s16, s12, 2
	s_mul_i32 s18, s58, s13
	s_mul_hi_u32 s19, s58, s12
	s_addc_u32 s17, s13, 0
	s_add_i32 s19, s19, s18
	s_mul_i32 s18, s58, s12
	v_mov_b32_e32 v1, s18
	v_sub_co_u32_e32 v1, vcc, s2, v1
	s_cmp_lg_u64 vcc, 0
	s_subb_u32 s2, s3, s19
	v_subrev_co_u32_e32 v4, vcc, s58, v1
	s_cmp_lg_u64 vcc, 0
	s_subb_u32 s3, s2, 0
	v_readfirstlane_b32 s18, v4
	s_cmp_ge_u32 s18, s58
	s_cselect_b32 s18, -1, 0
	s_cmp_eq_u32 s3, 0
	s_cselect_b32 s3, s18, -1
	s_cmp_lg_u32 s3, 0
	s_cselect_b32 s3, s17, s15
	v_readfirstlane_b32 s15, v1
	s_cselect_b32 s14, s16, s14
	s_cmp_ge_u32 s15, s58
	s_cselect_b32 s15, -1, 0
	s_cmp_eq_u32 s2, 0
	s_cselect_b32 s2, s15, -1
	s_cmp_lg_u32 s2, 0
	s_cselect_b32 s3, s3, s13
	s_cselect_b32 s2, s14, s12
	s_xor_b64 s[2:3], s[2:3], s[10:11]
	s_sub_u32 s2, s2, s10
	s_subb_u32 s3, s3, s10
	s_cbranch_execnz .LBB53_5
.LBB53_4:
	v_cvt_f32_u32_e32 v1, s58
	s_sub_i32 s0, 0, s58
	s_mov_b32 s3, 0
	v_rcp_iflag_f32_e32 v1, v1
	v_mul_f32_e32 v1, 0x4f7ffffe, v1
	v_cvt_u32_f32_e32 v1, v1
	v_readfirstlane_b32 s1, v1
	s_mul_i32 s0, s0, s1
	s_mul_hi_u32 s0, s1, s0
	s_add_i32 s1, s1, s0
	s_mul_hi_u32 s0, s9, s1
	s_mul_i32 s2, s0, s58
	s_sub_i32 s2, s9, s2
	s_add_i32 s1, s0, 1
	s_sub_i32 s9, s2, s58
	s_cmp_ge_u32 s2, s58
	s_cselect_b32 s0, s1, s0
	s_cselect_b32 s2, s9, s2
	s_add_i32 s1, s0, 1
	s_cmp_ge_u32 s2, s58
	s_cselect_b32 s2, s1, s0
.LBB53_5:
	v_mov_b32_e32 v1, 0
	v_mov_b32_e32 v4, s6
	v_mad_u64_u32 v[14:15], s[0:1], s8, v4, v[0:1]
	s_add_u32 s0, s2, 1
	s_addc_u32 s1, s3, 0
	s_mul_hi_u32 s2, s7, s8
	s_mul_i32 s1, s33, s1
	s_mul_hi_u32 s3, s33, s0
	s_add_i32 s1, s3, s1
	s_mul_i32 s2, s2, s0
	s_add_i32 s1, s1, s2
	s_mul_i32 s0, s33, s0
	s_lshl_b64 s[26:27], s[0:1], 1
	v_cmp_gt_i64_e32 vcc, s[26:27], v[14:15]
	s_and_saveexec_b64 s[0:1], vcc
	s_cbranch_execz .LBB53_50
; %bb.6:
	s_mov_b32 s0, 0x5384540f
	v_mov_b32_e32 v0, v13
	v_add_co_u32_e32 v20, vcc, s0, v12
	s_mov_b32 s0, 0x646e171e
	v_add_co_u32_e32 v21, vcc, s0, v0
	s_mov_b32 s0, 0x1715609d
	;; [unrolled: 2-line block ×6, first 2 shown]
	v_alignbit_b32 v27, v3, v2, 2
	s_mov_b32 s60, 0xd2511f53
	v_add_co_u32_e32 v26, vcc, s0, v12
	v_mad_u64_u32 v[4:5], s[0:1], v27, s60, 0
	v_xor_b32_e32 v1, v5, v13
	v_xor_b32_e32 v1, v1, v15
	s_mov_b32 s61, 0xcd9e8d57
	v_mad_u64_u32 v[6:7], s[0:1], v1, s61, 0
	v_xor_b32_e32 v1, v26, v7
	v_mad_u64_u32 v[8:9], s[0:1], v14, s61, 0
	v_and_b32_e32 v16, 3, v2
	v_xor_b32_e32 v1, v1, v8
	v_xor_b32_e32 v2, v12, v9
	v_lshrrev_b32_e32 v28, 2, v3
	v_mad_u64_u32 v[10:11], s[0:1], v1, s60, 0
	v_xor_b32_e32 v2, v2, v28
	v_xor_b32_e32 v1, v25, v11
	v_mad_u64_u32 v[2:3], s[0:1], v2, s60, 0
	v_xor_b32_e32 v1, v1, v2
	v_mad_u64_u32 v[8:9], s[0:1], v1, s61, 0
	s_mov_b32 s0, 0xbb67ae85
	v_add_co_u32_e32 v29, vcc, s0, v0
	v_xor_b32_e32 v2, v29, v3
	v_xor_b32_e32 v2, v2, v4
	v_xor_b32_e32 v1, v24, v9
	v_mad_u64_u32 v[2:3], s[0:1], v2, s61, 0
	v_xor_b32_e32 v1, v1, v2
	v_mad_u64_u32 v[4:5], s[0:1], v1, s60, 0
	s_mov_b32 s0, 0x3c6ef372
	v_add_co_u32_e32 v30, vcc, s0, v12
	v_xor_b32_e32 v2, v30, v3
	;; [unrolled: 8-line block ×6, first 2 shown]
	v_add_co_u32_e32 v19, vcc, 0xdb3d7428, v0
	v_xor_b32_e32 v2, v2, v6
	v_xor_b32_e32 v1, v19, v5
	v_mad_u64_u32 v[2:3], s[0:1], v2, s60, 0
	v_xor_b32_e32 v1, v1, v2
	v_mad_u64_u32 v[6:7], s[0:1], v1, s61, 0
	s_mov_b32 s0, 0x1fd5c5a3
	v_add_co_u32_e32 v35, vcc, s0, v0
	v_xor_b32_e32 v0, v35, v3
	v_xor_b32_e32 v0, v0, v10
	v_mad_u64_u32 v[0:1], s[0:1], v0, s61, 0
	s_mov_b32 s0, 0xf1bbcdc8
	s_load_dwordx8 s[8:15], s[4:5], 0x30
	v_add_co_u32_e32 v36, vcc, s0, v12
	v_xor_b32_e32 v0, v36, v1
	v_xor_b32_e32 v0, v0, v8
	s_add_u32 s34, s4, 48
	v_mad_u64_u32 v[0:1], s[0:1], v0, s60, 0
	s_addc_u32 s35, s5, 0
	s_waitcnt lgkmcnt(0)
	s_add_i32 s0, s8, -1
	s_cmp_gt_u32 s0, 1
	s_cselect_b64 s[36:37], -1, 0
	s_cmp_lg_u32 s8, 0
	s_cselect_b64 s[38:39], -1, 0
	s_add_u32 s40, s4, 0xf4
	s_addc_u32 s41, s5, 0
	s_min_u32 s1, s0, 15
	s_cmp_gt_u32 s8, 1
	s_cselect_b64 s[42:43], -1, 0
	s_add_i32 s1, s1, 1
	s_mov_b32 s8, s13
	s_load_dwordx2 s[44:45], s[4:5], 0xf4
	s_load_dwordx2 s[46:47], s[4:5], 0x138
	s_and_b32 s13, s1, 3
	s_cmp_lg_u32 s0, 2
	s_cselect_b64 s[48:49], -1, 0
	s_and_b32 s15, s1, 28
	v_add_u32_e32 v18, 0x96a522ad, v13
	v_xor_b32_e32 v1, v1, v4
	s_cmp_lg_u32 s13, 0
	s_mov_b32 s59, 0
	v_add_u32_e32 v17, 0x8ff34781, v12
	v_xor_b32_e32 v2, v18, v1
	v_mov_b32_e32 v1, v6
	v_mov_b32_e32 v3, v0
	s_mov_b64 s[50:51], 0
	s_cselect_b64 s[52:53], -1, 0
	v_mov_b32_e32 v37, v14
	v_mov_b32_e32 v38, v15
	s_branch .LBB53_9
.LBB53_7:                               ;   in Loop: Header=BB53_9 Depth=1
	s_waitcnt lgkmcnt(0)
	global_store_byte v8, v3, s[46:47]
.LBB53_8:                               ;   in Loop: Header=BB53_9 Depth=1
	s_or_b64 exec, exec, s[28:29]
	v_add_co_u32_e32 v14, vcc, s58, v14
	v_addc_co_u32_e32 v15, vcc, 0, v15, vcc
	v_mov_b32_e32 v7, v4
	v_cmp_le_i64_e32 vcc, s[26:27], v[14:15]
	v_pk_mov_b32 v[0:1], v[4:5], v[4:5] op_sel:[0,1]
	s_or_b64 s[50:51], vcc, s[50:51]
	v_pk_mov_b32 v[2:3], v[6:7], v[6:7] op_sel:[0,1]
	s_waitcnt lgkmcnt(0)
	s_barrier
	s_andn2_b64 exec, exec, s[50:51]
	s_cbranch_execz .LBB53_50
.LBB53_9:                               ; =>This Loop Header: Depth=1
                                        ;     Child Loop BB53_24 Depth 2
                                        ;     Child Loop BB53_30 Depth 2
	;; [unrolled: 1-line block ×4, first 2 shown]
	v_add_co_u32_e32 v27, vcc, 1, v27
	v_cndmask_b32_e64 v0, 0, 1, vcc
	v_addc_co_u32_e32 v28, vcc, 0, v28, vcc
	v_cmp_eq_u32_e32 vcc, 0, v28
	v_cndmask_b32_e32 v0, 0, v0, vcc
	v_add_u32_e32 v37, v0, v37
	v_cmp_eq_u32_e32 vcc, 0, v37
	v_cndmask_b32_e32 v0, 0, v0, vcc
	v_mad_u64_u32 v[4:5], s[0:1], v27, s60, 0
	v_add_u32_e32 v38, v0, v38
	v_mad_u64_u32 v[6:7], s[0:1], v37, s61, 0
	v_xor_b32_e32 v5, v5, v13
	v_xor_b32_e32 v0, v7, v12
	v_xor_b32_e32 v5, v38, v5
	v_xor_b32_e32 v0, v28, v0
	v_mad_u64_u32 v[10:11], s[0:1], v5, s61, 0
	v_mad_u64_u32 v[8:9], s[0:1], v0, s60, 0
	v_xor_b32_e32 v0, v26, v11
	v_xor_b32_e32 v0, v0, v6
	v_xor_b32_e32 v5, v29, v9
	v_xor_b32_e32 v6, v5, v4
	v_mad_u64_u32 v[4:5], s[0:1], v0, s60, 0
	;; [unrolled: 6-line block ×9, first 2 shown]
	v_mad_u64_u32 v[4:5], s[0:1], v0, s60, 0
	v_xor_b32_e32 v0, v11, v40
	v_xor_b32_e32 v8, v17, v0
	;; [unrolled: 1-line block ×4, first 2 shown]
	v_mov_b32_e32 v5, v10
	v_mov_b32_e32 v6, v9
	v_cmp_lt_i32_e32 vcc, 1, v16
	s_and_saveexec_b64 s[0:1], vcc
	s_xor_b64 s[0:1], exec, s[0:1]
	s_cbranch_execz .LBB53_15
; %bb.10:                               ;   in Loop: Header=BB53_9 Depth=1
	v_cmp_lt_i32_e32 vcc, 2, v16
	s_and_saveexec_b64 s[2:3], vcc
	s_xor_b64 s[2:3], exec, s[2:3]
; %bb.11:                               ;   in Loop: Header=BB53_9 Depth=1
	v_mov_b32_e32 v7, v8
	v_pk_mov_b32 v[0:1], v[6:7], v[6:7] op_sel:[0,1]
	v_pk_mov_b32 v[2:3], v[8:9], v[8:9] op_sel:[0,1]
                                        ; implicit-def: $vgpr10_vgpr11
; %bb.12:                               ;   in Loop: Header=BB53_9 Depth=1
	s_andn2_saveexec_b64 s[2:3], s[2:3]
; %bb.13:                               ;   in Loop: Header=BB53_9 Depth=1
	v_mov_b32_e32 v1, v3
	v_mov_b32_e32 v3, v10
; %bb.14:                               ;   in Loop: Header=BB53_9 Depth=1
	s_or_b64 exec, exec, s[2:3]
                                        ; implicit-def: $vgpr8_vgpr9_vgpr10_vgpr11
.LBB53_15:                              ;   in Loop: Header=BB53_9 Depth=1
	s_andn2_saveexec_b64 s[0:1], s[0:1]
	s_cbranch_execz .LBB53_19
; %bb.16:                               ;   in Loop: Header=BB53_9 Depth=1
	v_cmp_eq_u32_e32 vcc, 1, v16
	s_and_saveexec_b64 s[2:3], vcc
; %bb.17:                               ;   in Loop: Header=BB53_9 Depth=1
	v_mov_b32_e32 v1, v2
	v_mov_b32_e32 v3, v8
; %bb.18:                               ;   in Loop: Header=BB53_9 Depth=1
	s_or_b64 exec, exec, s[2:3]
.LBB53_19:                              ;   in Loop: Header=BB53_9 Depth=1
	s_or_b64 exec, exec, s[0:1]
	v_cndmask_b32_e64 v0, 0, 1, s[36:37]
	v_cmp_gt_i64_e32 vcc, s[24:25], v[14:15]
	v_cmp_ne_u32_e64 s[0:1], 1, v0
	s_and_saveexec_b64 s[2:3], vcc
	s_cbranch_execz .LBB53_35
; %bb.20:                               ;   in Loop: Header=BB53_9 Depth=1
	s_and_b64 vcc, exec, s[0:1]
	s_cbranch_vccnz .LBB53_26
; %bb.21:                               ;   in Loop: Header=BB53_9 Depth=1
	s_andn2_b64 vcc, exec, s[38:39]
	s_cbranch_vccnz .LBB53_27
; %bb.22:                               ;   in Loop: Header=BB53_9 Depth=1
	s_mov_b32 s6, 0
	s_andn2_b64 vcc, exec, s[48:49]
	v_mov_b32_e32 v8, 0
	s_cbranch_vccnz .LBB53_28
; %bb.23:                               ;   in Loop: Header=BB53_9 Depth=1
	s_mov_b32 s62, 0
	v_mov_b32_e32 v8, 0
	s_mov_b64 s[54:55], s[34:35]
	s_mov_b64 s[56:57], s[40:41]
	v_mov_b32_e32 v0, v14
.LBB53_24:                              ;   Parent Loop BB53_9 Depth=1
                                        ; =>  This Inner Loop Header: Depth=2
	s_load_dwordx8 s[16:23], s[54:55], 0x4
	s_load_dwordx4 s[4:7], s[54:55], 0x24
	s_load_dwordx4 s[28:31], s[56:57], 0x0
	s_add_u32 s54, s54, 48
	s_addc_u32 s55, s55, 0
	s_waitcnt lgkmcnt(0)
	v_mul_hi_u32 v2, s17, v0
	v_add_u32_e32 v2, v0, v2
	v_lshrrev_b32_e32 v2, s18, v2
	v_mul_lo_u32 v7, v2, s16
	v_mul_hi_u32 v9, s20, v2
	v_sub_u32_e32 v0, v0, v7
	v_add_u32_e32 v7, v2, v9
	v_lshrrev_b32_e32 v7, s21, v7
	v_mul_lo_u32 v9, v7, s19
	v_mul_hi_u32 v10, s23, v7
	v_sub_u32_e32 v2, v2, v9
	v_add_u32_e32 v9, v7, v10
	v_mul_lo_u32 v0, v0, s28
	v_mul_lo_u32 v2, v2, s29
	v_lshrrev_b32_e32 v9, s4, v9
	v_add3_u32 v2, v0, v8, v2
	v_mul_lo_u32 v0, v9, s22
	v_mul_hi_u32 v8, s6, v9
	v_sub_u32_e32 v0, v7, v0
	v_add_u32_e32 v7, v9, v8
	v_mul_lo_u32 v8, v0, s30
	v_lshrrev_b32_e32 v0, s7, v7
	s_add_i32 s62, s62, 4
	v_mul_lo_u32 v7, v0, s5
	s_add_u32 s56, s56, 16
	v_sub_u32_e32 v7, v9, v7
	s_addc_u32 s57, s57, 0
	v_mul_lo_u32 v7, v7, s31
	s_cmp_lg_u32 s15, s62
	v_add3_u32 v8, v8, v2, v7
	s_cbranch_scc1 .LBB53_24
; %bb.25:                               ;   in Loop: Header=BB53_9 Depth=1
	s_mov_b32 s6, s15
	s_andn2_b64 vcc, exec, s[52:53]
	s_cbranch_vccz .LBB53_29
	s_branch .LBB53_31
.LBB53_26:                              ;   in Loop: Header=BB53_9 Depth=1
                                        ; implicit-def: $vgpr8
	s_branch .LBB53_32
.LBB53_27:                              ;   in Loop: Header=BB53_9 Depth=1
	v_mov_b32_e32 v8, 0
	s_branch .LBB53_31
.LBB53_28:                              ;   in Loop: Header=BB53_9 Depth=1
	v_mov_b32_e32 v0, v14
	s_andn2_b64 vcc, exec, s[52:53]
	s_cbranch_vccnz .LBB53_31
.LBB53_29:                              ;   in Loop: Header=BB53_9 Depth=1
	s_lshl_b32 s4, s6, 2
	s_add_u32 s4, s40, s4
	s_addc_u32 s5, s41, 0
	s_mul_i32 s6, s6, 12
	s_add_u32 s6, s34, s6
	s_addc_u32 s7, s35, 0
	s_mov_b32 s16, s13
.LBB53_30:                              ;   Parent Loop BB53_9 Depth=1
                                        ; =>  This Inner Loop Header: Depth=2
	s_load_dwordx2 s[18:19], s[6:7], 0x4
	s_load_dword s17, s[6:7], 0xc
	s_load_dword s20, s[4:5], 0x0
	s_add_u32 s6, s6, 12
	s_addc_u32 s7, s7, 0
	s_waitcnt lgkmcnt(0)
	v_mul_hi_u32 v2, s19, v0
	v_add_u32_e32 v2, v0, v2
	v_lshrrev_b32_e32 v2, s17, v2
	s_add_u32 s4, s4, 4
	v_mul_lo_u32 v7, v2, s18
	s_addc_u32 s5, s5, 0
	s_add_i32 s16, s16, -1
	v_sub_u32_e32 v7, v0, v7
	s_cmp_lg_u32 s16, 0
	v_mov_b32_e32 v0, v2
	v_mad_u64_u32 v[8:9], s[18:19], v7, s20, v[8:9]
	s_cbranch_scc1 .LBB53_30
.LBB53_31:                              ;   in Loop: Header=BB53_9 Depth=1
	s_cbranch_execnz .LBB53_34
.LBB53_32:                              ;   in Loop: Header=BB53_9 Depth=1
	v_mul_hi_u32 v0, v14, s10
	v_add_u32_e32 v0, v0, v14
	v_lshrrev_b32_e32 v0, s11, v0
	v_mul_lo_u32 v2, v0, s9
	v_sub_u32_e32 v2, v14, v2
	s_andn2_b64 vcc, exec, s[42:43]
	s_waitcnt lgkmcnt(0)
	v_mul_lo_u32 v8, v2, s44
	s_cbranch_vccnz .LBB53_34
; %bb.33:                               ;   in Loop: Header=BB53_9 Depth=1
	v_mul_hi_u32 v2, s8, v0
	v_add_u32_e32 v2, v0, v2
	v_lshrrev_b32_e32 v2, s14, v2
	v_mul_lo_u32 v2, v2, s12
	v_sub_u32_e32 v0, v0, v2
	v_mad_u64_u32 v[8:9], s[4:5], v0, s45, v[8:9]
.LBB53_34:                              ;   in Loop: Header=BB53_9 Depth=1
	s_waitcnt lgkmcnt(0)
	global_store_byte v8, v1, s[46:47]
.LBB53_35:                              ;   in Loop: Header=BB53_9 Depth=1
	s_or_b64 exec, exec, s[2:3]
	v_mov_b32_e32 v1, s59
	v_add_co_u32_e32 v0, vcc, s33, v14
	v_addc_co_u32_e32 v1, vcc, v15, v1, vcc
	v_cmp_gt_i64_e32 vcc, s[24:25], v[0:1]
	s_and_saveexec_b64 s[28:29], vcc
	s_cbranch_execz .LBB53_8
; %bb.36:                               ;   in Loop: Header=BB53_9 Depth=1
	s_and_b64 vcc, exec, s[0:1]
	s_cbranch_vccnz .LBB53_42
; %bb.37:                               ;   in Loop: Header=BB53_9 Depth=1
	s_andn2_b64 vcc, exec, s[38:39]
	s_cbranch_vccnz .LBB53_43
; %bb.38:                               ;   in Loop: Header=BB53_9 Depth=1
	s_mov_b32 s2, 0
	s_andn2_b64 vcc, exec, s[48:49]
	v_mov_b32_e32 v8, 0
	s_cbranch_vccnz .LBB53_44
; %bb.39:                               ;   in Loop: Header=BB53_9 Depth=1
	s_mov_b32 s56, 0
	v_mov_b32_e32 v8, 0
	s_mov_b64 s[30:31], s[34:35]
	s_mov_b64 s[54:55], s[40:41]
	v_mov_b32_e32 v1, v0
.LBB53_40:                              ;   Parent Loop BB53_9 Depth=1
                                        ; =>  This Inner Loop Header: Depth=2
	s_load_dwordx8 s[0:7], s[30:31], 0x4
	s_load_dwordx4 s[16:19], s[30:31], 0x24
	s_load_dwordx4 s[20:23], s[54:55], 0x0
	s_add_u32 s30, s30, 48
	s_addc_u32 s31, s31, 0
	s_waitcnt lgkmcnt(0)
	v_mul_hi_u32 v2, s1, v1
	v_add_u32_e32 v2, v1, v2
	v_lshrrev_b32_e32 v2, s2, v2
	v_mul_lo_u32 v7, v2, s0
	v_mul_hi_u32 v9, s4, v2
	v_sub_u32_e32 v1, v1, v7
	v_add_u32_e32 v7, v2, v9
	v_lshrrev_b32_e32 v7, s5, v7
	v_mul_lo_u32 v9, v7, s3
	v_mul_hi_u32 v10, s7, v7
	v_sub_u32_e32 v2, v2, v9
	v_add_u32_e32 v9, v7, v10
	v_mul_lo_u32 v1, v1, s20
	v_mul_lo_u32 v2, v2, s21
	v_lshrrev_b32_e32 v9, s16, v9
	v_add3_u32 v2, v1, v8, v2
	v_mul_lo_u32 v1, v9, s6
	v_mul_hi_u32 v8, s18, v9
	v_sub_u32_e32 v1, v7, v1
	v_add_u32_e32 v7, v9, v8
	v_mul_lo_u32 v8, v1, s22
	v_lshrrev_b32_e32 v1, s19, v7
	s_add_i32 s56, s56, 4
	v_mul_lo_u32 v7, v1, s17
	s_add_u32 s54, s54, 16
	v_sub_u32_e32 v7, v9, v7
	s_addc_u32 s55, s55, 0
	v_mul_lo_u32 v7, v7, s23
	s_cmp_eq_u32 s15, s56
	v_add3_u32 v8, v8, v2, v7
	s_cbranch_scc0 .LBB53_40
; %bb.41:                               ;   in Loop: Header=BB53_9 Depth=1
	s_mov_b32 s2, s15
	s_andn2_b64 vcc, exec, s[52:53]
	s_cbranch_vccz .LBB53_45
	s_branch .LBB53_47
.LBB53_42:                              ;   in Loop: Header=BB53_9 Depth=1
                                        ; implicit-def: $vgpr8
	s_branch .LBB53_48
.LBB53_43:                              ;   in Loop: Header=BB53_9 Depth=1
	v_mov_b32_e32 v8, 0
	s_branch .LBB53_47
.LBB53_44:                              ;   in Loop: Header=BB53_9 Depth=1
	v_mov_b32_e32 v1, v0
	s_andn2_b64 vcc, exec, s[52:53]
	s_cbranch_vccnz .LBB53_47
.LBB53_45:                              ;   in Loop: Header=BB53_9 Depth=1
	s_lshl_b32 s0, s2, 2
	s_add_u32 s0, s40, s0
	s_addc_u32 s1, s41, 0
	s_mul_i32 s2, s2, 12
	s_add_u32 s2, s34, s2
	s_addc_u32 s3, s35, 0
	s_mov_b32 s4, s13
.LBB53_46:                              ;   Parent Loop BB53_9 Depth=1
                                        ; =>  This Inner Loop Header: Depth=2
	s_load_dwordx2 s[6:7], s[2:3], 0x4
	s_load_dword s5, s[2:3], 0xc
	s_load_dword s16, s[0:1], 0x0
	s_add_u32 s2, s2, 12
	s_addc_u32 s3, s3, 0
	s_waitcnt lgkmcnt(0)
	v_mul_hi_u32 v2, s7, v1
	v_add_u32_e32 v2, v1, v2
	v_lshrrev_b32_e32 v2, s5, v2
	s_add_u32 s0, s0, 4
	v_mul_lo_u32 v7, v2, s6
	s_addc_u32 s1, s1, 0
	s_add_i32 s4, s4, -1
	v_sub_u32_e32 v7, v1, v7
	s_cmp_lg_u32 s4, 0
	v_mov_b32_e32 v1, v2
	v_mad_u64_u32 v[8:9], s[6:7], v7, s16, v[8:9]
	s_cbranch_scc1 .LBB53_46
.LBB53_47:                              ;   in Loop: Header=BB53_9 Depth=1
	s_cbranch_execnz .LBB53_7
.LBB53_48:                              ;   in Loop: Header=BB53_9 Depth=1
	v_mul_hi_u32 v1, v0, s10
	v_add_u32_e32 v1, v1, v0
	v_lshrrev_b32_e32 v1, s11, v1
	v_mul_lo_u32 v2, v1, s9
	v_sub_u32_e32 v0, v0, v2
	s_andn2_b64 vcc, exec, s[42:43]
	s_waitcnt lgkmcnt(0)
	v_mul_lo_u32 v8, v0, s44
	s_cbranch_vccnz .LBB53_7
; %bb.49:                               ;   in Loop: Header=BB53_9 Depth=1
	v_mul_hi_u32 v0, s8, v1
	v_add_u32_e32 v0, v1, v0
	v_lshrrev_b32_e32 v0, s14, v0
	v_mul_lo_u32 v0, v0, s12
	v_sub_u32_e32 v0, v1, v0
	v_mad_u64_u32 v[8:9], s[0:1], v0, s45, v[8:9]
	s_branch .LBB53_7
.LBB53_50:
	s_endpgm
.LBB53_51:
                                        ; implicit-def: $sgpr2_sgpr3
	s_andn2_b64 vcc, exec, s[0:1]
	s_cbranch_vccz .LBB53_4
	s_branch .LBB53_5
	.section	.rodata,"a",@progbits
	.p2align	6, 0x0
	.amdhsa_kernel _ZN2at6native12_GLOBAL__N_143distribution_elementwise_grid_stride_kernelImLi2EZZZNS0_9templates4cuda32random_full_64_bits_range_kernelIPNS_17CUDAGeneratorImplEEEvRNS_18TensorIteratorBaseET_ENKUlvE_clEvENKUlvE_clEvEUlP25hiprandStatePhilox4_32_10E_ZNS1_27distribution_nullary_kernelIhm15HIP_vector_typeIyLj2EES7_SF_ZZZNS5_IS7_EEvS9_SA_ENKSB_clEvENKSC_clEvEUlmE_EEvS9_T2_RKT3_T4_EUlimE0_EEvlNS_15PhiloxCudaStateET1_SK_
		.amdhsa_group_segment_fixed_size 0
		.amdhsa_private_segment_fixed_size 0
		.amdhsa_kernarg_size 584
		.amdhsa_user_sgpr_count 6
		.amdhsa_user_sgpr_private_segment_buffer 1
		.amdhsa_user_sgpr_dispatch_ptr 0
		.amdhsa_user_sgpr_queue_ptr 0
		.amdhsa_user_sgpr_kernarg_segment_ptr 1
		.amdhsa_user_sgpr_dispatch_id 0
		.amdhsa_user_sgpr_flat_scratch_init 0
		.amdhsa_user_sgpr_kernarg_preload_length 0
		.amdhsa_user_sgpr_kernarg_preload_offset 0
		.amdhsa_user_sgpr_private_segment_size 0
		.amdhsa_uses_dynamic_stack 0
		.amdhsa_system_sgpr_private_segment_wavefront_offset 0
		.amdhsa_system_sgpr_workgroup_id_x 1
		.amdhsa_system_sgpr_workgroup_id_y 0
		.amdhsa_system_sgpr_workgroup_id_z 0
		.amdhsa_system_sgpr_workgroup_info 0
		.amdhsa_system_vgpr_workitem_id 0
		.amdhsa_next_free_vgpr 42
		.amdhsa_next_free_sgpr 63
		.amdhsa_accum_offset 44
		.amdhsa_reserve_vcc 1
		.amdhsa_reserve_flat_scratch 0
		.amdhsa_float_round_mode_32 0
		.amdhsa_float_round_mode_16_64 0
		.amdhsa_float_denorm_mode_32 3
		.amdhsa_float_denorm_mode_16_64 3
		.amdhsa_dx10_clamp 1
		.amdhsa_ieee_mode 1
		.amdhsa_fp16_overflow 0
		.amdhsa_tg_split 0
		.amdhsa_exception_fp_ieee_invalid_op 0
		.amdhsa_exception_fp_denorm_src 0
		.amdhsa_exception_fp_ieee_div_zero 0
		.amdhsa_exception_fp_ieee_overflow 0
		.amdhsa_exception_fp_ieee_underflow 0
		.amdhsa_exception_fp_ieee_inexact 0
		.amdhsa_exception_int_div_zero 0
	.end_amdhsa_kernel
	.section	.text._ZN2at6native12_GLOBAL__N_143distribution_elementwise_grid_stride_kernelImLi2EZZZNS0_9templates4cuda32random_full_64_bits_range_kernelIPNS_17CUDAGeneratorImplEEEvRNS_18TensorIteratorBaseET_ENKUlvE_clEvENKUlvE_clEvEUlP25hiprandStatePhilox4_32_10E_ZNS1_27distribution_nullary_kernelIhm15HIP_vector_typeIyLj2EES7_SF_ZZZNS5_IS7_EEvS9_SA_ENKSB_clEvENKSC_clEvEUlmE_EEvS9_T2_RKT3_T4_EUlimE0_EEvlNS_15PhiloxCudaStateET1_SK_,"axG",@progbits,_ZN2at6native12_GLOBAL__N_143distribution_elementwise_grid_stride_kernelImLi2EZZZNS0_9templates4cuda32random_full_64_bits_range_kernelIPNS_17CUDAGeneratorImplEEEvRNS_18TensorIteratorBaseET_ENKUlvE_clEvENKUlvE_clEvEUlP25hiprandStatePhilox4_32_10E_ZNS1_27distribution_nullary_kernelIhm15HIP_vector_typeIyLj2EES7_SF_ZZZNS5_IS7_EEvS9_SA_ENKSB_clEvENKSC_clEvEUlmE_EEvS9_T2_RKT3_T4_EUlimE0_EEvlNS_15PhiloxCudaStateET1_SK_,comdat
.Lfunc_end53:
	.size	_ZN2at6native12_GLOBAL__N_143distribution_elementwise_grid_stride_kernelImLi2EZZZNS0_9templates4cuda32random_full_64_bits_range_kernelIPNS_17CUDAGeneratorImplEEEvRNS_18TensorIteratorBaseET_ENKUlvE_clEvENKUlvE_clEvEUlP25hiprandStatePhilox4_32_10E_ZNS1_27distribution_nullary_kernelIhm15HIP_vector_typeIyLj2EES7_SF_ZZZNS5_IS7_EEvS9_SA_ENKSB_clEvENKSC_clEvEUlmE_EEvS9_T2_RKT3_T4_EUlimE0_EEvlNS_15PhiloxCudaStateET1_SK_, .Lfunc_end53-_ZN2at6native12_GLOBAL__N_143distribution_elementwise_grid_stride_kernelImLi2EZZZNS0_9templates4cuda32random_full_64_bits_range_kernelIPNS_17CUDAGeneratorImplEEEvRNS_18TensorIteratorBaseET_ENKUlvE_clEvENKUlvE_clEvEUlP25hiprandStatePhilox4_32_10E_ZNS1_27distribution_nullary_kernelIhm15HIP_vector_typeIyLj2EES7_SF_ZZZNS5_IS7_EEvS9_SA_ENKSB_clEvENKSC_clEvEUlmE_EEvS9_T2_RKT3_T4_EUlimE0_EEvlNS_15PhiloxCudaStateET1_SK_
                                        ; -- End function
	.section	.AMDGPU.csdata,"",@progbits
; Kernel info:
; codeLenInByte = 3168
; NumSgprs: 67
; NumVgprs: 42
; NumAgprs: 0
; TotalNumVgprs: 42
; ScratchSize: 0
; MemoryBound: 0
; FloatMode: 240
; IeeeMode: 1
; LDSByteSize: 0 bytes/workgroup (compile time only)
; SGPRBlocks: 8
; VGPRBlocks: 5
; NumSGPRsForWavesPerEU: 67
; NumVGPRsForWavesPerEU: 42
; AccumOffset: 44
; Occupancy: 8
; WaveLimiterHint : 1
; COMPUTE_PGM_RSRC2:SCRATCH_EN: 0
; COMPUTE_PGM_RSRC2:USER_SGPR: 6
; COMPUTE_PGM_RSRC2:TRAP_HANDLER: 0
; COMPUTE_PGM_RSRC2:TGID_X_EN: 1
; COMPUTE_PGM_RSRC2:TGID_Y_EN: 0
; COMPUTE_PGM_RSRC2:TGID_Z_EN: 0
; COMPUTE_PGM_RSRC2:TIDIG_COMP_CNT: 0
; COMPUTE_PGM_RSRC3_GFX90A:ACCUM_OFFSET: 10
; COMPUTE_PGM_RSRC3_GFX90A:TG_SPLIT: 0
	.section	.text._ZN2at6native12_GLOBAL__N_143distribution_elementwise_grid_stride_kernelImLi2EZZZNS0_9templates4cuda32random_full_64_bits_range_kernelIPNS_17CUDAGeneratorImplEEEvRNS_18TensorIteratorBaseET_ENKUlvE_clEvENKUlvE0_clEvEUlP25hiprandStatePhilox4_32_10E_ZNS1_27distribution_nullary_kernelIam15HIP_vector_typeIyLj2EES7_SF_ZZZNS5_IS7_EEvS9_SA_ENKSB_clEvENKSC_clEvEUlmE_EEvS9_T2_RKT3_T4_EUlimE_EEvlNS_15PhiloxCudaStateET1_SK_,"axG",@progbits,_ZN2at6native12_GLOBAL__N_143distribution_elementwise_grid_stride_kernelImLi2EZZZNS0_9templates4cuda32random_full_64_bits_range_kernelIPNS_17CUDAGeneratorImplEEEvRNS_18TensorIteratorBaseET_ENKUlvE_clEvENKUlvE0_clEvEUlP25hiprandStatePhilox4_32_10E_ZNS1_27distribution_nullary_kernelIam15HIP_vector_typeIyLj2EES7_SF_ZZZNS5_IS7_EEvS9_SA_ENKSB_clEvENKSC_clEvEUlmE_EEvS9_T2_RKT3_T4_EUlimE_EEvlNS_15PhiloxCudaStateET1_SK_,comdat
	.globl	_ZN2at6native12_GLOBAL__N_143distribution_elementwise_grid_stride_kernelImLi2EZZZNS0_9templates4cuda32random_full_64_bits_range_kernelIPNS_17CUDAGeneratorImplEEEvRNS_18TensorIteratorBaseET_ENKUlvE_clEvENKUlvE0_clEvEUlP25hiprandStatePhilox4_32_10E_ZNS1_27distribution_nullary_kernelIam15HIP_vector_typeIyLj2EES7_SF_ZZZNS5_IS7_EEvS9_SA_ENKSB_clEvENKSC_clEvEUlmE_EEvS9_T2_RKT3_T4_EUlimE_EEvlNS_15PhiloxCudaStateET1_SK_ ; -- Begin function _ZN2at6native12_GLOBAL__N_143distribution_elementwise_grid_stride_kernelImLi2EZZZNS0_9templates4cuda32random_full_64_bits_range_kernelIPNS_17CUDAGeneratorImplEEEvRNS_18TensorIteratorBaseET_ENKUlvE_clEvENKUlvE0_clEvEUlP25hiprandStatePhilox4_32_10E_ZNS1_27distribution_nullary_kernelIam15HIP_vector_typeIyLj2EES7_SF_ZZZNS5_IS7_EEvS9_SA_ENKSB_clEvENKSC_clEvEUlmE_EEvS9_T2_RKT3_T4_EUlimE_EEvlNS_15PhiloxCudaStateET1_SK_
	.p2align	8
	.type	_ZN2at6native12_GLOBAL__N_143distribution_elementwise_grid_stride_kernelImLi2EZZZNS0_9templates4cuda32random_full_64_bits_range_kernelIPNS_17CUDAGeneratorImplEEEvRNS_18TensorIteratorBaseET_ENKUlvE_clEvENKUlvE0_clEvEUlP25hiprandStatePhilox4_32_10E_ZNS1_27distribution_nullary_kernelIam15HIP_vector_typeIyLj2EES7_SF_ZZZNS5_IS7_EEvS9_SA_ENKSB_clEvENKSC_clEvEUlmE_EEvS9_T2_RKT3_T4_EUlimE_EEvlNS_15PhiloxCudaStateET1_SK_,@function
_ZN2at6native12_GLOBAL__N_143distribution_elementwise_grid_stride_kernelImLi2EZZZNS0_9templates4cuda32random_full_64_bits_range_kernelIPNS_17CUDAGeneratorImplEEEvRNS_18TensorIteratorBaseET_ENKUlvE_clEvENKUlvE0_clEvEUlP25hiprandStatePhilox4_32_10E_ZNS1_27distribution_nullary_kernelIam15HIP_vector_typeIyLj2EES7_SF_ZZZNS5_IS7_EEvS9_SA_ENKSB_clEvENKSC_clEvEUlmE_EEvS9_T2_RKT3_T4_EUlimE_EEvlNS_15PhiloxCudaStateET1_SK_: ; @_ZN2at6native12_GLOBAL__N_143distribution_elementwise_grid_stride_kernelImLi2EZZZNS0_9templates4cuda32random_full_64_bits_range_kernelIPNS_17CUDAGeneratorImplEEEvRNS_18TensorIteratorBaseET_ENKUlvE_clEvENKUlvE0_clEvEUlP25hiprandStatePhilox4_32_10E_ZNS1_27distribution_nullary_kernelIam15HIP_vector_typeIyLj2EES7_SF_ZZZNS5_IS7_EEvS9_SA_ENKSB_clEvENKSC_clEvEUlmE_EEvS9_T2_RKT3_T4_EUlimE_EEvlNS_15PhiloxCudaStateET1_SK_
; %bb.0:
	s_load_dword s7, s[4:5], 0x20
	s_load_dwordx2 s[10:11], s[4:5], 0x10
	s_load_dwordx4 s[0:3], s[4:5], 0x0
	s_mov_b32 s8, 0
	s_waitcnt lgkmcnt(0)
	s_bitcmp0_b32 s7, 0
	v_pk_mov_b32 v[2:3], s[10:11], s[10:11] op_sel:[0,1]
	v_pk_mov_b32 v[12:13], s[2:3], s[2:3] op_sel:[0,1]
	s_cbranch_scc1 .LBB54_2
; %bb.1:
	v_pk_mov_b32 v[2:3], s[10:11], s[10:11] op_sel:[0,1]
	flat_load_dwordx2 v[2:3], v[2:3]
	v_pk_mov_b32 v[4:5], s[2:3], s[2:3] op_sel:[0,1]
	flat_load_dwordx2 v[12:13], v[4:5]
	s_load_dwordx2 s[2:3], s[4:5], 0x18
	s_waitcnt lgkmcnt(0)
	v_mov_b32_e32 v1, s3
	s_waitcnt vmcnt(0)
	v_add_co_u32_e32 v2, vcc, s2, v2
	v_addc_co_u32_e32 v3, vcc, v3, v1, vcc
.LBB54_2:
	s_load_dword s2, s[4:5], 0x4c
	s_load_dword s10, s[4:5], 0x40
	s_waitcnt lgkmcnt(0)
	s_and_b32 s7, s2, 0xffff
	s_add_u32 s11, s0, -1
	s_mul_i32 s12, s10, s7
	s_addc_u32 s9, s1, -1
	s_lshl_b32 s13, s12, 1
	s_cmp_lg_u64 s[8:9], 0
	s_mov_b64 s[2:3], -1
	s_cbranch_scc0 .LBB54_23
; %bb.3:
	v_cvt_f32_u32_e32 v1, s13
	v_cvt_f32_ubyte0_e32 v4, 0
	s_sub_u32 s8, 0, s13
	s_subb_u32 s14, 0, 0
	v_madmk_f32 v1, v4, 0x4f800000, v1
	v_rcp_f32_e32 v1, v1
	v_mul_f32_e32 v1, 0x5f7ffffc, v1
	v_mul_f32_e32 v4, 0x2f800000, v1
	v_trunc_f32_e32 v4, v4
	v_madmk_f32 v1, v4, 0xcf800000, v1
	v_cvt_u32_f32_e32 v4, v4
	v_cvt_u32_f32_e32 v1, v1
	v_readfirstlane_b32 s15, v4
	v_readfirstlane_b32 s16, v1
	s_mul_i32 s17, s8, s15
	s_mul_hi_u32 s19, s8, s16
	s_mul_i32 s18, s14, s16
	s_add_i32 s17, s19, s17
	s_add_i32 s17, s17, s18
	s_mul_i32 s20, s8, s16
	s_mul_hi_u32 s18, s16, s17
	s_mul_i32 s19, s16, s17
	s_mul_hi_u32 s16, s16, s20
	s_add_u32 s16, s16, s19
	s_addc_u32 s18, 0, s18
	s_mul_hi_u32 s21, s15, s20
	s_mul_i32 s20, s15, s20
	s_add_u32 s16, s16, s20
	s_mul_hi_u32 s19, s15, s17
	s_addc_u32 s16, s18, s21
	s_addc_u32 s18, s19, 0
	s_mul_i32 s17, s15, s17
	s_add_u32 s16, s16, s17
	s_addc_u32 s17, 0, s18
	v_add_co_u32_e32 v1, vcc, s16, v1
	s_cmp_lg_u64 vcc, 0
	s_addc_u32 s15, s15, s17
	v_readfirstlane_b32 s17, v1
	s_mul_i32 s16, s8, s15
	s_mul_hi_u32 s18, s8, s17
	s_add_i32 s16, s18, s16
	s_mul_i32 s14, s14, s17
	s_add_i32 s16, s16, s14
	s_mul_i32 s8, s8, s17
	s_mul_hi_u32 s18, s15, s8
	s_mul_i32 s19, s15, s8
	s_mul_i32 s21, s17, s16
	s_mul_hi_u32 s8, s17, s8
	s_mul_hi_u32 s20, s17, s16
	s_add_u32 s8, s8, s21
	s_addc_u32 s17, 0, s20
	s_add_u32 s8, s8, s19
	s_mul_hi_u32 s14, s15, s16
	s_addc_u32 s8, s17, s18
	s_addc_u32 s14, s14, 0
	s_mul_i32 s16, s15, s16
	s_add_u32 s8, s8, s16
	s_addc_u32 s14, 0, s14
	v_add_co_u32_e32 v1, vcc, s8, v1
	s_cmp_lg_u64 vcc, 0
	s_addc_u32 s16, s15, s14
	s_ashr_i32 s14, s9, 31
	s_add_u32 s8, s11, s14
	s_mov_b32 s15, s14
	s_addc_u32 s9, s9, s14
	s_xor_b64 s[8:9], s[8:9], s[14:15]
	v_readfirstlane_b32 s19, v1
	s_mul_i32 s18, s8, s16
	s_mul_hi_u32 s20, s8, s19
	s_mul_hi_u32 s17, s8, s16
	s_add_u32 s18, s20, s18
	s_addc_u32 s17, 0, s17
	s_mul_hi_u32 s21, s9, s19
	s_mul_i32 s19, s9, s19
	s_add_u32 s18, s18, s19
	s_mul_hi_u32 s20, s9, s16
	s_addc_u32 s17, s17, s21
	s_addc_u32 s18, s20, 0
	s_mul_i32 s16, s9, s16
	s_add_u32 s16, s17, s16
	s_addc_u32 s17, 0, s18
	s_add_u32 s18, s16, 1
	s_addc_u32 s19, s17, 0
	s_add_u32 s20, s16, 2
	s_mul_i32 s22, s13, s17
	s_mul_hi_u32 s23, s13, s16
	s_addc_u32 s21, s17, 0
	s_add_i32 s23, s23, s22
	s_mul_i32 s22, s13, s16
	v_mov_b32_e32 v1, s22
	v_sub_co_u32_e32 v1, vcc, s8, v1
	s_cmp_lg_u64 vcc, 0
	s_subb_u32 s8, s9, s23
	v_subrev_co_u32_e32 v4, vcc, s13, v1
	s_cmp_lg_u64 vcc, 0
	s_subb_u32 s9, s8, 0
	v_readfirstlane_b32 s22, v4
	s_cmp_ge_u32 s22, s13
	s_cselect_b32 s22, -1, 0
	s_cmp_eq_u32 s9, 0
	s_cselect_b32 s9, s22, -1
	s_cmp_lg_u32 s9, 0
	s_cselect_b32 s9, s21, s19
	v_readfirstlane_b32 s19, v1
	s_cselect_b32 s18, s20, s18
	s_cmp_ge_u32 s19, s13
	s_cselect_b32 s19, -1, 0
	s_cmp_eq_u32 s8, 0
	s_cselect_b32 s8, s19, -1
	s_cmp_lg_u32 s8, 0
	s_cselect_b32 s9, s9, s17
	s_cselect_b32 s8, s18, s16
	s_xor_b64 s[8:9], s[8:9], s[14:15]
	s_sub_u32 s8, s8, s14
	s_subb_u32 s9, s9, s14
	s_cbranch_execnz .LBB54_5
.LBB54_4:
	v_cvt_f32_u32_e32 v1, s13
	s_sub_i32 s2, 0, s13
	s_mov_b32 s9, 0
	v_rcp_iflag_f32_e32 v1, v1
	v_mul_f32_e32 v1, 0x4f7ffffe, v1
	v_cvt_u32_f32_e32 v1, v1
	v_readfirstlane_b32 s3, v1
	s_mul_i32 s2, s2, s3
	s_mul_hi_u32 s2, s3, s2
	s_add_i32 s3, s3, s2
	s_mul_hi_u32 s2, s11, s3
	s_mul_i32 s8, s2, s13
	s_sub_i32 s8, s11, s8
	s_add_i32 s3, s2, 1
	s_sub_i32 s11, s8, s13
	s_cmp_ge_u32 s8, s13
	s_cselect_b32 s2, s3, s2
	s_cselect_b32 s8, s11, s8
	s_add_i32 s3, s2, 1
	s_cmp_ge_u32 s8, s13
	s_cselect_b32 s8, s3, s2
.LBB54_5:
	v_mov_b32_e32 v1, 0
	v_mov_b32_e32 v4, s6
	v_mad_u64_u32 v[14:15], s[2:3], s7, v4, v[0:1]
	s_add_u32 s2, s8, 1
	s_addc_u32 s3, s9, 0
	s_mul_hi_u32 s8, s10, s7
	s_mul_i32 s3, s12, s3
	s_mul_hi_u32 s9, s12, s2
	s_add_i32 s3, s9, s3
	s_mul_i32 s8, s8, s2
	s_add_i32 s3, s3, s8
	s_mul_i32 s2, s12, s2
	s_lshl_b64 s[2:3], s[2:3], 1
	v_cmp_gt_i64_e32 vcc, s[2:3], v[14:15]
	s_and_saveexec_b64 s[8:9], vcc
	s_cbranch_execz .LBB54_22
; %bb.6:
	s_load_dwordx2 s[8:9], s[4:5], 0x30
	s_load_dword s11, s[4:5], 0x38
	s_mov_b32 s4, 0x5384540f
	v_mov_b32_e32 v4, v13
	v_add_co_u32_e32 v20, vcc, s4, v12
	s_mov_b32 s4, 0x646e171e
	v_add_co_u32_e32 v21, vcc, s4, v4
	s_mov_b32 s4, 0x1715609d
	;; [unrolled: 2-line block ×6, first 2 shown]
	v_alignbit_b32 v27, v3, v2, 2
	s_mov_b32 s15, 0xd2511f53
	v_add_co_u32_e32 v26, vcc, s4, v12
	v_mad_u64_u32 v[6:7], s[4:5], v27, s15, 0
	v_xor_b32_e32 v1, v7, v13
	v_xor_b32_e32 v1, v1, v15
	s_mov_b32 s16, 0xcd9e8d57
	v_mad_u64_u32 v[8:9], s[4:5], v1, s16, 0
	v_xor_b32_e32 v1, v26, v9
	v_mad_u64_u32 v[10:11], s[4:5], v14, s16, 0
	v_and_b32_e32 v16, 3, v2
	v_xor_b32_e32 v1, v1, v10
	v_xor_b32_e32 v2, v12, v11
	v_lshrrev_b32_e32 v28, 2, v3
	v_mad_u64_u32 v[32:33], s[4:5], v1, s15, 0
	v_xor_b32_e32 v2, v2, v28
	v_xor_b32_e32 v1, v25, v33
	v_mad_u64_u32 v[2:3], s[4:5], v2, s15, 0
	v_xor_b32_e32 v1, v1, v2
	v_mad_u64_u32 v[10:11], s[4:5], v1, s16, 0
	s_mov_b32 s4, 0xbb67ae85
	v_add_co_u32_e32 v29, vcc, s4, v4
	v_xor_b32_e32 v2, v29, v3
	v_xor_b32_e32 v2, v2, v6
	v_xor_b32_e32 v1, v24, v11
	v_mad_u64_u32 v[2:3], s[4:5], v2, s16, 0
	v_xor_b32_e32 v1, v1, v2
	v_mad_u64_u32 v[6:7], s[4:5], v1, s15, 0
	s_mov_b32 s4, 0x3c6ef372
	v_add_co_u32_e32 v30, vcc, s4, v12
	v_xor_b32_e32 v2, v30, v3
	;; [unrolled: 8-line block ×6, first 2 shown]
	v_add_co_u32_e32 v19, vcc, 0xdb3d7428, v4
	v_xor_b32_e32 v2, v2, v8
	v_xor_b32_e32 v1, v19, v7
	v_mad_u64_u32 v[2:3], s[4:5], v2, s15, 0
	v_xor_b32_e32 v1, v1, v2
	v_mad_u64_u32 v[8:9], s[4:5], v1, s16, 0
	s_mov_b32 s4, 0x1fd5c5a3
	v_add_co_u32_e32 v35, vcc, s4, v4
	v_xor_b32_e32 v1, v35, v3
	v_xor_b32_e32 v1, v1, v36
	v_mad_u64_u32 v[2:3], s[4:5], v1, s16, 0
	s_mov_b32 s4, 0xf1bbcdc8
	v_add_co_u32_e32 v36, vcc, s4, v12
	v_xor_b32_e32 v1, v36, v3
	v_xor_b32_e32 v1, v1, v10
	v_mad_u64_u32 v[4:5], s[4:5], v1, s15, 0
	s_mul_i32 s4, s6, s7
	v_mov_b32_e32 v3, v4
	v_add_u32_e32 v4, s4, v0
	s_waitcnt lgkmcnt(0)
	s_mul_i32 s4, s10, s11
	s_mul_i32 s4, s4, s7
	s_lshl_b32 s17, s4, 1
	s_add_i32 s4, s6, s10
	s_mul_i32 s4, s4, s7
	s_mov_b32 s14, 0
	v_add_u32_e32 v18, 0x96a522ad, v13
	v_xor_b32_e32 v1, v5, v6
	v_add_u32_e32 v0, s4, v0
	v_add_u32_e32 v17, 0x8ff34781, v12
	v_xor_b32_e32 v2, v18, v1
	v_mov_b32_e32 v1, v8
	v_mul_lo_u32 v37, s11, v4
	v_mul_lo_u32 v38, s11, v0
	s_mov_b64 s[4:5], 0
	s_mov_b32 s18, s14
	v_mov_b32_e32 v39, v14
	v_mov_b32_e32 v40, v15
	s_branch .LBB54_8
.LBB54_7:                               ;   in Loop: Header=BB54_8 Depth=1
	s_or_b64 exec, exec, s[6:7]
	v_add_co_u32_e32 v14, vcc, s13, v14
	v_addc_co_u32_e32 v15, vcc, 0, v15, vcc
	v_mov_b32_e32 v7, v4
	s_add_i32 s18, s18, s17
	v_cmp_le_i64_e32 vcc, s[2:3], v[14:15]
	v_pk_mov_b32 v[0:1], v[4:5], v[4:5] op_sel:[0,1]
	s_or_b64 s[4:5], vcc, s[4:5]
	v_pk_mov_b32 v[2:3], v[6:7], v[6:7] op_sel:[0,1]
	s_barrier
	s_andn2_b64 exec, exec, s[4:5]
	s_cbranch_execz .LBB54_22
.LBB54_8:                               ; =>This Inner Loop Header: Depth=1
	v_add_co_u32_e32 v27, vcc, 1, v27
	v_cndmask_b32_e64 v0, 0, 1, vcc
	v_addc_co_u32_e32 v28, vcc, 0, v28, vcc
	v_cmp_eq_u32_e32 vcc, 0, v28
	v_cndmask_b32_e32 v0, 0, v0, vcc
	v_add_u32_e32 v39, v0, v39
	v_cmp_eq_u32_e32 vcc, 0, v39
	v_cndmask_b32_e32 v0, 0, v0, vcc
	v_mad_u64_u32 v[4:5], s[6:7], v27, s15, 0
	v_add_u32_e32 v40, v0, v40
	v_mad_u64_u32 v[6:7], s[6:7], v39, s16, 0
	v_xor_b32_e32 v5, v5, v13
	v_xor_b32_e32 v0, v7, v12
	v_xor_b32_e32 v5, v40, v5
	v_xor_b32_e32 v0, v28, v0
	v_mad_u64_u32 v[10:11], s[6:7], v5, s16, 0
	v_mad_u64_u32 v[8:9], s[6:7], v0, s15, 0
	v_xor_b32_e32 v0, v26, v11
	v_xor_b32_e32 v0, v0, v6
	v_xor_b32_e32 v5, v29, v9
	v_xor_b32_e32 v6, v5, v4
	v_mad_u64_u32 v[4:5], s[6:7], v0, s15, 0
	;; [unrolled: 6-line block ×9, first 2 shown]
	v_mad_u64_u32 v[4:5], s[6:7], v0, s15, 0
	v_xor_b32_e32 v0, v11, v42
	v_xor_b32_e32 v8, v17, v0
	;; [unrolled: 1-line block ×4, first 2 shown]
	v_mov_b32_e32 v5, v10
	v_mov_b32_e32 v6, v9
	v_cmp_lt_i32_e32 vcc, 1, v16
	s_and_saveexec_b64 s[6:7], vcc
	s_xor_b64 s[6:7], exec, s[6:7]
	s_cbranch_execnz .LBB54_14
; %bb.9:                                ;   in Loop: Header=BB54_8 Depth=1
	s_andn2_saveexec_b64 s[6:7], s[6:7]
	s_cbranch_execnz .LBB54_19
.LBB54_10:                              ;   in Loop: Header=BB54_8 Depth=1
	s_or_b64 exec, exec, s[6:7]
	v_cmp_gt_i64_e32 vcc, s[0:1], v[14:15]
	s_and_saveexec_b64 s[6:7], vcc
	s_cbranch_execz .LBB54_12
.LBB54_11:                              ;   in Loop: Header=BB54_8 Depth=1
	v_add_u32_e32 v0, s18, v37
	v_ashrrev_i32_e32 v2, 31, v0
	v_mov_b32_e32 v7, s9
	v_add_co_u32_e32 v8, vcc, s8, v0
	v_addc_co_u32_e32 v9, vcc, v7, v2, vcc
	global_store_byte v[8:9], v1, off
.LBB54_12:                              ;   in Loop: Header=BB54_8 Depth=1
	s_or_b64 exec, exec, s[6:7]
	v_mov_b32_e32 v1, s14
	v_add_co_u32_e32 v0, vcc, s12, v14
	v_addc_co_u32_e32 v1, vcc, v1, v15, vcc
	v_cmp_gt_i64_e32 vcc, s[0:1], v[0:1]
	s_and_saveexec_b64 s[6:7], vcc
	s_cbranch_execz .LBB54_7
; %bb.13:                               ;   in Loop: Header=BB54_8 Depth=1
	v_add_u32_e32 v0, s18, v38
	v_ashrrev_i32_e32 v1, 31, v0
	v_mov_b32_e32 v2, s9
	v_add_co_u32_e32 v0, vcc, s8, v0
	v_addc_co_u32_e32 v1, vcc, v2, v1, vcc
	global_store_byte v[0:1], v3, off
	s_branch .LBB54_7
.LBB54_14:                              ;   in Loop: Header=BB54_8 Depth=1
	v_cmp_lt_i32_e32 vcc, 2, v16
	s_and_saveexec_b64 s[10:11], vcc
	s_xor_b64 s[10:11], exec, s[10:11]
; %bb.15:                               ;   in Loop: Header=BB54_8 Depth=1
	v_mov_b32_e32 v7, v8
	v_pk_mov_b32 v[0:1], v[6:7], v[6:7] op_sel:[0,1]
	v_pk_mov_b32 v[2:3], v[8:9], v[8:9] op_sel:[0,1]
                                        ; implicit-def: $vgpr10_vgpr11
; %bb.16:                               ;   in Loop: Header=BB54_8 Depth=1
	s_andn2_saveexec_b64 s[10:11], s[10:11]
; %bb.17:                               ;   in Loop: Header=BB54_8 Depth=1
	v_mov_b32_e32 v1, v3
	v_mov_b32_e32 v3, v10
; %bb.18:                               ;   in Loop: Header=BB54_8 Depth=1
	s_or_b64 exec, exec, s[10:11]
                                        ; implicit-def: $vgpr8_vgpr9_vgpr10_vgpr11
	s_andn2_saveexec_b64 s[6:7], s[6:7]
	s_cbranch_execz .LBB54_10
.LBB54_19:                              ;   in Loop: Header=BB54_8 Depth=1
	v_cmp_eq_u32_e32 vcc, 1, v16
	s_and_saveexec_b64 s[10:11], vcc
; %bb.20:                               ;   in Loop: Header=BB54_8 Depth=1
	v_mov_b32_e32 v1, v2
	v_mov_b32_e32 v3, v8
; %bb.21:                               ;   in Loop: Header=BB54_8 Depth=1
	s_or_b64 exec, exec, s[10:11]
	s_or_b64 exec, exec, s[6:7]
	v_cmp_gt_i64_e32 vcc, s[0:1], v[14:15]
	s_and_saveexec_b64 s[6:7], vcc
	s_cbranch_execnz .LBB54_11
	s_branch .LBB54_12
.LBB54_22:
	s_endpgm
.LBB54_23:
                                        ; implicit-def: $sgpr8_sgpr9
	s_andn2_b64 vcc, exec, s[2:3]
	s_cbranch_vccz .LBB54_4
	s_branch .LBB54_5
	.section	.rodata,"a",@progbits
	.p2align	6, 0x0
	.amdhsa_kernel _ZN2at6native12_GLOBAL__N_143distribution_elementwise_grid_stride_kernelImLi2EZZZNS0_9templates4cuda32random_full_64_bits_range_kernelIPNS_17CUDAGeneratorImplEEEvRNS_18TensorIteratorBaseET_ENKUlvE_clEvENKUlvE0_clEvEUlP25hiprandStatePhilox4_32_10E_ZNS1_27distribution_nullary_kernelIam15HIP_vector_typeIyLj2EES7_SF_ZZZNS5_IS7_EEvS9_SA_ENKSB_clEvENKSC_clEvEUlmE_EEvS9_T2_RKT3_T4_EUlimE_EEvlNS_15PhiloxCudaStateET1_SK_
		.amdhsa_group_segment_fixed_size 0
		.amdhsa_private_segment_fixed_size 0
		.amdhsa_kernarg_size 320
		.amdhsa_user_sgpr_count 6
		.amdhsa_user_sgpr_private_segment_buffer 1
		.amdhsa_user_sgpr_dispatch_ptr 0
		.amdhsa_user_sgpr_queue_ptr 0
		.amdhsa_user_sgpr_kernarg_segment_ptr 1
		.amdhsa_user_sgpr_dispatch_id 0
		.amdhsa_user_sgpr_flat_scratch_init 0
		.amdhsa_user_sgpr_kernarg_preload_length 0
		.amdhsa_user_sgpr_kernarg_preload_offset 0
		.amdhsa_user_sgpr_private_segment_size 0
		.amdhsa_uses_dynamic_stack 0
		.amdhsa_system_sgpr_private_segment_wavefront_offset 0
		.amdhsa_system_sgpr_workgroup_id_x 1
		.amdhsa_system_sgpr_workgroup_id_y 0
		.amdhsa_system_sgpr_workgroup_id_z 0
		.amdhsa_system_sgpr_workgroup_info 0
		.amdhsa_system_vgpr_workitem_id 0
		.amdhsa_next_free_vgpr 44
		.amdhsa_next_free_sgpr 24
		.amdhsa_accum_offset 44
		.amdhsa_reserve_vcc 1
		.amdhsa_reserve_flat_scratch 0
		.amdhsa_float_round_mode_32 0
		.amdhsa_float_round_mode_16_64 0
		.amdhsa_float_denorm_mode_32 3
		.amdhsa_float_denorm_mode_16_64 3
		.amdhsa_dx10_clamp 1
		.amdhsa_ieee_mode 1
		.amdhsa_fp16_overflow 0
		.amdhsa_tg_split 0
		.amdhsa_exception_fp_ieee_invalid_op 0
		.amdhsa_exception_fp_denorm_src 0
		.amdhsa_exception_fp_ieee_div_zero 0
		.amdhsa_exception_fp_ieee_overflow 0
		.amdhsa_exception_fp_ieee_underflow 0
		.amdhsa_exception_fp_ieee_inexact 0
		.amdhsa_exception_int_div_zero 0
	.end_amdhsa_kernel
	.section	.text._ZN2at6native12_GLOBAL__N_143distribution_elementwise_grid_stride_kernelImLi2EZZZNS0_9templates4cuda32random_full_64_bits_range_kernelIPNS_17CUDAGeneratorImplEEEvRNS_18TensorIteratorBaseET_ENKUlvE_clEvENKUlvE0_clEvEUlP25hiprandStatePhilox4_32_10E_ZNS1_27distribution_nullary_kernelIam15HIP_vector_typeIyLj2EES7_SF_ZZZNS5_IS7_EEvS9_SA_ENKSB_clEvENKSC_clEvEUlmE_EEvS9_T2_RKT3_T4_EUlimE_EEvlNS_15PhiloxCudaStateET1_SK_,"axG",@progbits,_ZN2at6native12_GLOBAL__N_143distribution_elementwise_grid_stride_kernelImLi2EZZZNS0_9templates4cuda32random_full_64_bits_range_kernelIPNS_17CUDAGeneratorImplEEEvRNS_18TensorIteratorBaseET_ENKUlvE_clEvENKUlvE0_clEvEUlP25hiprandStatePhilox4_32_10E_ZNS1_27distribution_nullary_kernelIam15HIP_vector_typeIyLj2EES7_SF_ZZZNS5_IS7_EEvS9_SA_ENKSB_clEvENKSC_clEvEUlmE_EEvS9_T2_RKT3_T4_EUlimE_EEvlNS_15PhiloxCudaStateET1_SK_,comdat
.Lfunc_end54:
	.size	_ZN2at6native12_GLOBAL__N_143distribution_elementwise_grid_stride_kernelImLi2EZZZNS0_9templates4cuda32random_full_64_bits_range_kernelIPNS_17CUDAGeneratorImplEEEvRNS_18TensorIteratorBaseET_ENKUlvE_clEvENKUlvE0_clEvEUlP25hiprandStatePhilox4_32_10E_ZNS1_27distribution_nullary_kernelIam15HIP_vector_typeIyLj2EES7_SF_ZZZNS5_IS7_EEvS9_SA_ENKSB_clEvENKSC_clEvEUlmE_EEvS9_T2_RKT3_T4_EUlimE_EEvlNS_15PhiloxCudaStateET1_SK_, .Lfunc_end54-_ZN2at6native12_GLOBAL__N_143distribution_elementwise_grid_stride_kernelImLi2EZZZNS0_9templates4cuda32random_full_64_bits_range_kernelIPNS_17CUDAGeneratorImplEEEvRNS_18TensorIteratorBaseET_ENKUlvE_clEvENKUlvE0_clEvEUlP25hiprandStatePhilox4_32_10E_ZNS1_27distribution_nullary_kernelIam15HIP_vector_typeIyLj2EES7_SF_ZZZNS5_IS7_EEvS9_SA_ENKSB_clEvENKSC_clEvEUlmE_EEvS9_T2_RKT3_T4_EUlimE_EEvlNS_15PhiloxCudaStateET1_SK_
                                        ; -- End function
	.section	.AMDGPU.csdata,"",@progbits
; Kernel info:
; codeLenInByte = 2132
; NumSgprs: 28
; NumVgprs: 44
; NumAgprs: 0
; TotalNumVgprs: 44
; ScratchSize: 0
; MemoryBound: 0
; FloatMode: 240
; IeeeMode: 1
; LDSByteSize: 0 bytes/workgroup (compile time only)
; SGPRBlocks: 3
; VGPRBlocks: 5
; NumSGPRsForWavesPerEU: 28
; NumVGPRsForWavesPerEU: 44
; AccumOffset: 44
; Occupancy: 8
; WaveLimiterHint : 0
; COMPUTE_PGM_RSRC2:SCRATCH_EN: 0
; COMPUTE_PGM_RSRC2:USER_SGPR: 6
; COMPUTE_PGM_RSRC2:TRAP_HANDLER: 0
; COMPUTE_PGM_RSRC2:TGID_X_EN: 1
; COMPUTE_PGM_RSRC2:TGID_Y_EN: 0
; COMPUTE_PGM_RSRC2:TGID_Z_EN: 0
; COMPUTE_PGM_RSRC2:TIDIG_COMP_CNT: 0
; COMPUTE_PGM_RSRC3_GFX90A:ACCUM_OFFSET: 10
; COMPUTE_PGM_RSRC3_GFX90A:TG_SPLIT: 0
	.section	.text._ZN2at6native12_GLOBAL__N_143distribution_elementwise_grid_stride_kernelImLi2EZZZNS0_9templates4cuda32random_full_64_bits_range_kernelIPNS_17CUDAGeneratorImplEEEvRNS_18TensorIteratorBaseET_ENKUlvE_clEvENKUlvE0_clEvEUlP25hiprandStatePhilox4_32_10E_ZNS1_27distribution_nullary_kernelIam15HIP_vector_typeIyLj2EES7_SF_ZZZNS5_IS7_EEvS9_SA_ENKSB_clEvENKSC_clEvEUlmE_EEvS9_T2_RKT3_T4_EUlimE0_EEvlNS_15PhiloxCudaStateET1_SK_,"axG",@progbits,_ZN2at6native12_GLOBAL__N_143distribution_elementwise_grid_stride_kernelImLi2EZZZNS0_9templates4cuda32random_full_64_bits_range_kernelIPNS_17CUDAGeneratorImplEEEvRNS_18TensorIteratorBaseET_ENKUlvE_clEvENKUlvE0_clEvEUlP25hiprandStatePhilox4_32_10E_ZNS1_27distribution_nullary_kernelIam15HIP_vector_typeIyLj2EES7_SF_ZZZNS5_IS7_EEvS9_SA_ENKSB_clEvENKSC_clEvEUlmE_EEvS9_T2_RKT3_T4_EUlimE0_EEvlNS_15PhiloxCudaStateET1_SK_,comdat
	.globl	_ZN2at6native12_GLOBAL__N_143distribution_elementwise_grid_stride_kernelImLi2EZZZNS0_9templates4cuda32random_full_64_bits_range_kernelIPNS_17CUDAGeneratorImplEEEvRNS_18TensorIteratorBaseET_ENKUlvE_clEvENKUlvE0_clEvEUlP25hiprandStatePhilox4_32_10E_ZNS1_27distribution_nullary_kernelIam15HIP_vector_typeIyLj2EES7_SF_ZZZNS5_IS7_EEvS9_SA_ENKSB_clEvENKSC_clEvEUlmE_EEvS9_T2_RKT3_T4_EUlimE0_EEvlNS_15PhiloxCudaStateET1_SK_ ; -- Begin function _ZN2at6native12_GLOBAL__N_143distribution_elementwise_grid_stride_kernelImLi2EZZZNS0_9templates4cuda32random_full_64_bits_range_kernelIPNS_17CUDAGeneratorImplEEEvRNS_18TensorIteratorBaseET_ENKUlvE_clEvENKUlvE0_clEvEUlP25hiprandStatePhilox4_32_10E_ZNS1_27distribution_nullary_kernelIam15HIP_vector_typeIyLj2EES7_SF_ZZZNS5_IS7_EEvS9_SA_ENKSB_clEvENKSC_clEvEUlmE_EEvS9_T2_RKT3_T4_EUlimE0_EEvlNS_15PhiloxCudaStateET1_SK_
	.p2align	8
	.type	_ZN2at6native12_GLOBAL__N_143distribution_elementwise_grid_stride_kernelImLi2EZZZNS0_9templates4cuda32random_full_64_bits_range_kernelIPNS_17CUDAGeneratorImplEEEvRNS_18TensorIteratorBaseET_ENKUlvE_clEvENKUlvE0_clEvEUlP25hiprandStatePhilox4_32_10E_ZNS1_27distribution_nullary_kernelIam15HIP_vector_typeIyLj2EES7_SF_ZZZNS5_IS7_EEvS9_SA_ENKSB_clEvENKSC_clEvEUlmE_EEvS9_T2_RKT3_T4_EUlimE0_EEvlNS_15PhiloxCudaStateET1_SK_,@function
_ZN2at6native12_GLOBAL__N_143distribution_elementwise_grid_stride_kernelImLi2EZZZNS0_9templates4cuda32random_full_64_bits_range_kernelIPNS_17CUDAGeneratorImplEEEvRNS_18TensorIteratorBaseET_ENKUlvE_clEvENKUlvE0_clEvEUlP25hiprandStatePhilox4_32_10E_ZNS1_27distribution_nullary_kernelIam15HIP_vector_typeIyLj2EES7_SF_ZZZNS5_IS7_EEvS9_SA_ENKSB_clEvENKSC_clEvEUlmE_EEvS9_T2_RKT3_T4_EUlimE0_EEvlNS_15PhiloxCudaStateET1_SK_: ; @_ZN2at6native12_GLOBAL__N_143distribution_elementwise_grid_stride_kernelImLi2EZZZNS0_9templates4cuda32random_full_64_bits_range_kernelIPNS_17CUDAGeneratorImplEEEvRNS_18TensorIteratorBaseET_ENKUlvE_clEvENKUlvE0_clEvEUlP25hiprandStatePhilox4_32_10E_ZNS1_27distribution_nullary_kernelIam15HIP_vector_typeIyLj2EES7_SF_ZZZNS5_IS7_EEvS9_SA_ENKSB_clEvENKSC_clEvEUlmE_EEvS9_T2_RKT3_T4_EUlimE0_EEvlNS_15PhiloxCudaStateET1_SK_
; %bb.0:
	s_load_dword s2, s[4:5], 0x20
	s_load_dwordx2 s[0:1], s[4:5], 0x10
	s_load_dwordx4 s[24:27], s[4:5], 0x0
	s_waitcnt lgkmcnt(0)
	s_bitcmp0_b32 s2, 0
	s_mov_b32 s2, 0
	v_pk_mov_b32 v[2:3], s[0:1], s[0:1] op_sel:[0,1]
	v_pk_mov_b32 v[12:13], s[26:27], s[26:27] op_sel:[0,1]
	s_cbranch_scc1 .LBB55_2
; %bb.1:
	v_pk_mov_b32 v[2:3], s[0:1], s[0:1] op_sel:[0,1]
	flat_load_dwordx2 v[2:3], v[2:3]
	v_pk_mov_b32 v[4:5], s[26:27], s[26:27] op_sel:[0,1]
	flat_load_dwordx2 v[12:13], v[4:5]
	s_load_dwordx2 s[0:1], s[4:5], 0x18
	s_waitcnt lgkmcnt(0)
	v_mov_b32_e32 v1, s1
	s_waitcnt vmcnt(0)
	v_add_co_u32_e32 v2, vcc, s0, v2
	v_addc_co_u32_e32 v3, vcc, v3, v1, vcc
.LBB55_2:
	s_load_dword s0, s[4:5], 0x154
	s_load_dword s7, s[4:5], 0x148
	s_waitcnt lgkmcnt(0)
	s_and_b32 s8, s0, 0xffff
	s_add_u32 s9, s24, -1
	s_mul_i32 s33, s7, s8
	s_addc_u32 s3, s25, -1
	s_lshl_b32 s58, s33, 1
	s_cmp_lg_u64 s[2:3], 0
	s_mov_b64 s[0:1], -1
	s_cbranch_scc0 .LBB55_51
; %bb.3:
	v_cvt_f32_u32_e32 v1, s58
	v_cvt_f32_ubyte0_e32 v4, 0
	s_sub_u32 s2, 0, s58
	s_subb_u32 s10, 0, 0
	v_madmk_f32 v1, v4, 0x4f800000, v1
	v_rcp_f32_e32 v1, v1
	v_mul_f32_e32 v1, 0x5f7ffffc, v1
	v_mul_f32_e32 v4, 0x2f800000, v1
	v_trunc_f32_e32 v4, v4
	v_madmk_f32 v1, v4, 0xcf800000, v1
	v_cvt_u32_f32_e32 v4, v4
	v_cvt_u32_f32_e32 v1, v1
	v_readfirstlane_b32 s11, v4
	v_readfirstlane_b32 s12, v1
	s_mul_i32 s13, s2, s11
	s_mul_hi_u32 s15, s2, s12
	s_mul_i32 s14, s10, s12
	s_add_i32 s13, s15, s13
	s_add_i32 s13, s13, s14
	s_mul_i32 s16, s2, s12
	s_mul_hi_u32 s14, s12, s13
	s_mul_i32 s15, s12, s13
	s_mul_hi_u32 s12, s12, s16
	s_add_u32 s12, s12, s15
	s_addc_u32 s14, 0, s14
	s_mul_hi_u32 s17, s11, s16
	s_mul_i32 s16, s11, s16
	s_add_u32 s12, s12, s16
	s_mul_hi_u32 s15, s11, s13
	s_addc_u32 s12, s14, s17
	s_addc_u32 s14, s15, 0
	s_mul_i32 s13, s11, s13
	s_add_u32 s12, s12, s13
	s_addc_u32 s13, 0, s14
	v_add_co_u32_e32 v1, vcc, s12, v1
	s_cmp_lg_u64 vcc, 0
	s_addc_u32 s11, s11, s13
	v_readfirstlane_b32 s13, v1
	s_mul_i32 s12, s2, s11
	s_mul_hi_u32 s14, s2, s13
	s_add_i32 s12, s14, s12
	s_mul_i32 s10, s10, s13
	s_add_i32 s12, s12, s10
	s_mul_i32 s2, s2, s13
	s_mul_hi_u32 s14, s11, s2
	s_mul_i32 s15, s11, s2
	s_mul_i32 s17, s13, s12
	s_mul_hi_u32 s2, s13, s2
	s_mul_hi_u32 s16, s13, s12
	s_add_u32 s2, s2, s17
	s_addc_u32 s13, 0, s16
	s_add_u32 s2, s2, s15
	s_mul_hi_u32 s10, s11, s12
	s_addc_u32 s2, s13, s14
	s_addc_u32 s10, s10, 0
	s_mul_i32 s12, s11, s12
	s_add_u32 s2, s2, s12
	s_addc_u32 s10, 0, s10
	v_add_co_u32_e32 v1, vcc, s2, v1
	s_cmp_lg_u64 vcc, 0
	s_addc_u32 s12, s11, s10
	s_ashr_i32 s10, s3, 31
	s_add_u32 s2, s9, s10
	s_mov_b32 s11, s10
	s_addc_u32 s3, s3, s10
	s_xor_b64 s[2:3], s[2:3], s[10:11]
	v_readfirstlane_b32 s15, v1
	s_mul_i32 s14, s2, s12
	s_mul_hi_u32 s16, s2, s15
	s_mul_hi_u32 s13, s2, s12
	s_add_u32 s14, s16, s14
	s_addc_u32 s13, 0, s13
	s_mul_hi_u32 s17, s3, s15
	s_mul_i32 s15, s3, s15
	s_add_u32 s14, s14, s15
	s_mul_hi_u32 s16, s3, s12
	s_addc_u32 s13, s13, s17
	s_addc_u32 s14, s16, 0
	s_mul_i32 s12, s3, s12
	s_add_u32 s12, s13, s12
	s_addc_u32 s13, 0, s14
	s_add_u32 s14, s12, 1
	s_addc_u32 s15, s13, 0
	s_add_u32 s16, s12, 2
	s_mul_i32 s18, s58, s13
	s_mul_hi_u32 s19, s58, s12
	s_addc_u32 s17, s13, 0
	s_add_i32 s19, s19, s18
	s_mul_i32 s18, s58, s12
	v_mov_b32_e32 v1, s18
	v_sub_co_u32_e32 v1, vcc, s2, v1
	s_cmp_lg_u64 vcc, 0
	s_subb_u32 s2, s3, s19
	v_subrev_co_u32_e32 v4, vcc, s58, v1
	s_cmp_lg_u64 vcc, 0
	s_subb_u32 s3, s2, 0
	v_readfirstlane_b32 s18, v4
	s_cmp_ge_u32 s18, s58
	s_cselect_b32 s18, -1, 0
	s_cmp_eq_u32 s3, 0
	s_cselect_b32 s3, s18, -1
	s_cmp_lg_u32 s3, 0
	s_cselect_b32 s3, s17, s15
	v_readfirstlane_b32 s15, v1
	s_cselect_b32 s14, s16, s14
	s_cmp_ge_u32 s15, s58
	s_cselect_b32 s15, -1, 0
	s_cmp_eq_u32 s2, 0
	s_cselect_b32 s2, s15, -1
	s_cmp_lg_u32 s2, 0
	s_cselect_b32 s3, s3, s13
	s_cselect_b32 s2, s14, s12
	s_xor_b64 s[2:3], s[2:3], s[10:11]
	s_sub_u32 s2, s2, s10
	s_subb_u32 s3, s3, s10
	s_cbranch_execnz .LBB55_5
.LBB55_4:
	v_cvt_f32_u32_e32 v1, s58
	s_sub_i32 s0, 0, s58
	s_mov_b32 s3, 0
	v_rcp_iflag_f32_e32 v1, v1
	v_mul_f32_e32 v1, 0x4f7ffffe, v1
	v_cvt_u32_f32_e32 v1, v1
	v_readfirstlane_b32 s1, v1
	s_mul_i32 s0, s0, s1
	s_mul_hi_u32 s0, s1, s0
	s_add_i32 s1, s1, s0
	s_mul_hi_u32 s0, s9, s1
	s_mul_i32 s2, s0, s58
	s_sub_i32 s2, s9, s2
	s_add_i32 s1, s0, 1
	s_sub_i32 s9, s2, s58
	s_cmp_ge_u32 s2, s58
	s_cselect_b32 s0, s1, s0
	s_cselect_b32 s2, s9, s2
	s_add_i32 s1, s0, 1
	s_cmp_ge_u32 s2, s58
	s_cselect_b32 s2, s1, s0
.LBB55_5:
	v_mov_b32_e32 v1, 0
	v_mov_b32_e32 v4, s6
	v_mad_u64_u32 v[14:15], s[0:1], s8, v4, v[0:1]
	s_add_u32 s0, s2, 1
	s_addc_u32 s1, s3, 0
	s_mul_hi_u32 s2, s7, s8
	s_mul_i32 s1, s33, s1
	s_mul_hi_u32 s3, s33, s0
	s_add_i32 s1, s3, s1
	s_mul_i32 s2, s2, s0
	s_add_i32 s1, s1, s2
	s_mul_i32 s0, s33, s0
	s_lshl_b64 s[26:27], s[0:1], 1
	v_cmp_gt_i64_e32 vcc, s[26:27], v[14:15]
	s_and_saveexec_b64 s[0:1], vcc
	s_cbranch_execz .LBB55_50
; %bb.6:
	s_mov_b32 s0, 0x5384540f
	v_mov_b32_e32 v0, v13
	v_add_co_u32_e32 v20, vcc, s0, v12
	s_mov_b32 s0, 0x646e171e
	v_add_co_u32_e32 v21, vcc, s0, v0
	s_mov_b32 s0, 0x1715609d
	;; [unrolled: 2-line block ×6, first 2 shown]
	v_alignbit_b32 v27, v3, v2, 2
	s_mov_b32 s60, 0xd2511f53
	v_add_co_u32_e32 v26, vcc, s0, v12
	v_mad_u64_u32 v[4:5], s[0:1], v27, s60, 0
	v_xor_b32_e32 v1, v5, v13
	v_xor_b32_e32 v1, v1, v15
	s_mov_b32 s61, 0xcd9e8d57
	v_mad_u64_u32 v[6:7], s[0:1], v1, s61, 0
	v_xor_b32_e32 v1, v26, v7
	v_mad_u64_u32 v[8:9], s[0:1], v14, s61, 0
	v_and_b32_e32 v16, 3, v2
	v_xor_b32_e32 v1, v1, v8
	v_xor_b32_e32 v2, v12, v9
	v_lshrrev_b32_e32 v28, 2, v3
	v_mad_u64_u32 v[10:11], s[0:1], v1, s60, 0
	v_xor_b32_e32 v2, v2, v28
	v_xor_b32_e32 v1, v25, v11
	v_mad_u64_u32 v[2:3], s[0:1], v2, s60, 0
	v_xor_b32_e32 v1, v1, v2
	v_mad_u64_u32 v[8:9], s[0:1], v1, s61, 0
	s_mov_b32 s0, 0xbb67ae85
	v_add_co_u32_e32 v29, vcc, s0, v0
	v_xor_b32_e32 v2, v29, v3
	v_xor_b32_e32 v2, v2, v4
	v_xor_b32_e32 v1, v24, v9
	v_mad_u64_u32 v[2:3], s[0:1], v2, s61, 0
	v_xor_b32_e32 v1, v1, v2
	v_mad_u64_u32 v[4:5], s[0:1], v1, s60, 0
	s_mov_b32 s0, 0x3c6ef372
	v_add_co_u32_e32 v30, vcc, s0, v12
	v_xor_b32_e32 v2, v30, v3
	;; [unrolled: 8-line block ×6, first 2 shown]
	v_add_co_u32_e32 v19, vcc, 0xdb3d7428, v0
	v_xor_b32_e32 v2, v2, v6
	v_xor_b32_e32 v1, v19, v5
	v_mad_u64_u32 v[2:3], s[0:1], v2, s60, 0
	v_xor_b32_e32 v1, v1, v2
	v_mad_u64_u32 v[6:7], s[0:1], v1, s61, 0
	s_mov_b32 s0, 0x1fd5c5a3
	v_add_co_u32_e32 v35, vcc, s0, v0
	v_xor_b32_e32 v0, v35, v3
	v_xor_b32_e32 v0, v0, v10
	v_mad_u64_u32 v[0:1], s[0:1], v0, s61, 0
	s_mov_b32 s0, 0xf1bbcdc8
	s_load_dwordx8 s[8:15], s[4:5], 0x30
	v_add_co_u32_e32 v36, vcc, s0, v12
	v_xor_b32_e32 v0, v36, v1
	v_xor_b32_e32 v0, v0, v8
	s_add_u32 s34, s4, 48
	v_mad_u64_u32 v[0:1], s[0:1], v0, s60, 0
	s_addc_u32 s35, s5, 0
	s_waitcnt lgkmcnt(0)
	s_add_i32 s0, s8, -1
	s_cmp_gt_u32 s0, 1
	s_cselect_b64 s[36:37], -1, 0
	s_cmp_lg_u32 s8, 0
	s_cselect_b64 s[38:39], -1, 0
	s_add_u32 s40, s4, 0xf4
	s_addc_u32 s41, s5, 0
	s_min_u32 s1, s0, 15
	s_cmp_gt_u32 s8, 1
	s_cselect_b64 s[42:43], -1, 0
	s_add_i32 s1, s1, 1
	s_mov_b32 s8, s13
	s_load_dwordx2 s[44:45], s[4:5], 0xf4
	s_load_dwordx2 s[46:47], s[4:5], 0x138
	s_and_b32 s13, s1, 3
	s_cmp_lg_u32 s0, 2
	s_cselect_b64 s[48:49], -1, 0
	s_and_b32 s15, s1, 28
	v_add_u32_e32 v18, 0x96a522ad, v13
	v_xor_b32_e32 v1, v1, v4
	s_cmp_lg_u32 s13, 0
	s_mov_b32 s59, 0
	v_add_u32_e32 v17, 0x8ff34781, v12
	v_xor_b32_e32 v2, v18, v1
	v_mov_b32_e32 v1, v6
	v_mov_b32_e32 v3, v0
	s_mov_b64 s[50:51], 0
	s_cselect_b64 s[52:53], -1, 0
	v_mov_b32_e32 v37, v14
	v_mov_b32_e32 v38, v15
	s_branch .LBB55_9
.LBB55_7:                               ;   in Loop: Header=BB55_9 Depth=1
	s_waitcnt lgkmcnt(0)
	global_store_byte v8, v3, s[46:47]
.LBB55_8:                               ;   in Loop: Header=BB55_9 Depth=1
	s_or_b64 exec, exec, s[28:29]
	v_add_co_u32_e32 v14, vcc, s58, v14
	v_addc_co_u32_e32 v15, vcc, 0, v15, vcc
	v_mov_b32_e32 v7, v4
	v_cmp_le_i64_e32 vcc, s[26:27], v[14:15]
	v_pk_mov_b32 v[0:1], v[4:5], v[4:5] op_sel:[0,1]
	s_or_b64 s[50:51], vcc, s[50:51]
	v_pk_mov_b32 v[2:3], v[6:7], v[6:7] op_sel:[0,1]
	s_waitcnt lgkmcnt(0)
	s_barrier
	s_andn2_b64 exec, exec, s[50:51]
	s_cbranch_execz .LBB55_50
.LBB55_9:                               ; =>This Loop Header: Depth=1
                                        ;     Child Loop BB55_24 Depth 2
                                        ;     Child Loop BB55_30 Depth 2
	;; [unrolled: 1-line block ×4, first 2 shown]
	v_add_co_u32_e32 v27, vcc, 1, v27
	v_cndmask_b32_e64 v0, 0, 1, vcc
	v_addc_co_u32_e32 v28, vcc, 0, v28, vcc
	v_cmp_eq_u32_e32 vcc, 0, v28
	v_cndmask_b32_e32 v0, 0, v0, vcc
	v_add_u32_e32 v37, v0, v37
	v_cmp_eq_u32_e32 vcc, 0, v37
	v_cndmask_b32_e32 v0, 0, v0, vcc
	v_mad_u64_u32 v[4:5], s[0:1], v27, s60, 0
	v_add_u32_e32 v38, v0, v38
	v_mad_u64_u32 v[6:7], s[0:1], v37, s61, 0
	v_xor_b32_e32 v5, v5, v13
	v_xor_b32_e32 v0, v7, v12
	v_xor_b32_e32 v5, v38, v5
	v_xor_b32_e32 v0, v28, v0
	v_mad_u64_u32 v[10:11], s[0:1], v5, s61, 0
	v_mad_u64_u32 v[8:9], s[0:1], v0, s60, 0
	v_xor_b32_e32 v0, v26, v11
	v_xor_b32_e32 v0, v0, v6
	v_xor_b32_e32 v5, v29, v9
	v_xor_b32_e32 v6, v5, v4
	v_mad_u64_u32 v[4:5], s[0:1], v0, s60, 0
	;; [unrolled: 6-line block ×9, first 2 shown]
	v_mad_u64_u32 v[4:5], s[0:1], v0, s60, 0
	v_xor_b32_e32 v0, v11, v40
	v_xor_b32_e32 v8, v17, v0
	;; [unrolled: 1-line block ×4, first 2 shown]
	v_mov_b32_e32 v5, v10
	v_mov_b32_e32 v6, v9
	v_cmp_lt_i32_e32 vcc, 1, v16
	s_and_saveexec_b64 s[0:1], vcc
	s_xor_b64 s[0:1], exec, s[0:1]
	s_cbranch_execz .LBB55_15
; %bb.10:                               ;   in Loop: Header=BB55_9 Depth=1
	v_cmp_lt_i32_e32 vcc, 2, v16
	s_and_saveexec_b64 s[2:3], vcc
	s_xor_b64 s[2:3], exec, s[2:3]
; %bb.11:                               ;   in Loop: Header=BB55_9 Depth=1
	v_mov_b32_e32 v7, v8
	v_pk_mov_b32 v[0:1], v[6:7], v[6:7] op_sel:[0,1]
	v_pk_mov_b32 v[2:3], v[8:9], v[8:9] op_sel:[0,1]
                                        ; implicit-def: $vgpr10_vgpr11
; %bb.12:                               ;   in Loop: Header=BB55_9 Depth=1
	s_andn2_saveexec_b64 s[2:3], s[2:3]
; %bb.13:                               ;   in Loop: Header=BB55_9 Depth=1
	v_mov_b32_e32 v1, v3
	v_mov_b32_e32 v3, v10
; %bb.14:                               ;   in Loop: Header=BB55_9 Depth=1
	s_or_b64 exec, exec, s[2:3]
                                        ; implicit-def: $vgpr8_vgpr9_vgpr10_vgpr11
.LBB55_15:                              ;   in Loop: Header=BB55_9 Depth=1
	s_andn2_saveexec_b64 s[0:1], s[0:1]
	s_cbranch_execz .LBB55_19
; %bb.16:                               ;   in Loop: Header=BB55_9 Depth=1
	v_cmp_eq_u32_e32 vcc, 1, v16
	s_and_saveexec_b64 s[2:3], vcc
; %bb.17:                               ;   in Loop: Header=BB55_9 Depth=1
	v_mov_b32_e32 v1, v2
	v_mov_b32_e32 v3, v8
; %bb.18:                               ;   in Loop: Header=BB55_9 Depth=1
	s_or_b64 exec, exec, s[2:3]
.LBB55_19:                              ;   in Loop: Header=BB55_9 Depth=1
	s_or_b64 exec, exec, s[0:1]
	v_cndmask_b32_e64 v0, 0, 1, s[36:37]
	v_cmp_gt_i64_e32 vcc, s[24:25], v[14:15]
	v_cmp_ne_u32_e64 s[0:1], 1, v0
	s_and_saveexec_b64 s[2:3], vcc
	s_cbranch_execz .LBB55_35
; %bb.20:                               ;   in Loop: Header=BB55_9 Depth=1
	s_and_b64 vcc, exec, s[0:1]
	s_cbranch_vccnz .LBB55_26
; %bb.21:                               ;   in Loop: Header=BB55_9 Depth=1
	s_andn2_b64 vcc, exec, s[38:39]
	s_cbranch_vccnz .LBB55_27
; %bb.22:                               ;   in Loop: Header=BB55_9 Depth=1
	s_mov_b32 s6, 0
	s_andn2_b64 vcc, exec, s[48:49]
	v_mov_b32_e32 v8, 0
	s_cbranch_vccnz .LBB55_28
; %bb.23:                               ;   in Loop: Header=BB55_9 Depth=1
	s_mov_b32 s62, 0
	v_mov_b32_e32 v8, 0
	s_mov_b64 s[54:55], s[34:35]
	s_mov_b64 s[56:57], s[40:41]
	v_mov_b32_e32 v0, v14
.LBB55_24:                              ;   Parent Loop BB55_9 Depth=1
                                        ; =>  This Inner Loop Header: Depth=2
	s_load_dwordx8 s[16:23], s[54:55], 0x4
	s_load_dwordx4 s[4:7], s[54:55], 0x24
	s_load_dwordx4 s[28:31], s[56:57], 0x0
	s_add_u32 s54, s54, 48
	s_addc_u32 s55, s55, 0
	s_waitcnt lgkmcnt(0)
	v_mul_hi_u32 v2, s17, v0
	v_add_u32_e32 v2, v0, v2
	v_lshrrev_b32_e32 v2, s18, v2
	v_mul_lo_u32 v7, v2, s16
	v_mul_hi_u32 v9, s20, v2
	v_sub_u32_e32 v0, v0, v7
	v_add_u32_e32 v7, v2, v9
	v_lshrrev_b32_e32 v7, s21, v7
	v_mul_lo_u32 v9, v7, s19
	v_mul_hi_u32 v10, s23, v7
	v_sub_u32_e32 v2, v2, v9
	v_add_u32_e32 v9, v7, v10
	v_mul_lo_u32 v0, v0, s28
	v_mul_lo_u32 v2, v2, s29
	v_lshrrev_b32_e32 v9, s4, v9
	v_add3_u32 v2, v0, v8, v2
	v_mul_lo_u32 v0, v9, s22
	v_mul_hi_u32 v8, s6, v9
	v_sub_u32_e32 v0, v7, v0
	v_add_u32_e32 v7, v9, v8
	v_mul_lo_u32 v8, v0, s30
	v_lshrrev_b32_e32 v0, s7, v7
	s_add_i32 s62, s62, 4
	v_mul_lo_u32 v7, v0, s5
	s_add_u32 s56, s56, 16
	v_sub_u32_e32 v7, v9, v7
	s_addc_u32 s57, s57, 0
	v_mul_lo_u32 v7, v7, s31
	s_cmp_lg_u32 s15, s62
	v_add3_u32 v8, v8, v2, v7
	s_cbranch_scc1 .LBB55_24
; %bb.25:                               ;   in Loop: Header=BB55_9 Depth=1
	s_mov_b32 s6, s15
	s_andn2_b64 vcc, exec, s[52:53]
	s_cbranch_vccz .LBB55_29
	s_branch .LBB55_31
.LBB55_26:                              ;   in Loop: Header=BB55_9 Depth=1
                                        ; implicit-def: $vgpr8
	s_branch .LBB55_32
.LBB55_27:                              ;   in Loop: Header=BB55_9 Depth=1
	v_mov_b32_e32 v8, 0
	s_branch .LBB55_31
.LBB55_28:                              ;   in Loop: Header=BB55_9 Depth=1
	v_mov_b32_e32 v0, v14
	s_andn2_b64 vcc, exec, s[52:53]
	s_cbranch_vccnz .LBB55_31
.LBB55_29:                              ;   in Loop: Header=BB55_9 Depth=1
	s_lshl_b32 s4, s6, 2
	s_add_u32 s4, s40, s4
	s_addc_u32 s5, s41, 0
	s_mul_i32 s6, s6, 12
	s_add_u32 s6, s34, s6
	s_addc_u32 s7, s35, 0
	s_mov_b32 s16, s13
.LBB55_30:                              ;   Parent Loop BB55_9 Depth=1
                                        ; =>  This Inner Loop Header: Depth=2
	s_load_dwordx2 s[18:19], s[6:7], 0x4
	s_load_dword s17, s[6:7], 0xc
	s_load_dword s20, s[4:5], 0x0
	s_add_u32 s6, s6, 12
	s_addc_u32 s7, s7, 0
	s_waitcnt lgkmcnt(0)
	v_mul_hi_u32 v2, s19, v0
	v_add_u32_e32 v2, v0, v2
	v_lshrrev_b32_e32 v2, s17, v2
	s_add_u32 s4, s4, 4
	v_mul_lo_u32 v7, v2, s18
	s_addc_u32 s5, s5, 0
	s_add_i32 s16, s16, -1
	v_sub_u32_e32 v7, v0, v7
	s_cmp_lg_u32 s16, 0
	v_mov_b32_e32 v0, v2
	v_mad_u64_u32 v[8:9], s[18:19], v7, s20, v[8:9]
	s_cbranch_scc1 .LBB55_30
.LBB55_31:                              ;   in Loop: Header=BB55_9 Depth=1
	s_cbranch_execnz .LBB55_34
.LBB55_32:                              ;   in Loop: Header=BB55_9 Depth=1
	v_mul_hi_u32 v0, v14, s10
	v_add_u32_e32 v0, v0, v14
	v_lshrrev_b32_e32 v0, s11, v0
	v_mul_lo_u32 v2, v0, s9
	v_sub_u32_e32 v2, v14, v2
	s_andn2_b64 vcc, exec, s[42:43]
	s_waitcnt lgkmcnt(0)
	v_mul_lo_u32 v8, v2, s44
	s_cbranch_vccnz .LBB55_34
; %bb.33:                               ;   in Loop: Header=BB55_9 Depth=1
	v_mul_hi_u32 v2, s8, v0
	v_add_u32_e32 v2, v0, v2
	v_lshrrev_b32_e32 v2, s14, v2
	v_mul_lo_u32 v2, v2, s12
	v_sub_u32_e32 v0, v0, v2
	v_mad_u64_u32 v[8:9], s[4:5], v0, s45, v[8:9]
.LBB55_34:                              ;   in Loop: Header=BB55_9 Depth=1
	s_waitcnt lgkmcnt(0)
	global_store_byte v8, v1, s[46:47]
.LBB55_35:                              ;   in Loop: Header=BB55_9 Depth=1
	s_or_b64 exec, exec, s[2:3]
	v_mov_b32_e32 v1, s59
	v_add_co_u32_e32 v0, vcc, s33, v14
	v_addc_co_u32_e32 v1, vcc, v15, v1, vcc
	v_cmp_gt_i64_e32 vcc, s[24:25], v[0:1]
	s_and_saveexec_b64 s[28:29], vcc
	s_cbranch_execz .LBB55_8
; %bb.36:                               ;   in Loop: Header=BB55_9 Depth=1
	s_and_b64 vcc, exec, s[0:1]
	s_cbranch_vccnz .LBB55_42
; %bb.37:                               ;   in Loop: Header=BB55_9 Depth=1
	s_andn2_b64 vcc, exec, s[38:39]
	s_cbranch_vccnz .LBB55_43
; %bb.38:                               ;   in Loop: Header=BB55_9 Depth=1
	s_mov_b32 s2, 0
	s_andn2_b64 vcc, exec, s[48:49]
	v_mov_b32_e32 v8, 0
	s_cbranch_vccnz .LBB55_44
; %bb.39:                               ;   in Loop: Header=BB55_9 Depth=1
	s_mov_b32 s56, 0
	v_mov_b32_e32 v8, 0
	s_mov_b64 s[30:31], s[34:35]
	s_mov_b64 s[54:55], s[40:41]
	v_mov_b32_e32 v1, v0
.LBB55_40:                              ;   Parent Loop BB55_9 Depth=1
                                        ; =>  This Inner Loop Header: Depth=2
	s_load_dwordx8 s[0:7], s[30:31], 0x4
	s_load_dwordx4 s[16:19], s[30:31], 0x24
	s_load_dwordx4 s[20:23], s[54:55], 0x0
	s_add_u32 s30, s30, 48
	s_addc_u32 s31, s31, 0
	s_waitcnt lgkmcnt(0)
	v_mul_hi_u32 v2, s1, v1
	v_add_u32_e32 v2, v1, v2
	v_lshrrev_b32_e32 v2, s2, v2
	v_mul_lo_u32 v7, v2, s0
	v_mul_hi_u32 v9, s4, v2
	v_sub_u32_e32 v1, v1, v7
	v_add_u32_e32 v7, v2, v9
	v_lshrrev_b32_e32 v7, s5, v7
	v_mul_lo_u32 v9, v7, s3
	v_mul_hi_u32 v10, s7, v7
	v_sub_u32_e32 v2, v2, v9
	v_add_u32_e32 v9, v7, v10
	v_mul_lo_u32 v1, v1, s20
	v_mul_lo_u32 v2, v2, s21
	v_lshrrev_b32_e32 v9, s16, v9
	v_add3_u32 v2, v1, v8, v2
	v_mul_lo_u32 v1, v9, s6
	v_mul_hi_u32 v8, s18, v9
	v_sub_u32_e32 v1, v7, v1
	v_add_u32_e32 v7, v9, v8
	v_mul_lo_u32 v8, v1, s22
	v_lshrrev_b32_e32 v1, s19, v7
	s_add_i32 s56, s56, 4
	v_mul_lo_u32 v7, v1, s17
	s_add_u32 s54, s54, 16
	v_sub_u32_e32 v7, v9, v7
	s_addc_u32 s55, s55, 0
	v_mul_lo_u32 v7, v7, s23
	s_cmp_eq_u32 s15, s56
	v_add3_u32 v8, v8, v2, v7
	s_cbranch_scc0 .LBB55_40
; %bb.41:                               ;   in Loop: Header=BB55_9 Depth=1
	s_mov_b32 s2, s15
	s_andn2_b64 vcc, exec, s[52:53]
	s_cbranch_vccz .LBB55_45
	s_branch .LBB55_47
.LBB55_42:                              ;   in Loop: Header=BB55_9 Depth=1
                                        ; implicit-def: $vgpr8
	s_branch .LBB55_48
.LBB55_43:                              ;   in Loop: Header=BB55_9 Depth=1
	v_mov_b32_e32 v8, 0
	s_branch .LBB55_47
.LBB55_44:                              ;   in Loop: Header=BB55_9 Depth=1
	v_mov_b32_e32 v1, v0
	s_andn2_b64 vcc, exec, s[52:53]
	s_cbranch_vccnz .LBB55_47
.LBB55_45:                              ;   in Loop: Header=BB55_9 Depth=1
	s_lshl_b32 s0, s2, 2
	s_add_u32 s0, s40, s0
	s_addc_u32 s1, s41, 0
	s_mul_i32 s2, s2, 12
	s_add_u32 s2, s34, s2
	s_addc_u32 s3, s35, 0
	s_mov_b32 s4, s13
.LBB55_46:                              ;   Parent Loop BB55_9 Depth=1
                                        ; =>  This Inner Loop Header: Depth=2
	s_load_dwordx2 s[6:7], s[2:3], 0x4
	s_load_dword s5, s[2:3], 0xc
	s_load_dword s16, s[0:1], 0x0
	s_add_u32 s2, s2, 12
	s_addc_u32 s3, s3, 0
	s_waitcnt lgkmcnt(0)
	v_mul_hi_u32 v2, s7, v1
	v_add_u32_e32 v2, v1, v2
	v_lshrrev_b32_e32 v2, s5, v2
	s_add_u32 s0, s0, 4
	v_mul_lo_u32 v7, v2, s6
	s_addc_u32 s1, s1, 0
	s_add_i32 s4, s4, -1
	v_sub_u32_e32 v7, v1, v7
	s_cmp_lg_u32 s4, 0
	v_mov_b32_e32 v1, v2
	v_mad_u64_u32 v[8:9], s[6:7], v7, s16, v[8:9]
	s_cbranch_scc1 .LBB55_46
.LBB55_47:                              ;   in Loop: Header=BB55_9 Depth=1
	s_cbranch_execnz .LBB55_7
.LBB55_48:                              ;   in Loop: Header=BB55_9 Depth=1
	v_mul_hi_u32 v1, v0, s10
	v_add_u32_e32 v1, v1, v0
	v_lshrrev_b32_e32 v1, s11, v1
	v_mul_lo_u32 v2, v1, s9
	v_sub_u32_e32 v0, v0, v2
	s_andn2_b64 vcc, exec, s[42:43]
	s_waitcnt lgkmcnt(0)
	v_mul_lo_u32 v8, v0, s44
	s_cbranch_vccnz .LBB55_7
; %bb.49:                               ;   in Loop: Header=BB55_9 Depth=1
	v_mul_hi_u32 v0, s8, v1
	v_add_u32_e32 v0, v1, v0
	v_lshrrev_b32_e32 v0, s14, v0
	v_mul_lo_u32 v0, v0, s12
	v_sub_u32_e32 v0, v1, v0
	v_mad_u64_u32 v[8:9], s[0:1], v0, s45, v[8:9]
	s_branch .LBB55_7
.LBB55_50:
	s_endpgm
.LBB55_51:
                                        ; implicit-def: $sgpr2_sgpr3
	s_andn2_b64 vcc, exec, s[0:1]
	s_cbranch_vccz .LBB55_4
	s_branch .LBB55_5
	.section	.rodata,"a",@progbits
	.p2align	6, 0x0
	.amdhsa_kernel _ZN2at6native12_GLOBAL__N_143distribution_elementwise_grid_stride_kernelImLi2EZZZNS0_9templates4cuda32random_full_64_bits_range_kernelIPNS_17CUDAGeneratorImplEEEvRNS_18TensorIteratorBaseET_ENKUlvE_clEvENKUlvE0_clEvEUlP25hiprandStatePhilox4_32_10E_ZNS1_27distribution_nullary_kernelIam15HIP_vector_typeIyLj2EES7_SF_ZZZNS5_IS7_EEvS9_SA_ENKSB_clEvENKSC_clEvEUlmE_EEvS9_T2_RKT3_T4_EUlimE0_EEvlNS_15PhiloxCudaStateET1_SK_
		.amdhsa_group_segment_fixed_size 0
		.amdhsa_private_segment_fixed_size 0
		.amdhsa_kernarg_size 584
		.amdhsa_user_sgpr_count 6
		.amdhsa_user_sgpr_private_segment_buffer 1
		.amdhsa_user_sgpr_dispatch_ptr 0
		.amdhsa_user_sgpr_queue_ptr 0
		.amdhsa_user_sgpr_kernarg_segment_ptr 1
		.amdhsa_user_sgpr_dispatch_id 0
		.amdhsa_user_sgpr_flat_scratch_init 0
		.amdhsa_user_sgpr_kernarg_preload_length 0
		.amdhsa_user_sgpr_kernarg_preload_offset 0
		.amdhsa_user_sgpr_private_segment_size 0
		.amdhsa_uses_dynamic_stack 0
		.amdhsa_system_sgpr_private_segment_wavefront_offset 0
		.amdhsa_system_sgpr_workgroup_id_x 1
		.amdhsa_system_sgpr_workgroup_id_y 0
		.amdhsa_system_sgpr_workgroup_id_z 0
		.amdhsa_system_sgpr_workgroup_info 0
		.amdhsa_system_vgpr_workitem_id 0
		.amdhsa_next_free_vgpr 42
		.amdhsa_next_free_sgpr 63
		.amdhsa_accum_offset 44
		.amdhsa_reserve_vcc 1
		.amdhsa_reserve_flat_scratch 0
		.amdhsa_float_round_mode_32 0
		.amdhsa_float_round_mode_16_64 0
		.amdhsa_float_denorm_mode_32 3
		.amdhsa_float_denorm_mode_16_64 3
		.amdhsa_dx10_clamp 1
		.amdhsa_ieee_mode 1
		.amdhsa_fp16_overflow 0
		.amdhsa_tg_split 0
		.amdhsa_exception_fp_ieee_invalid_op 0
		.amdhsa_exception_fp_denorm_src 0
		.amdhsa_exception_fp_ieee_div_zero 0
		.amdhsa_exception_fp_ieee_overflow 0
		.amdhsa_exception_fp_ieee_underflow 0
		.amdhsa_exception_fp_ieee_inexact 0
		.amdhsa_exception_int_div_zero 0
	.end_amdhsa_kernel
	.section	.text._ZN2at6native12_GLOBAL__N_143distribution_elementwise_grid_stride_kernelImLi2EZZZNS0_9templates4cuda32random_full_64_bits_range_kernelIPNS_17CUDAGeneratorImplEEEvRNS_18TensorIteratorBaseET_ENKUlvE_clEvENKUlvE0_clEvEUlP25hiprandStatePhilox4_32_10E_ZNS1_27distribution_nullary_kernelIam15HIP_vector_typeIyLj2EES7_SF_ZZZNS5_IS7_EEvS9_SA_ENKSB_clEvENKSC_clEvEUlmE_EEvS9_T2_RKT3_T4_EUlimE0_EEvlNS_15PhiloxCudaStateET1_SK_,"axG",@progbits,_ZN2at6native12_GLOBAL__N_143distribution_elementwise_grid_stride_kernelImLi2EZZZNS0_9templates4cuda32random_full_64_bits_range_kernelIPNS_17CUDAGeneratorImplEEEvRNS_18TensorIteratorBaseET_ENKUlvE_clEvENKUlvE0_clEvEUlP25hiprandStatePhilox4_32_10E_ZNS1_27distribution_nullary_kernelIam15HIP_vector_typeIyLj2EES7_SF_ZZZNS5_IS7_EEvS9_SA_ENKSB_clEvENKSC_clEvEUlmE_EEvS9_T2_RKT3_T4_EUlimE0_EEvlNS_15PhiloxCudaStateET1_SK_,comdat
.Lfunc_end55:
	.size	_ZN2at6native12_GLOBAL__N_143distribution_elementwise_grid_stride_kernelImLi2EZZZNS0_9templates4cuda32random_full_64_bits_range_kernelIPNS_17CUDAGeneratorImplEEEvRNS_18TensorIteratorBaseET_ENKUlvE_clEvENKUlvE0_clEvEUlP25hiprandStatePhilox4_32_10E_ZNS1_27distribution_nullary_kernelIam15HIP_vector_typeIyLj2EES7_SF_ZZZNS5_IS7_EEvS9_SA_ENKSB_clEvENKSC_clEvEUlmE_EEvS9_T2_RKT3_T4_EUlimE0_EEvlNS_15PhiloxCudaStateET1_SK_, .Lfunc_end55-_ZN2at6native12_GLOBAL__N_143distribution_elementwise_grid_stride_kernelImLi2EZZZNS0_9templates4cuda32random_full_64_bits_range_kernelIPNS_17CUDAGeneratorImplEEEvRNS_18TensorIteratorBaseET_ENKUlvE_clEvENKUlvE0_clEvEUlP25hiprandStatePhilox4_32_10E_ZNS1_27distribution_nullary_kernelIam15HIP_vector_typeIyLj2EES7_SF_ZZZNS5_IS7_EEvS9_SA_ENKSB_clEvENKSC_clEvEUlmE_EEvS9_T2_RKT3_T4_EUlimE0_EEvlNS_15PhiloxCudaStateET1_SK_
                                        ; -- End function
	.section	.AMDGPU.csdata,"",@progbits
; Kernel info:
; codeLenInByte = 3168
; NumSgprs: 67
; NumVgprs: 42
; NumAgprs: 0
; TotalNumVgprs: 42
; ScratchSize: 0
; MemoryBound: 0
; FloatMode: 240
; IeeeMode: 1
; LDSByteSize: 0 bytes/workgroup (compile time only)
; SGPRBlocks: 8
; VGPRBlocks: 5
; NumSGPRsForWavesPerEU: 67
; NumVGPRsForWavesPerEU: 42
; AccumOffset: 44
; Occupancy: 8
; WaveLimiterHint : 1
; COMPUTE_PGM_RSRC2:SCRATCH_EN: 0
; COMPUTE_PGM_RSRC2:USER_SGPR: 6
; COMPUTE_PGM_RSRC2:TRAP_HANDLER: 0
; COMPUTE_PGM_RSRC2:TGID_X_EN: 1
; COMPUTE_PGM_RSRC2:TGID_Y_EN: 0
; COMPUTE_PGM_RSRC2:TGID_Z_EN: 0
; COMPUTE_PGM_RSRC2:TIDIG_COMP_CNT: 0
; COMPUTE_PGM_RSRC3_GFX90A:ACCUM_OFFSET: 10
; COMPUTE_PGM_RSRC3_GFX90A:TG_SPLIT: 0
	.section	.text._ZN2at6native12_GLOBAL__N_143distribution_elementwise_grid_stride_kernelImLi2EZZZNS0_9templates4cuda32random_full_64_bits_range_kernelIPNS_17CUDAGeneratorImplEEEvRNS_18TensorIteratorBaseET_ENKUlvE_clEvENKUlvE1_clEvEUlP25hiprandStatePhilox4_32_10E_ZNS1_27distribution_nullary_kernelIim15HIP_vector_typeIyLj2EES7_SF_ZZZNS5_IS7_EEvS9_SA_ENKSB_clEvENKSC_clEvEUlmE_EEvS9_T2_RKT3_T4_EUlimE_EEvlNS_15PhiloxCudaStateET1_SK_,"axG",@progbits,_ZN2at6native12_GLOBAL__N_143distribution_elementwise_grid_stride_kernelImLi2EZZZNS0_9templates4cuda32random_full_64_bits_range_kernelIPNS_17CUDAGeneratorImplEEEvRNS_18TensorIteratorBaseET_ENKUlvE_clEvENKUlvE1_clEvEUlP25hiprandStatePhilox4_32_10E_ZNS1_27distribution_nullary_kernelIim15HIP_vector_typeIyLj2EES7_SF_ZZZNS5_IS7_EEvS9_SA_ENKSB_clEvENKSC_clEvEUlmE_EEvS9_T2_RKT3_T4_EUlimE_EEvlNS_15PhiloxCudaStateET1_SK_,comdat
	.globl	_ZN2at6native12_GLOBAL__N_143distribution_elementwise_grid_stride_kernelImLi2EZZZNS0_9templates4cuda32random_full_64_bits_range_kernelIPNS_17CUDAGeneratorImplEEEvRNS_18TensorIteratorBaseET_ENKUlvE_clEvENKUlvE1_clEvEUlP25hiprandStatePhilox4_32_10E_ZNS1_27distribution_nullary_kernelIim15HIP_vector_typeIyLj2EES7_SF_ZZZNS5_IS7_EEvS9_SA_ENKSB_clEvENKSC_clEvEUlmE_EEvS9_T2_RKT3_T4_EUlimE_EEvlNS_15PhiloxCudaStateET1_SK_ ; -- Begin function _ZN2at6native12_GLOBAL__N_143distribution_elementwise_grid_stride_kernelImLi2EZZZNS0_9templates4cuda32random_full_64_bits_range_kernelIPNS_17CUDAGeneratorImplEEEvRNS_18TensorIteratorBaseET_ENKUlvE_clEvENKUlvE1_clEvEUlP25hiprandStatePhilox4_32_10E_ZNS1_27distribution_nullary_kernelIim15HIP_vector_typeIyLj2EES7_SF_ZZZNS5_IS7_EEvS9_SA_ENKSB_clEvENKSC_clEvEUlmE_EEvS9_T2_RKT3_T4_EUlimE_EEvlNS_15PhiloxCudaStateET1_SK_
	.p2align	8
	.type	_ZN2at6native12_GLOBAL__N_143distribution_elementwise_grid_stride_kernelImLi2EZZZNS0_9templates4cuda32random_full_64_bits_range_kernelIPNS_17CUDAGeneratorImplEEEvRNS_18TensorIteratorBaseET_ENKUlvE_clEvENKUlvE1_clEvEUlP25hiprandStatePhilox4_32_10E_ZNS1_27distribution_nullary_kernelIim15HIP_vector_typeIyLj2EES7_SF_ZZZNS5_IS7_EEvS9_SA_ENKSB_clEvENKSC_clEvEUlmE_EEvS9_T2_RKT3_T4_EUlimE_EEvlNS_15PhiloxCudaStateET1_SK_,@function
_ZN2at6native12_GLOBAL__N_143distribution_elementwise_grid_stride_kernelImLi2EZZZNS0_9templates4cuda32random_full_64_bits_range_kernelIPNS_17CUDAGeneratorImplEEEvRNS_18TensorIteratorBaseET_ENKUlvE_clEvENKUlvE1_clEvEUlP25hiprandStatePhilox4_32_10E_ZNS1_27distribution_nullary_kernelIim15HIP_vector_typeIyLj2EES7_SF_ZZZNS5_IS7_EEvS9_SA_ENKSB_clEvENKSC_clEvEUlmE_EEvS9_T2_RKT3_T4_EUlimE_EEvlNS_15PhiloxCudaStateET1_SK_: ; @_ZN2at6native12_GLOBAL__N_143distribution_elementwise_grid_stride_kernelImLi2EZZZNS0_9templates4cuda32random_full_64_bits_range_kernelIPNS_17CUDAGeneratorImplEEEvRNS_18TensorIteratorBaseET_ENKUlvE_clEvENKUlvE1_clEvEUlP25hiprandStatePhilox4_32_10E_ZNS1_27distribution_nullary_kernelIim15HIP_vector_typeIyLj2EES7_SF_ZZZNS5_IS7_EEvS9_SA_ENKSB_clEvENKSC_clEvEUlmE_EEvS9_T2_RKT3_T4_EUlimE_EEvlNS_15PhiloxCudaStateET1_SK_
; %bb.0:
	s_load_dword s7, s[4:5], 0x20
	s_load_dwordx2 s[10:11], s[4:5], 0x10
	s_load_dwordx4 s[0:3], s[4:5], 0x0
	s_mov_b32 s8, 0
	s_waitcnt lgkmcnt(0)
	s_bitcmp0_b32 s7, 0
	v_pk_mov_b32 v[2:3], s[10:11], s[10:11] op_sel:[0,1]
	v_pk_mov_b32 v[12:13], s[2:3], s[2:3] op_sel:[0,1]
	s_cbranch_scc1 .LBB56_2
; %bb.1:
	v_pk_mov_b32 v[2:3], s[10:11], s[10:11] op_sel:[0,1]
	flat_load_dwordx2 v[2:3], v[2:3]
	v_pk_mov_b32 v[4:5], s[2:3], s[2:3] op_sel:[0,1]
	flat_load_dwordx2 v[12:13], v[4:5]
	s_load_dwordx2 s[2:3], s[4:5], 0x18
	s_waitcnt lgkmcnt(0)
	v_mov_b32_e32 v1, s3
	s_waitcnt vmcnt(0)
	v_add_co_u32_e32 v2, vcc, s2, v2
	v_addc_co_u32_e32 v3, vcc, v3, v1, vcc
.LBB56_2:
	s_load_dword s2, s[4:5], 0x4c
	s_load_dword s10, s[4:5], 0x40
	s_waitcnt lgkmcnt(0)
	s_and_b32 s7, s2, 0xffff
	s_add_u32 s11, s0, -1
	s_mul_i32 s12, s10, s7
	s_addc_u32 s9, s1, -1
	s_lshl_b32 s13, s12, 1
	s_cmp_lg_u64 s[8:9], 0
	s_mov_b64 s[2:3], -1
	s_cbranch_scc0 .LBB56_23
; %bb.3:
	v_cvt_f32_u32_e32 v1, s13
	v_cvt_f32_ubyte0_e32 v4, 0
	s_sub_u32 s8, 0, s13
	s_subb_u32 s14, 0, 0
	v_madmk_f32 v1, v4, 0x4f800000, v1
	v_rcp_f32_e32 v1, v1
	v_mul_f32_e32 v1, 0x5f7ffffc, v1
	v_mul_f32_e32 v4, 0x2f800000, v1
	v_trunc_f32_e32 v4, v4
	v_madmk_f32 v1, v4, 0xcf800000, v1
	v_cvt_u32_f32_e32 v4, v4
	v_cvt_u32_f32_e32 v1, v1
	v_readfirstlane_b32 s15, v4
	v_readfirstlane_b32 s16, v1
	s_mul_i32 s17, s8, s15
	s_mul_hi_u32 s19, s8, s16
	s_mul_i32 s18, s14, s16
	s_add_i32 s17, s19, s17
	s_add_i32 s17, s17, s18
	s_mul_i32 s20, s8, s16
	s_mul_hi_u32 s18, s16, s17
	s_mul_i32 s19, s16, s17
	s_mul_hi_u32 s16, s16, s20
	s_add_u32 s16, s16, s19
	s_addc_u32 s18, 0, s18
	s_mul_hi_u32 s21, s15, s20
	s_mul_i32 s20, s15, s20
	s_add_u32 s16, s16, s20
	s_mul_hi_u32 s19, s15, s17
	s_addc_u32 s16, s18, s21
	s_addc_u32 s18, s19, 0
	s_mul_i32 s17, s15, s17
	s_add_u32 s16, s16, s17
	s_addc_u32 s17, 0, s18
	v_add_co_u32_e32 v1, vcc, s16, v1
	s_cmp_lg_u64 vcc, 0
	s_addc_u32 s15, s15, s17
	v_readfirstlane_b32 s17, v1
	s_mul_i32 s16, s8, s15
	s_mul_hi_u32 s18, s8, s17
	s_add_i32 s16, s18, s16
	s_mul_i32 s14, s14, s17
	s_add_i32 s16, s16, s14
	s_mul_i32 s8, s8, s17
	s_mul_hi_u32 s18, s15, s8
	s_mul_i32 s19, s15, s8
	s_mul_i32 s21, s17, s16
	s_mul_hi_u32 s8, s17, s8
	s_mul_hi_u32 s20, s17, s16
	s_add_u32 s8, s8, s21
	s_addc_u32 s17, 0, s20
	s_add_u32 s8, s8, s19
	s_mul_hi_u32 s14, s15, s16
	s_addc_u32 s8, s17, s18
	s_addc_u32 s14, s14, 0
	s_mul_i32 s16, s15, s16
	s_add_u32 s8, s8, s16
	s_addc_u32 s14, 0, s14
	v_add_co_u32_e32 v1, vcc, s8, v1
	s_cmp_lg_u64 vcc, 0
	s_addc_u32 s16, s15, s14
	s_ashr_i32 s14, s9, 31
	s_add_u32 s8, s11, s14
	s_mov_b32 s15, s14
	s_addc_u32 s9, s9, s14
	s_xor_b64 s[8:9], s[8:9], s[14:15]
	v_readfirstlane_b32 s19, v1
	s_mul_i32 s18, s8, s16
	s_mul_hi_u32 s20, s8, s19
	s_mul_hi_u32 s17, s8, s16
	s_add_u32 s18, s20, s18
	s_addc_u32 s17, 0, s17
	s_mul_hi_u32 s21, s9, s19
	s_mul_i32 s19, s9, s19
	s_add_u32 s18, s18, s19
	s_mul_hi_u32 s20, s9, s16
	s_addc_u32 s17, s17, s21
	s_addc_u32 s18, s20, 0
	s_mul_i32 s16, s9, s16
	s_add_u32 s16, s17, s16
	s_addc_u32 s17, 0, s18
	s_add_u32 s18, s16, 1
	s_addc_u32 s19, s17, 0
	s_add_u32 s20, s16, 2
	s_mul_i32 s22, s13, s17
	s_mul_hi_u32 s23, s13, s16
	s_addc_u32 s21, s17, 0
	s_add_i32 s23, s23, s22
	s_mul_i32 s22, s13, s16
	v_mov_b32_e32 v1, s22
	v_sub_co_u32_e32 v1, vcc, s8, v1
	s_cmp_lg_u64 vcc, 0
	s_subb_u32 s8, s9, s23
	v_subrev_co_u32_e32 v4, vcc, s13, v1
	s_cmp_lg_u64 vcc, 0
	s_subb_u32 s9, s8, 0
	v_readfirstlane_b32 s22, v4
	s_cmp_ge_u32 s22, s13
	s_cselect_b32 s22, -1, 0
	s_cmp_eq_u32 s9, 0
	s_cselect_b32 s9, s22, -1
	s_cmp_lg_u32 s9, 0
	s_cselect_b32 s9, s21, s19
	v_readfirstlane_b32 s19, v1
	s_cselect_b32 s18, s20, s18
	s_cmp_ge_u32 s19, s13
	s_cselect_b32 s19, -1, 0
	s_cmp_eq_u32 s8, 0
	s_cselect_b32 s8, s19, -1
	s_cmp_lg_u32 s8, 0
	s_cselect_b32 s9, s9, s17
	s_cselect_b32 s8, s18, s16
	s_xor_b64 s[8:9], s[8:9], s[14:15]
	s_sub_u32 s8, s8, s14
	s_subb_u32 s9, s9, s14
	s_cbranch_execnz .LBB56_5
.LBB56_4:
	v_cvt_f32_u32_e32 v1, s13
	s_sub_i32 s2, 0, s13
	s_mov_b32 s9, 0
	v_rcp_iflag_f32_e32 v1, v1
	v_mul_f32_e32 v1, 0x4f7ffffe, v1
	v_cvt_u32_f32_e32 v1, v1
	v_readfirstlane_b32 s3, v1
	s_mul_i32 s2, s2, s3
	s_mul_hi_u32 s2, s3, s2
	s_add_i32 s3, s3, s2
	s_mul_hi_u32 s2, s11, s3
	s_mul_i32 s8, s2, s13
	s_sub_i32 s8, s11, s8
	s_add_i32 s3, s2, 1
	s_sub_i32 s11, s8, s13
	s_cmp_ge_u32 s8, s13
	s_cselect_b32 s2, s3, s2
	s_cselect_b32 s8, s11, s8
	s_add_i32 s3, s2, 1
	s_cmp_ge_u32 s8, s13
	s_cselect_b32 s8, s3, s2
.LBB56_5:
	v_mov_b32_e32 v1, 0
	v_mov_b32_e32 v4, s6
	v_mad_u64_u32 v[14:15], s[2:3], s7, v4, v[0:1]
	s_add_u32 s2, s8, 1
	s_addc_u32 s3, s9, 0
	s_mul_hi_u32 s8, s10, s7
	s_mul_i32 s3, s12, s3
	s_mul_hi_u32 s9, s12, s2
	s_add_i32 s3, s9, s3
	s_mul_i32 s8, s8, s2
	s_add_i32 s3, s3, s8
	s_mul_i32 s2, s12, s2
	s_lshl_b64 s[2:3], s[2:3], 1
	v_cmp_gt_i64_e32 vcc, s[2:3], v[14:15]
	s_and_saveexec_b64 s[8:9], vcc
	s_cbranch_execz .LBB56_22
; %bb.6:
	s_load_dwordx2 s[8:9], s[4:5], 0x30
	s_load_dword s11, s[4:5], 0x38
	s_mov_b32 s4, 0x5384540f
	v_mov_b32_e32 v4, v13
	v_add_co_u32_e32 v20, vcc, s4, v12
	s_mov_b32 s4, 0x646e171e
	v_add_co_u32_e32 v21, vcc, s4, v4
	s_mov_b32 s4, 0x1715609d
	;; [unrolled: 2-line block ×6, first 2 shown]
	v_alignbit_b32 v27, v3, v2, 2
	s_mov_b32 s15, 0xd2511f53
	v_add_co_u32_e32 v26, vcc, s4, v12
	v_mad_u64_u32 v[6:7], s[4:5], v27, s15, 0
	v_xor_b32_e32 v1, v7, v13
	v_xor_b32_e32 v1, v1, v15
	s_mov_b32 s16, 0xcd9e8d57
	v_mad_u64_u32 v[8:9], s[4:5], v1, s16, 0
	v_xor_b32_e32 v1, v26, v9
	v_mad_u64_u32 v[10:11], s[4:5], v14, s16, 0
	v_and_b32_e32 v16, 3, v2
	v_xor_b32_e32 v1, v1, v10
	v_xor_b32_e32 v2, v12, v11
	v_lshrrev_b32_e32 v28, 2, v3
	v_mad_u64_u32 v[32:33], s[4:5], v1, s15, 0
	v_xor_b32_e32 v2, v2, v28
	v_xor_b32_e32 v1, v25, v33
	v_mad_u64_u32 v[2:3], s[4:5], v2, s15, 0
	v_xor_b32_e32 v1, v1, v2
	v_mad_u64_u32 v[10:11], s[4:5], v1, s16, 0
	s_mov_b32 s4, 0xbb67ae85
	v_add_co_u32_e32 v29, vcc, s4, v4
	v_xor_b32_e32 v2, v29, v3
	v_xor_b32_e32 v2, v2, v6
	v_xor_b32_e32 v1, v24, v11
	v_mad_u64_u32 v[2:3], s[4:5], v2, s16, 0
	v_xor_b32_e32 v1, v1, v2
	v_mad_u64_u32 v[6:7], s[4:5], v1, s15, 0
	s_mov_b32 s4, 0x3c6ef372
	v_add_co_u32_e32 v30, vcc, s4, v12
	v_xor_b32_e32 v2, v30, v3
	;; [unrolled: 8-line block ×6, first 2 shown]
	v_add_co_u32_e32 v19, vcc, 0xdb3d7428, v4
	v_xor_b32_e32 v2, v2, v8
	v_xor_b32_e32 v1, v19, v7
	v_mad_u64_u32 v[2:3], s[4:5], v2, s15, 0
	v_xor_b32_e32 v1, v1, v2
	v_mad_u64_u32 v[8:9], s[4:5], v1, s16, 0
	s_mov_b32 s4, 0x1fd5c5a3
	v_add_co_u32_e32 v35, vcc, s4, v4
	v_xor_b32_e32 v1, v35, v3
	v_xor_b32_e32 v1, v1, v36
	v_mad_u64_u32 v[2:3], s[4:5], v1, s16, 0
	s_mov_b32 s4, 0xf1bbcdc8
	v_add_co_u32_e32 v36, vcc, s4, v12
	v_xor_b32_e32 v1, v36, v3
	v_xor_b32_e32 v1, v1, v10
	v_mad_u64_u32 v[4:5], s[4:5], v1, s15, 0
	s_mul_i32 s4, s6, s7
	v_mov_b32_e32 v3, v4
	v_add_u32_e32 v4, s4, v0
	s_waitcnt lgkmcnt(0)
	s_mul_i32 s4, s10, s11
	s_mul_i32 s4, s4, s7
	s_lshl_b32 s17, s4, 1
	s_add_i32 s4, s6, s10
	s_mul_i32 s4, s4, s7
	s_mov_b32 s14, 0
	v_add_u32_e32 v18, 0x96a522ad, v13
	v_xor_b32_e32 v1, v5, v6
	v_add_u32_e32 v0, s4, v0
	v_add_u32_e32 v17, 0x8ff34781, v12
	v_xor_b32_e32 v2, v18, v1
	v_mov_b32_e32 v1, v8
	v_mul_lo_u32 v37, s11, v4
	v_mul_lo_u32 v38, s11, v0
	s_mov_b64 s[4:5], 0
	s_mov_b32 s18, s14
	v_mov_b32_e32 v39, v14
	v_mov_b32_e32 v40, v15
	s_branch .LBB56_8
.LBB56_7:                               ;   in Loop: Header=BB56_8 Depth=1
	s_or_b64 exec, exec, s[6:7]
	v_add_co_u32_e32 v14, vcc, s13, v14
	v_addc_co_u32_e32 v15, vcc, 0, v15, vcc
	v_mov_b32_e32 v7, v4
	s_add_i32 s18, s18, s17
	v_cmp_le_i64_e32 vcc, s[2:3], v[14:15]
	v_pk_mov_b32 v[0:1], v[4:5], v[4:5] op_sel:[0,1]
	s_or_b64 s[4:5], vcc, s[4:5]
	v_pk_mov_b32 v[2:3], v[6:7], v[6:7] op_sel:[0,1]
	s_barrier
	s_andn2_b64 exec, exec, s[4:5]
	s_cbranch_execz .LBB56_22
.LBB56_8:                               ; =>This Inner Loop Header: Depth=1
	v_add_co_u32_e32 v27, vcc, 1, v27
	v_cndmask_b32_e64 v0, 0, 1, vcc
	v_addc_co_u32_e32 v28, vcc, 0, v28, vcc
	v_cmp_eq_u32_e32 vcc, 0, v28
	v_cndmask_b32_e32 v0, 0, v0, vcc
	v_add_u32_e32 v39, v0, v39
	v_cmp_eq_u32_e32 vcc, 0, v39
	v_cndmask_b32_e32 v0, 0, v0, vcc
	v_mad_u64_u32 v[4:5], s[6:7], v27, s15, 0
	v_add_u32_e32 v40, v0, v40
	v_mad_u64_u32 v[6:7], s[6:7], v39, s16, 0
	v_xor_b32_e32 v5, v5, v13
	v_xor_b32_e32 v0, v7, v12
	v_xor_b32_e32 v5, v40, v5
	v_xor_b32_e32 v0, v28, v0
	v_mad_u64_u32 v[10:11], s[6:7], v5, s16, 0
	v_mad_u64_u32 v[8:9], s[6:7], v0, s15, 0
	v_xor_b32_e32 v0, v26, v11
	v_xor_b32_e32 v0, v0, v6
	v_xor_b32_e32 v5, v29, v9
	v_xor_b32_e32 v6, v5, v4
	v_mad_u64_u32 v[4:5], s[6:7], v0, s15, 0
	;; [unrolled: 6-line block ×9, first 2 shown]
	v_mad_u64_u32 v[4:5], s[6:7], v0, s15, 0
	v_xor_b32_e32 v0, v11, v42
	v_xor_b32_e32 v8, v17, v0
	;; [unrolled: 1-line block ×4, first 2 shown]
	v_mov_b32_e32 v5, v10
	v_mov_b32_e32 v6, v9
	v_cmp_lt_i32_e32 vcc, 1, v16
	s_and_saveexec_b64 s[6:7], vcc
	s_xor_b64 s[6:7], exec, s[6:7]
	s_cbranch_execnz .LBB56_14
; %bb.9:                                ;   in Loop: Header=BB56_8 Depth=1
	s_andn2_saveexec_b64 s[6:7], s[6:7]
	s_cbranch_execnz .LBB56_19
.LBB56_10:                              ;   in Loop: Header=BB56_8 Depth=1
	s_or_b64 exec, exec, s[6:7]
	v_cmp_gt_i64_e32 vcc, s[0:1], v[14:15]
	s_and_saveexec_b64 s[6:7], vcc
	s_cbranch_execz .LBB56_12
.LBB56_11:                              ;   in Loop: Header=BB56_8 Depth=1
	v_add_u32_e32 v0, s18, v37
	v_ashrrev_i32_e32 v2, 31, v0
	v_mov_b32_e32 v7, s9
	v_add_co_u32_e32 v8, vcc, s8, v0
	v_addc_co_u32_e32 v9, vcc, v7, v2, vcc
	global_store_dword v[8:9], v1, off
.LBB56_12:                              ;   in Loop: Header=BB56_8 Depth=1
	s_or_b64 exec, exec, s[6:7]
	v_mov_b32_e32 v1, s14
	v_add_co_u32_e32 v0, vcc, s12, v14
	v_addc_co_u32_e32 v1, vcc, v1, v15, vcc
	v_cmp_gt_i64_e32 vcc, s[0:1], v[0:1]
	s_and_saveexec_b64 s[6:7], vcc
	s_cbranch_execz .LBB56_7
; %bb.13:                               ;   in Loop: Header=BB56_8 Depth=1
	v_add_u32_e32 v0, s18, v38
	v_ashrrev_i32_e32 v1, 31, v0
	v_mov_b32_e32 v2, s9
	v_add_co_u32_e32 v0, vcc, s8, v0
	v_addc_co_u32_e32 v1, vcc, v2, v1, vcc
	global_store_dword v[0:1], v3, off
	s_branch .LBB56_7
.LBB56_14:                              ;   in Loop: Header=BB56_8 Depth=1
	v_cmp_lt_i32_e32 vcc, 2, v16
	s_and_saveexec_b64 s[10:11], vcc
	s_xor_b64 s[10:11], exec, s[10:11]
; %bb.15:                               ;   in Loop: Header=BB56_8 Depth=1
	v_mov_b32_e32 v7, v8
	v_pk_mov_b32 v[0:1], v[6:7], v[6:7] op_sel:[0,1]
	v_pk_mov_b32 v[2:3], v[8:9], v[8:9] op_sel:[0,1]
                                        ; implicit-def: $vgpr10_vgpr11
; %bb.16:                               ;   in Loop: Header=BB56_8 Depth=1
	s_andn2_saveexec_b64 s[10:11], s[10:11]
; %bb.17:                               ;   in Loop: Header=BB56_8 Depth=1
	v_mov_b32_e32 v1, v3
	v_mov_b32_e32 v3, v10
; %bb.18:                               ;   in Loop: Header=BB56_8 Depth=1
	s_or_b64 exec, exec, s[10:11]
                                        ; implicit-def: $vgpr8_vgpr9_vgpr10_vgpr11
	s_andn2_saveexec_b64 s[6:7], s[6:7]
	s_cbranch_execz .LBB56_10
.LBB56_19:                              ;   in Loop: Header=BB56_8 Depth=1
	v_cmp_eq_u32_e32 vcc, 1, v16
	s_and_saveexec_b64 s[10:11], vcc
; %bb.20:                               ;   in Loop: Header=BB56_8 Depth=1
	v_mov_b32_e32 v1, v2
	v_mov_b32_e32 v3, v8
; %bb.21:                               ;   in Loop: Header=BB56_8 Depth=1
	s_or_b64 exec, exec, s[10:11]
	s_or_b64 exec, exec, s[6:7]
	v_cmp_gt_i64_e32 vcc, s[0:1], v[14:15]
	s_and_saveexec_b64 s[6:7], vcc
	s_cbranch_execnz .LBB56_11
	s_branch .LBB56_12
.LBB56_22:
	s_endpgm
.LBB56_23:
                                        ; implicit-def: $sgpr8_sgpr9
	s_andn2_b64 vcc, exec, s[2:3]
	s_cbranch_vccz .LBB56_4
	s_branch .LBB56_5
	.section	.rodata,"a",@progbits
	.p2align	6, 0x0
	.amdhsa_kernel _ZN2at6native12_GLOBAL__N_143distribution_elementwise_grid_stride_kernelImLi2EZZZNS0_9templates4cuda32random_full_64_bits_range_kernelIPNS_17CUDAGeneratorImplEEEvRNS_18TensorIteratorBaseET_ENKUlvE_clEvENKUlvE1_clEvEUlP25hiprandStatePhilox4_32_10E_ZNS1_27distribution_nullary_kernelIim15HIP_vector_typeIyLj2EES7_SF_ZZZNS5_IS7_EEvS9_SA_ENKSB_clEvENKSC_clEvEUlmE_EEvS9_T2_RKT3_T4_EUlimE_EEvlNS_15PhiloxCudaStateET1_SK_
		.amdhsa_group_segment_fixed_size 0
		.amdhsa_private_segment_fixed_size 0
		.amdhsa_kernarg_size 320
		.amdhsa_user_sgpr_count 6
		.amdhsa_user_sgpr_private_segment_buffer 1
		.amdhsa_user_sgpr_dispatch_ptr 0
		.amdhsa_user_sgpr_queue_ptr 0
		.amdhsa_user_sgpr_kernarg_segment_ptr 1
		.amdhsa_user_sgpr_dispatch_id 0
		.amdhsa_user_sgpr_flat_scratch_init 0
		.amdhsa_user_sgpr_kernarg_preload_length 0
		.amdhsa_user_sgpr_kernarg_preload_offset 0
		.amdhsa_user_sgpr_private_segment_size 0
		.amdhsa_uses_dynamic_stack 0
		.amdhsa_system_sgpr_private_segment_wavefront_offset 0
		.amdhsa_system_sgpr_workgroup_id_x 1
		.amdhsa_system_sgpr_workgroup_id_y 0
		.amdhsa_system_sgpr_workgroup_id_z 0
		.amdhsa_system_sgpr_workgroup_info 0
		.amdhsa_system_vgpr_workitem_id 0
		.amdhsa_next_free_vgpr 44
		.amdhsa_next_free_sgpr 24
		.amdhsa_accum_offset 44
		.amdhsa_reserve_vcc 1
		.amdhsa_reserve_flat_scratch 0
		.amdhsa_float_round_mode_32 0
		.amdhsa_float_round_mode_16_64 0
		.amdhsa_float_denorm_mode_32 3
		.amdhsa_float_denorm_mode_16_64 3
		.amdhsa_dx10_clamp 1
		.amdhsa_ieee_mode 1
		.amdhsa_fp16_overflow 0
		.amdhsa_tg_split 0
		.amdhsa_exception_fp_ieee_invalid_op 0
		.amdhsa_exception_fp_denorm_src 0
		.amdhsa_exception_fp_ieee_div_zero 0
		.amdhsa_exception_fp_ieee_overflow 0
		.amdhsa_exception_fp_ieee_underflow 0
		.amdhsa_exception_fp_ieee_inexact 0
		.amdhsa_exception_int_div_zero 0
	.end_amdhsa_kernel
	.section	.text._ZN2at6native12_GLOBAL__N_143distribution_elementwise_grid_stride_kernelImLi2EZZZNS0_9templates4cuda32random_full_64_bits_range_kernelIPNS_17CUDAGeneratorImplEEEvRNS_18TensorIteratorBaseET_ENKUlvE_clEvENKUlvE1_clEvEUlP25hiprandStatePhilox4_32_10E_ZNS1_27distribution_nullary_kernelIim15HIP_vector_typeIyLj2EES7_SF_ZZZNS5_IS7_EEvS9_SA_ENKSB_clEvENKSC_clEvEUlmE_EEvS9_T2_RKT3_T4_EUlimE_EEvlNS_15PhiloxCudaStateET1_SK_,"axG",@progbits,_ZN2at6native12_GLOBAL__N_143distribution_elementwise_grid_stride_kernelImLi2EZZZNS0_9templates4cuda32random_full_64_bits_range_kernelIPNS_17CUDAGeneratorImplEEEvRNS_18TensorIteratorBaseET_ENKUlvE_clEvENKUlvE1_clEvEUlP25hiprandStatePhilox4_32_10E_ZNS1_27distribution_nullary_kernelIim15HIP_vector_typeIyLj2EES7_SF_ZZZNS5_IS7_EEvS9_SA_ENKSB_clEvENKSC_clEvEUlmE_EEvS9_T2_RKT3_T4_EUlimE_EEvlNS_15PhiloxCudaStateET1_SK_,comdat
.Lfunc_end56:
	.size	_ZN2at6native12_GLOBAL__N_143distribution_elementwise_grid_stride_kernelImLi2EZZZNS0_9templates4cuda32random_full_64_bits_range_kernelIPNS_17CUDAGeneratorImplEEEvRNS_18TensorIteratorBaseET_ENKUlvE_clEvENKUlvE1_clEvEUlP25hiprandStatePhilox4_32_10E_ZNS1_27distribution_nullary_kernelIim15HIP_vector_typeIyLj2EES7_SF_ZZZNS5_IS7_EEvS9_SA_ENKSB_clEvENKSC_clEvEUlmE_EEvS9_T2_RKT3_T4_EUlimE_EEvlNS_15PhiloxCudaStateET1_SK_, .Lfunc_end56-_ZN2at6native12_GLOBAL__N_143distribution_elementwise_grid_stride_kernelImLi2EZZZNS0_9templates4cuda32random_full_64_bits_range_kernelIPNS_17CUDAGeneratorImplEEEvRNS_18TensorIteratorBaseET_ENKUlvE_clEvENKUlvE1_clEvEUlP25hiprandStatePhilox4_32_10E_ZNS1_27distribution_nullary_kernelIim15HIP_vector_typeIyLj2EES7_SF_ZZZNS5_IS7_EEvS9_SA_ENKSB_clEvENKSC_clEvEUlmE_EEvS9_T2_RKT3_T4_EUlimE_EEvlNS_15PhiloxCudaStateET1_SK_
                                        ; -- End function
	.section	.AMDGPU.csdata,"",@progbits
; Kernel info:
; codeLenInByte = 2132
; NumSgprs: 28
; NumVgprs: 44
; NumAgprs: 0
; TotalNumVgprs: 44
; ScratchSize: 0
; MemoryBound: 0
; FloatMode: 240
; IeeeMode: 1
; LDSByteSize: 0 bytes/workgroup (compile time only)
; SGPRBlocks: 3
; VGPRBlocks: 5
; NumSGPRsForWavesPerEU: 28
; NumVGPRsForWavesPerEU: 44
; AccumOffset: 44
; Occupancy: 8
; WaveLimiterHint : 0
; COMPUTE_PGM_RSRC2:SCRATCH_EN: 0
; COMPUTE_PGM_RSRC2:USER_SGPR: 6
; COMPUTE_PGM_RSRC2:TRAP_HANDLER: 0
; COMPUTE_PGM_RSRC2:TGID_X_EN: 1
; COMPUTE_PGM_RSRC2:TGID_Y_EN: 0
; COMPUTE_PGM_RSRC2:TGID_Z_EN: 0
; COMPUTE_PGM_RSRC2:TIDIG_COMP_CNT: 0
; COMPUTE_PGM_RSRC3_GFX90A:ACCUM_OFFSET: 10
; COMPUTE_PGM_RSRC3_GFX90A:TG_SPLIT: 0
	.section	.text._ZN2at6native12_GLOBAL__N_143distribution_elementwise_grid_stride_kernelImLi2EZZZNS0_9templates4cuda32random_full_64_bits_range_kernelIPNS_17CUDAGeneratorImplEEEvRNS_18TensorIteratorBaseET_ENKUlvE_clEvENKUlvE1_clEvEUlP25hiprandStatePhilox4_32_10E_ZNS1_27distribution_nullary_kernelIim15HIP_vector_typeIyLj2EES7_SF_ZZZNS5_IS7_EEvS9_SA_ENKSB_clEvENKSC_clEvEUlmE_EEvS9_T2_RKT3_T4_EUlimE0_EEvlNS_15PhiloxCudaStateET1_SK_,"axG",@progbits,_ZN2at6native12_GLOBAL__N_143distribution_elementwise_grid_stride_kernelImLi2EZZZNS0_9templates4cuda32random_full_64_bits_range_kernelIPNS_17CUDAGeneratorImplEEEvRNS_18TensorIteratorBaseET_ENKUlvE_clEvENKUlvE1_clEvEUlP25hiprandStatePhilox4_32_10E_ZNS1_27distribution_nullary_kernelIim15HIP_vector_typeIyLj2EES7_SF_ZZZNS5_IS7_EEvS9_SA_ENKSB_clEvENKSC_clEvEUlmE_EEvS9_T2_RKT3_T4_EUlimE0_EEvlNS_15PhiloxCudaStateET1_SK_,comdat
	.globl	_ZN2at6native12_GLOBAL__N_143distribution_elementwise_grid_stride_kernelImLi2EZZZNS0_9templates4cuda32random_full_64_bits_range_kernelIPNS_17CUDAGeneratorImplEEEvRNS_18TensorIteratorBaseET_ENKUlvE_clEvENKUlvE1_clEvEUlP25hiprandStatePhilox4_32_10E_ZNS1_27distribution_nullary_kernelIim15HIP_vector_typeIyLj2EES7_SF_ZZZNS5_IS7_EEvS9_SA_ENKSB_clEvENKSC_clEvEUlmE_EEvS9_T2_RKT3_T4_EUlimE0_EEvlNS_15PhiloxCudaStateET1_SK_ ; -- Begin function _ZN2at6native12_GLOBAL__N_143distribution_elementwise_grid_stride_kernelImLi2EZZZNS0_9templates4cuda32random_full_64_bits_range_kernelIPNS_17CUDAGeneratorImplEEEvRNS_18TensorIteratorBaseET_ENKUlvE_clEvENKUlvE1_clEvEUlP25hiprandStatePhilox4_32_10E_ZNS1_27distribution_nullary_kernelIim15HIP_vector_typeIyLj2EES7_SF_ZZZNS5_IS7_EEvS9_SA_ENKSB_clEvENKSC_clEvEUlmE_EEvS9_T2_RKT3_T4_EUlimE0_EEvlNS_15PhiloxCudaStateET1_SK_
	.p2align	8
	.type	_ZN2at6native12_GLOBAL__N_143distribution_elementwise_grid_stride_kernelImLi2EZZZNS0_9templates4cuda32random_full_64_bits_range_kernelIPNS_17CUDAGeneratorImplEEEvRNS_18TensorIteratorBaseET_ENKUlvE_clEvENKUlvE1_clEvEUlP25hiprandStatePhilox4_32_10E_ZNS1_27distribution_nullary_kernelIim15HIP_vector_typeIyLj2EES7_SF_ZZZNS5_IS7_EEvS9_SA_ENKSB_clEvENKSC_clEvEUlmE_EEvS9_T2_RKT3_T4_EUlimE0_EEvlNS_15PhiloxCudaStateET1_SK_,@function
_ZN2at6native12_GLOBAL__N_143distribution_elementwise_grid_stride_kernelImLi2EZZZNS0_9templates4cuda32random_full_64_bits_range_kernelIPNS_17CUDAGeneratorImplEEEvRNS_18TensorIteratorBaseET_ENKUlvE_clEvENKUlvE1_clEvEUlP25hiprandStatePhilox4_32_10E_ZNS1_27distribution_nullary_kernelIim15HIP_vector_typeIyLj2EES7_SF_ZZZNS5_IS7_EEvS9_SA_ENKSB_clEvENKSC_clEvEUlmE_EEvS9_T2_RKT3_T4_EUlimE0_EEvlNS_15PhiloxCudaStateET1_SK_: ; @_ZN2at6native12_GLOBAL__N_143distribution_elementwise_grid_stride_kernelImLi2EZZZNS0_9templates4cuda32random_full_64_bits_range_kernelIPNS_17CUDAGeneratorImplEEEvRNS_18TensorIteratorBaseET_ENKUlvE_clEvENKUlvE1_clEvEUlP25hiprandStatePhilox4_32_10E_ZNS1_27distribution_nullary_kernelIim15HIP_vector_typeIyLj2EES7_SF_ZZZNS5_IS7_EEvS9_SA_ENKSB_clEvENKSC_clEvEUlmE_EEvS9_T2_RKT3_T4_EUlimE0_EEvlNS_15PhiloxCudaStateET1_SK_
; %bb.0:
	s_load_dword s2, s[4:5], 0x20
	s_load_dwordx2 s[0:1], s[4:5], 0x10
	s_load_dwordx4 s[24:27], s[4:5], 0x0
	s_waitcnt lgkmcnt(0)
	s_bitcmp0_b32 s2, 0
	s_mov_b32 s2, 0
	v_pk_mov_b32 v[2:3], s[0:1], s[0:1] op_sel:[0,1]
	v_pk_mov_b32 v[12:13], s[26:27], s[26:27] op_sel:[0,1]
	s_cbranch_scc1 .LBB57_2
; %bb.1:
	v_pk_mov_b32 v[2:3], s[0:1], s[0:1] op_sel:[0,1]
	flat_load_dwordx2 v[2:3], v[2:3]
	v_pk_mov_b32 v[4:5], s[26:27], s[26:27] op_sel:[0,1]
	flat_load_dwordx2 v[12:13], v[4:5]
	s_load_dwordx2 s[0:1], s[4:5], 0x18
	s_waitcnt lgkmcnt(0)
	v_mov_b32_e32 v1, s1
	s_waitcnt vmcnt(0)
	v_add_co_u32_e32 v2, vcc, s0, v2
	v_addc_co_u32_e32 v3, vcc, v3, v1, vcc
.LBB57_2:
	s_load_dword s0, s[4:5], 0x154
	s_load_dword s7, s[4:5], 0x148
	s_waitcnt lgkmcnt(0)
	s_and_b32 s8, s0, 0xffff
	s_add_u32 s9, s24, -1
	s_mul_i32 s33, s7, s8
	s_addc_u32 s3, s25, -1
	s_lshl_b32 s58, s33, 1
	s_cmp_lg_u64 s[2:3], 0
	s_mov_b64 s[0:1], -1
	s_cbranch_scc0 .LBB57_51
; %bb.3:
	v_cvt_f32_u32_e32 v1, s58
	v_cvt_f32_ubyte0_e32 v4, 0
	s_sub_u32 s2, 0, s58
	s_subb_u32 s10, 0, 0
	v_madmk_f32 v1, v4, 0x4f800000, v1
	v_rcp_f32_e32 v1, v1
	v_mul_f32_e32 v1, 0x5f7ffffc, v1
	v_mul_f32_e32 v4, 0x2f800000, v1
	v_trunc_f32_e32 v4, v4
	v_madmk_f32 v1, v4, 0xcf800000, v1
	v_cvt_u32_f32_e32 v4, v4
	v_cvt_u32_f32_e32 v1, v1
	v_readfirstlane_b32 s11, v4
	v_readfirstlane_b32 s12, v1
	s_mul_i32 s13, s2, s11
	s_mul_hi_u32 s15, s2, s12
	s_mul_i32 s14, s10, s12
	s_add_i32 s13, s15, s13
	s_add_i32 s13, s13, s14
	s_mul_i32 s16, s2, s12
	s_mul_hi_u32 s14, s12, s13
	s_mul_i32 s15, s12, s13
	s_mul_hi_u32 s12, s12, s16
	s_add_u32 s12, s12, s15
	s_addc_u32 s14, 0, s14
	s_mul_hi_u32 s17, s11, s16
	s_mul_i32 s16, s11, s16
	s_add_u32 s12, s12, s16
	s_mul_hi_u32 s15, s11, s13
	s_addc_u32 s12, s14, s17
	s_addc_u32 s14, s15, 0
	s_mul_i32 s13, s11, s13
	s_add_u32 s12, s12, s13
	s_addc_u32 s13, 0, s14
	v_add_co_u32_e32 v1, vcc, s12, v1
	s_cmp_lg_u64 vcc, 0
	s_addc_u32 s11, s11, s13
	v_readfirstlane_b32 s13, v1
	s_mul_i32 s12, s2, s11
	s_mul_hi_u32 s14, s2, s13
	s_add_i32 s12, s14, s12
	s_mul_i32 s10, s10, s13
	s_add_i32 s12, s12, s10
	s_mul_i32 s2, s2, s13
	s_mul_hi_u32 s14, s11, s2
	s_mul_i32 s15, s11, s2
	s_mul_i32 s17, s13, s12
	s_mul_hi_u32 s2, s13, s2
	s_mul_hi_u32 s16, s13, s12
	s_add_u32 s2, s2, s17
	s_addc_u32 s13, 0, s16
	s_add_u32 s2, s2, s15
	s_mul_hi_u32 s10, s11, s12
	s_addc_u32 s2, s13, s14
	s_addc_u32 s10, s10, 0
	s_mul_i32 s12, s11, s12
	s_add_u32 s2, s2, s12
	s_addc_u32 s10, 0, s10
	v_add_co_u32_e32 v1, vcc, s2, v1
	s_cmp_lg_u64 vcc, 0
	s_addc_u32 s12, s11, s10
	s_ashr_i32 s10, s3, 31
	s_add_u32 s2, s9, s10
	s_mov_b32 s11, s10
	s_addc_u32 s3, s3, s10
	s_xor_b64 s[2:3], s[2:3], s[10:11]
	v_readfirstlane_b32 s15, v1
	s_mul_i32 s14, s2, s12
	s_mul_hi_u32 s16, s2, s15
	s_mul_hi_u32 s13, s2, s12
	s_add_u32 s14, s16, s14
	s_addc_u32 s13, 0, s13
	s_mul_hi_u32 s17, s3, s15
	s_mul_i32 s15, s3, s15
	s_add_u32 s14, s14, s15
	s_mul_hi_u32 s16, s3, s12
	s_addc_u32 s13, s13, s17
	s_addc_u32 s14, s16, 0
	s_mul_i32 s12, s3, s12
	s_add_u32 s12, s13, s12
	s_addc_u32 s13, 0, s14
	s_add_u32 s14, s12, 1
	s_addc_u32 s15, s13, 0
	s_add_u32 s16, s12, 2
	s_mul_i32 s18, s58, s13
	s_mul_hi_u32 s19, s58, s12
	s_addc_u32 s17, s13, 0
	s_add_i32 s19, s19, s18
	s_mul_i32 s18, s58, s12
	v_mov_b32_e32 v1, s18
	v_sub_co_u32_e32 v1, vcc, s2, v1
	s_cmp_lg_u64 vcc, 0
	s_subb_u32 s2, s3, s19
	v_subrev_co_u32_e32 v4, vcc, s58, v1
	s_cmp_lg_u64 vcc, 0
	s_subb_u32 s3, s2, 0
	v_readfirstlane_b32 s18, v4
	s_cmp_ge_u32 s18, s58
	s_cselect_b32 s18, -1, 0
	s_cmp_eq_u32 s3, 0
	s_cselect_b32 s3, s18, -1
	s_cmp_lg_u32 s3, 0
	s_cselect_b32 s3, s17, s15
	v_readfirstlane_b32 s15, v1
	s_cselect_b32 s14, s16, s14
	s_cmp_ge_u32 s15, s58
	s_cselect_b32 s15, -1, 0
	s_cmp_eq_u32 s2, 0
	s_cselect_b32 s2, s15, -1
	s_cmp_lg_u32 s2, 0
	s_cselect_b32 s3, s3, s13
	s_cselect_b32 s2, s14, s12
	s_xor_b64 s[2:3], s[2:3], s[10:11]
	s_sub_u32 s2, s2, s10
	s_subb_u32 s3, s3, s10
	s_cbranch_execnz .LBB57_5
.LBB57_4:
	v_cvt_f32_u32_e32 v1, s58
	s_sub_i32 s0, 0, s58
	s_mov_b32 s3, 0
	v_rcp_iflag_f32_e32 v1, v1
	v_mul_f32_e32 v1, 0x4f7ffffe, v1
	v_cvt_u32_f32_e32 v1, v1
	v_readfirstlane_b32 s1, v1
	s_mul_i32 s0, s0, s1
	s_mul_hi_u32 s0, s1, s0
	s_add_i32 s1, s1, s0
	s_mul_hi_u32 s0, s9, s1
	s_mul_i32 s2, s0, s58
	s_sub_i32 s2, s9, s2
	s_add_i32 s1, s0, 1
	s_sub_i32 s9, s2, s58
	s_cmp_ge_u32 s2, s58
	s_cselect_b32 s0, s1, s0
	s_cselect_b32 s2, s9, s2
	s_add_i32 s1, s0, 1
	s_cmp_ge_u32 s2, s58
	s_cselect_b32 s2, s1, s0
.LBB57_5:
	v_mov_b32_e32 v1, 0
	v_mov_b32_e32 v4, s6
	v_mad_u64_u32 v[14:15], s[0:1], s8, v4, v[0:1]
	s_add_u32 s0, s2, 1
	s_addc_u32 s1, s3, 0
	s_mul_hi_u32 s2, s7, s8
	s_mul_i32 s1, s33, s1
	s_mul_hi_u32 s3, s33, s0
	s_add_i32 s1, s3, s1
	s_mul_i32 s2, s2, s0
	s_add_i32 s1, s1, s2
	s_mul_i32 s0, s33, s0
	s_lshl_b64 s[26:27], s[0:1], 1
	v_cmp_gt_i64_e32 vcc, s[26:27], v[14:15]
	s_and_saveexec_b64 s[0:1], vcc
	s_cbranch_execz .LBB57_50
; %bb.6:
	s_mov_b32 s0, 0x5384540f
	v_mov_b32_e32 v0, v13
	v_add_co_u32_e32 v20, vcc, s0, v12
	s_mov_b32 s0, 0x646e171e
	v_add_co_u32_e32 v21, vcc, s0, v0
	s_mov_b32 s0, 0x1715609d
	;; [unrolled: 2-line block ×6, first 2 shown]
	v_alignbit_b32 v27, v3, v2, 2
	s_mov_b32 s60, 0xd2511f53
	v_add_co_u32_e32 v26, vcc, s0, v12
	v_mad_u64_u32 v[4:5], s[0:1], v27, s60, 0
	v_xor_b32_e32 v1, v5, v13
	v_xor_b32_e32 v1, v1, v15
	s_mov_b32 s61, 0xcd9e8d57
	v_mad_u64_u32 v[6:7], s[0:1], v1, s61, 0
	v_xor_b32_e32 v1, v26, v7
	v_mad_u64_u32 v[8:9], s[0:1], v14, s61, 0
	v_and_b32_e32 v16, 3, v2
	v_xor_b32_e32 v1, v1, v8
	v_xor_b32_e32 v2, v12, v9
	v_lshrrev_b32_e32 v28, 2, v3
	v_mad_u64_u32 v[10:11], s[0:1], v1, s60, 0
	v_xor_b32_e32 v2, v2, v28
	v_xor_b32_e32 v1, v25, v11
	v_mad_u64_u32 v[2:3], s[0:1], v2, s60, 0
	v_xor_b32_e32 v1, v1, v2
	v_mad_u64_u32 v[8:9], s[0:1], v1, s61, 0
	s_mov_b32 s0, 0xbb67ae85
	v_add_co_u32_e32 v29, vcc, s0, v0
	v_xor_b32_e32 v2, v29, v3
	v_xor_b32_e32 v2, v2, v4
	v_xor_b32_e32 v1, v24, v9
	v_mad_u64_u32 v[2:3], s[0:1], v2, s61, 0
	v_xor_b32_e32 v1, v1, v2
	v_mad_u64_u32 v[4:5], s[0:1], v1, s60, 0
	s_mov_b32 s0, 0x3c6ef372
	v_add_co_u32_e32 v30, vcc, s0, v12
	v_xor_b32_e32 v2, v30, v3
	;; [unrolled: 8-line block ×6, first 2 shown]
	v_add_co_u32_e32 v19, vcc, 0xdb3d7428, v0
	v_xor_b32_e32 v2, v2, v6
	v_xor_b32_e32 v1, v19, v5
	v_mad_u64_u32 v[2:3], s[0:1], v2, s60, 0
	v_xor_b32_e32 v1, v1, v2
	v_mad_u64_u32 v[6:7], s[0:1], v1, s61, 0
	s_mov_b32 s0, 0x1fd5c5a3
	v_add_co_u32_e32 v35, vcc, s0, v0
	v_xor_b32_e32 v0, v35, v3
	v_xor_b32_e32 v0, v0, v10
	v_mad_u64_u32 v[0:1], s[0:1], v0, s61, 0
	s_mov_b32 s0, 0xf1bbcdc8
	s_load_dwordx8 s[8:15], s[4:5], 0x30
	v_add_co_u32_e32 v36, vcc, s0, v12
	v_xor_b32_e32 v0, v36, v1
	v_xor_b32_e32 v0, v0, v8
	s_add_u32 s34, s4, 48
	v_mad_u64_u32 v[0:1], s[0:1], v0, s60, 0
	s_addc_u32 s35, s5, 0
	s_waitcnt lgkmcnt(0)
	s_add_i32 s0, s8, -1
	s_cmp_gt_u32 s0, 1
	s_cselect_b64 s[36:37], -1, 0
	s_cmp_lg_u32 s8, 0
	s_cselect_b64 s[38:39], -1, 0
	s_add_u32 s40, s4, 0xf4
	s_addc_u32 s41, s5, 0
	s_min_u32 s1, s0, 15
	s_cmp_gt_u32 s8, 1
	s_cselect_b64 s[42:43], -1, 0
	s_add_i32 s1, s1, 1
	s_mov_b32 s8, s13
	s_load_dwordx2 s[44:45], s[4:5], 0xf4
	s_load_dwordx2 s[46:47], s[4:5], 0x138
	s_and_b32 s13, s1, 3
	s_cmp_lg_u32 s0, 2
	s_cselect_b64 s[48:49], -1, 0
	s_and_b32 s15, s1, 28
	v_add_u32_e32 v18, 0x96a522ad, v13
	v_xor_b32_e32 v1, v1, v4
	s_cmp_lg_u32 s13, 0
	s_mov_b32 s59, 0
	v_add_u32_e32 v17, 0x8ff34781, v12
	v_xor_b32_e32 v2, v18, v1
	v_mov_b32_e32 v1, v6
	v_mov_b32_e32 v3, v0
	s_mov_b64 s[50:51], 0
	s_cselect_b64 s[52:53], -1, 0
	v_mov_b32_e32 v37, v14
	v_mov_b32_e32 v38, v15
	s_branch .LBB57_9
.LBB57_7:                               ;   in Loop: Header=BB57_9 Depth=1
	s_waitcnt lgkmcnt(0)
	global_store_dword v8, v3, s[46:47]
.LBB57_8:                               ;   in Loop: Header=BB57_9 Depth=1
	s_or_b64 exec, exec, s[28:29]
	v_add_co_u32_e32 v14, vcc, s58, v14
	v_addc_co_u32_e32 v15, vcc, 0, v15, vcc
	v_mov_b32_e32 v7, v4
	v_cmp_le_i64_e32 vcc, s[26:27], v[14:15]
	v_pk_mov_b32 v[0:1], v[4:5], v[4:5] op_sel:[0,1]
	s_or_b64 s[50:51], vcc, s[50:51]
	v_pk_mov_b32 v[2:3], v[6:7], v[6:7] op_sel:[0,1]
	s_waitcnt lgkmcnt(0)
	s_barrier
	s_andn2_b64 exec, exec, s[50:51]
	s_cbranch_execz .LBB57_50
.LBB57_9:                               ; =>This Loop Header: Depth=1
                                        ;     Child Loop BB57_24 Depth 2
                                        ;     Child Loop BB57_30 Depth 2
	;; [unrolled: 1-line block ×4, first 2 shown]
	v_add_co_u32_e32 v27, vcc, 1, v27
	v_cndmask_b32_e64 v0, 0, 1, vcc
	v_addc_co_u32_e32 v28, vcc, 0, v28, vcc
	v_cmp_eq_u32_e32 vcc, 0, v28
	v_cndmask_b32_e32 v0, 0, v0, vcc
	v_add_u32_e32 v37, v0, v37
	v_cmp_eq_u32_e32 vcc, 0, v37
	v_cndmask_b32_e32 v0, 0, v0, vcc
	v_mad_u64_u32 v[4:5], s[0:1], v27, s60, 0
	v_add_u32_e32 v38, v0, v38
	v_mad_u64_u32 v[6:7], s[0:1], v37, s61, 0
	v_xor_b32_e32 v5, v5, v13
	v_xor_b32_e32 v0, v7, v12
	v_xor_b32_e32 v5, v38, v5
	v_xor_b32_e32 v0, v28, v0
	v_mad_u64_u32 v[10:11], s[0:1], v5, s61, 0
	v_mad_u64_u32 v[8:9], s[0:1], v0, s60, 0
	v_xor_b32_e32 v0, v26, v11
	v_xor_b32_e32 v0, v0, v6
	v_xor_b32_e32 v5, v29, v9
	v_xor_b32_e32 v6, v5, v4
	v_mad_u64_u32 v[4:5], s[0:1], v0, s60, 0
	;; [unrolled: 6-line block ×9, first 2 shown]
	v_mad_u64_u32 v[4:5], s[0:1], v0, s60, 0
	v_xor_b32_e32 v0, v11, v40
	v_xor_b32_e32 v8, v17, v0
	;; [unrolled: 1-line block ×4, first 2 shown]
	v_mov_b32_e32 v5, v10
	v_mov_b32_e32 v6, v9
	v_cmp_lt_i32_e32 vcc, 1, v16
	s_and_saveexec_b64 s[0:1], vcc
	s_xor_b64 s[0:1], exec, s[0:1]
	s_cbranch_execz .LBB57_15
; %bb.10:                               ;   in Loop: Header=BB57_9 Depth=1
	v_cmp_lt_i32_e32 vcc, 2, v16
	s_and_saveexec_b64 s[2:3], vcc
	s_xor_b64 s[2:3], exec, s[2:3]
; %bb.11:                               ;   in Loop: Header=BB57_9 Depth=1
	v_mov_b32_e32 v7, v8
	v_pk_mov_b32 v[0:1], v[6:7], v[6:7] op_sel:[0,1]
	v_pk_mov_b32 v[2:3], v[8:9], v[8:9] op_sel:[0,1]
                                        ; implicit-def: $vgpr10_vgpr11
; %bb.12:                               ;   in Loop: Header=BB57_9 Depth=1
	s_andn2_saveexec_b64 s[2:3], s[2:3]
; %bb.13:                               ;   in Loop: Header=BB57_9 Depth=1
	v_mov_b32_e32 v1, v3
	v_mov_b32_e32 v3, v10
; %bb.14:                               ;   in Loop: Header=BB57_9 Depth=1
	s_or_b64 exec, exec, s[2:3]
                                        ; implicit-def: $vgpr8_vgpr9_vgpr10_vgpr11
.LBB57_15:                              ;   in Loop: Header=BB57_9 Depth=1
	s_andn2_saveexec_b64 s[0:1], s[0:1]
	s_cbranch_execz .LBB57_19
; %bb.16:                               ;   in Loop: Header=BB57_9 Depth=1
	v_cmp_eq_u32_e32 vcc, 1, v16
	s_and_saveexec_b64 s[2:3], vcc
; %bb.17:                               ;   in Loop: Header=BB57_9 Depth=1
	v_mov_b32_e32 v1, v2
	v_mov_b32_e32 v3, v8
; %bb.18:                               ;   in Loop: Header=BB57_9 Depth=1
	s_or_b64 exec, exec, s[2:3]
.LBB57_19:                              ;   in Loop: Header=BB57_9 Depth=1
	s_or_b64 exec, exec, s[0:1]
	v_cndmask_b32_e64 v0, 0, 1, s[36:37]
	v_cmp_gt_i64_e32 vcc, s[24:25], v[14:15]
	v_cmp_ne_u32_e64 s[0:1], 1, v0
	s_and_saveexec_b64 s[2:3], vcc
	s_cbranch_execz .LBB57_35
; %bb.20:                               ;   in Loop: Header=BB57_9 Depth=1
	s_and_b64 vcc, exec, s[0:1]
	s_cbranch_vccnz .LBB57_26
; %bb.21:                               ;   in Loop: Header=BB57_9 Depth=1
	s_andn2_b64 vcc, exec, s[38:39]
	s_cbranch_vccnz .LBB57_27
; %bb.22:                               ;   in Loop: Header=BB57_9 Depth=1
	s_mov_b32 s6, 0
	s_andn2_b64 vcc, exec, s[48:49]
	v_mov_b32_e32 v8, 0
	s_cbranch_vccnz .LBB57_28
; %bb.23:                               ;   in Loop: Header=BB57_9 Depth=1
	s_mov_b32 s62, 0
	v_mov_b32_e32 v8, 0
	s_mov_b64 s[54:55], s[34:35]
	s_mov_b64 s[56:57], s[40:41]
	v_mov_b32_e32 v0, v14
.LBB57_24:                              ;   Parent Loop BB57_9 Depth=1
                                        ; =>  This Inner Loop Header: Depth=2
	s_load_dwordx8 s[16:23], s[54:55], 0x4
	s_load_dwordx4 s[4:7], s[54:55], 0x24
	s_load_dwordx4 s[28:31], s[56:57], 0x0
	s_add_u32 s54, s54, 48
	s_addc_u32 s55, s55, 0
	s_waitcnt lgkmcnt(0)
	v_mul_hi_u32 v2, s17, v0
	v_add_u32_e32 v2, v0, v2
	v_lshrrev_b32_e32 v2, s18, v2
	v_mul_lo_u32 v7, v2, s16
	v_mul_hi_u32 v9, s20, v2
	v_sub_u32_e32 v0, v0, v7
	v_add_u32_e32 v7, v2, v9
	v_lshrrev_b32_e32 v7, s21, v7
	v_mul_lo_u32 v9, v7, s19
	v_mul_hi_u32 v10, s23, v7
	v_sub_u32_e32 v2, v2, v9
	v_add_u32_e32 v9, v7, v10
	v_mul_lo_u32 v0, v0, s28
	v_mul_lo_u32 v2, v2, s29
	v_lshrrev_b32_e32 v9, s4, v9
	v_add3_u32 v2, v0, v8, v2
	v_mul_lo_u32 v0, v9, s22
	v_mul_hi_u32 v8, s6, v9
	v_sub_u32_e32 v0, v7, v0
	v_add_u32_e32 v7, v9, v8
	v_mul_lo_u32 v8, v0, s30
	v_lshrrev_b32_e32 v0, s7, v7
	s_add_i32 s62, s62, 4
	v_mul_lo_u32 v7, v0, s5
	s_add_u32 s56, s56, 16
	v_sub_u32_e32 v7, v9, v7
	s_addc_u32 s57, s57, 0
	v_mul_lo_u32 v7, v7, s31
	s_cmp_lg_u32 s15, s62
	v_add3_u32 v8, v8, v2, v7
	s_cbranch_scc1 .LBB57_24
; %bb.25:                               ;   in Loop: Header=BB57_9 Depth=1
	s_mov_b32 s6, s15
	s_andn2_b64 vcc, exec, s[52:53]
	s_cbranch_vccz .LBB57_29
	s_branch .LBB57_31
.LBB57_26:                              ;   in Loop: Header=BB57_9 Depth=1
                                        ; implicit-def: $vgpr8
	s_branch .LBB57_32
.LBB57_27:                              ;   in Loop: Header=BB57_9 Depth=1
	v_mov_b32_e32 v8, 0
	s_branch .LBB57_31
.LBB57_28:                              ;   in Loop: Header=BB57_9 Depth=1
	v_mov_b32_e32 v0, v14
	s_andn2_b64 vcc, exec, s[52:53]
	s_cbranch_vccnz .LBB57_31
.LBB57_29:                              ;   in Loop: Header=BB57_9 Depth=1
	s_lshl_b32 s4, s6, 2
	s_add_u32 s4, s40, s4
	s_addc_u32 s5, s41, 0
	s_mul_i32 s6, s6, 12
	s_add_u32 s6, s34, s6
	s_addc_u32 s7, s35, 0
	s_mov_b32 s16, s13
.LBB57_30:                              ;   Parent Loop BB57_9 Depth=1
                                        ; =>  This Inner Loop Header: Depth=2
	s_load_dwordx2 s[18:19], s[6:7], 0x4
	s_load_dword s17, s[6:7], 0xc
	s_load_dword s20, s[4:5], 0x0
	s_add_u32 s6, s6, 12
	s_addc_u32 s7, s7, 0
	s_waitcnt lgkmcnt(0)
	v_mul_hi_u32 v2, s19, v0
	v_add_u32_e32 v2, v0, v2
	v_lshrrev_b32_e32 v2, s17, v2
	s_add_u32 s4, s4, 4
	v_mul_lo_u32 v7, v2, s18
	s_addc_u32 s5, s5, 0
	s_add_i32 s16, s16, -1
	v_sub_u32_e32 v7, v0, v7
	s_cmp_lg_u32 s16, 0
	v_mov_b32_e32 v0, v2
	v_mad_u64_u32 v[8:9], s[18:19], v7, s20, v[8:9]
	s_cbranch_scc1 .LBB57_30
.LBB57_31:                              ;   in Loop: Header=BB57_9 Depth=1
	s_cbranch_execnz .LBB57_34
.LBB57_32:                              ;   in Loop: Header=BB57_9 Depth=1
	v_mul_hi_u32 v0, v14, s10
	v_add_u32_e32 v0, v0, v14
	v_lshrrev_b32_e32 v0, s11, v0
	v_mul_lo_u32 v2, v0, s9
	v_sub_u32_e32 v2, v14, v2
	s_andn2_b64 vcc, exec, s[42:43]
	s_waitcnt lgkmcnt(0)
	v_mul_lo_u32 v8, v2, s44
	s_cbranch_vccnz .LBB57_34
; %bb.33:                               ;   in Loop: Header=BB57_9 Depth=1
	v_mul_hi_u32 v2, s8, v0
	v_add_u32_e32 v2, v0, v2
	v_lshrrev_b32_e32 v2, s14, v2
	v_mul_lo_u32 v2, v2, s12
	v_sub_u32_e32 v0, v0, v2
	v_mad_u64_u32 v[8:9], s[4:5], v0, s45, v[8:9]
.LBB57_34:                              ;   in Loop: Header=BB57_9 Depth=1
	s_waitcnt lgkmcnt(0)
	global_store_dword v8, v1, s[46:47]
.LBB57_35:                              ;   in Loop: Header=BB57_9 Depth=1
	s_or_b64 exec, exec, s[2:3]
	v_mov_b32_e32 v1, s59
	v_add_co_u32_e32 v0, vcc, s33, v14
	v_addc_co_u32_e32 v1, vcc, v15, v1, vcc
	v_cmp_gt_i64_e32 vcc, s[24:25], v[0:1]
	s_and_saveexec_b64 s[28:29], vcc
	s_cbranch_execz .LBB57_8
; %bb.36:                               ;   in Loop: Header=BB57_9 Depth=1
	s_and_b64 vcc, exec, s[0:1]
	s_cbranch_vccnz .LBB57_42
; %bb.37:                               ;   in Loop: Header=BB57_9 Depth=1
	s_andn2_b64 vcc, exec, s[38:39]
	s_cbranch_vccnz .LBB57_43
; %bb.38:                               ;   in Loop: Header=BB57_9 Depth=1
	s_mov_b32 s2, 0
	s_andn2_b64 vcc, exec, s[48:49]
	v_mov_b32_e32 v8, 0
	s_cbranch_vccnz .LBB57_44
; %bb.39:                               ;   in Loop: Header=BB57_9 Depth=1
	s_mov_b32 s56, 0
	v_mov_b32_e32 v8, 0
	s_mov_b64 s[30:31], s[34:35]
	s_mov_b64 s[54:55], s[40:41]
	v_mov_b32_e32 v1, v0
.LBB57_40:                              ;   Parent Loop BB57_9 Depth=1
                                        ; =>  This Inner Loop Header: Depth=2
	s_load_dwordx8 s[0:7], s[30:31], 0x4
	s_load_dwordx4 s[16:19], s[30:31], 0x24
	s_load_dwordx4 s[20:23], s[54:55], 0x0
	s_add_u32 s30, s30, 48
	s_addc_u32 s31, s31, 0
	s_waitcnt lgkmcnt(0)
	v_mul_hi_u32 v2, s1, v1
	v_add_u32_e32 v2, v1, v2
	v_lshrrev_b32_e32 v2, s2, v2
	v_mul_lo_u32 v7, v2, s0
	v_mul_hi_u32 v9, s4, v2
	v_sub_u32_e32 v1, v1, v7
	v_add_u32_e32 v7, v2, v9
	v_lshrrev_b32_e32 v7, s5, v7
	v_mul_lo_u32 v9, v7, s3
	v_mul_hi_u32 v10, s7, v7
	v_sub_u32_e32 v2, v2, v9
	v_add_u32_e32 v9, v7, v10
	v_mul_lo_u32 v1, v1, s20
	v_mul_lo_u32 v2, v2, s21
	v_lshrrev_b32_e32 v9, s16, v9
	v_add3_u32 v2, v1, v8, v2
	v_mul_lo_u32 v1, v9, s6
	v_mul_hi_u32 v8, s18, v9
	v_sub_u32_e32 v1, v7, v1
	v_add_u32_e32 v7, v9, v8
	v_mul_lo_u32 v8, v1, s22
	v_lshrrev_b32_e32 v1, s19, v7
	s_add_i32 s56, s56, 4
	v_mul_lo_u32 v7, v1, s17
	s_add_u32 s54, s54, 16
	v_sub_u32_e32 v7, v9, v7
	s_addc_u32 s55, s55, 0
	v_mul_lo_u32 v7, v7, s23
	s_cmp_eq_u32 s15, s56
	v_add3_u32 v8, v8, v2, v7
	s_cbranch_scc0 .LBB57_40
; %bb.41:                               ;   in Loop: Header=BB57_9 Depth=1
	s_mov_b32 s2, s15
	s_andn2_b64 vcc, exec, s[52:53]
	s_cbranch_vccz .LBB57_45
	s_branch .LBB57_47
.LBB57_42:                              ;   in Loop: Header=BB57_9 Depth=1
                                        ; implicit-def: $vgpr8
	s_branch .LBB57_48
.LBB57_43:                              ;   in Loop: Header=BB57_9 Depth=1
	v_mov_b32_e32 v8, 0
	s_branch .LBB57_47
.LBB57_44:                              ;   in Loop: Header=BB57_9 Depth=1
	v_mov_b32_e32 v1, v0
	s_andn2_b64 vcc, exec, s[52:53]
	s_cbranch_vccnz .LBB57_47
.LBB57_45:                              ;   in Loop: Header=BB57_9 Depth=1
	s_lshl_b32 s0, s2, 2
	s_add_u32 s0, s40, s0
	s_addc_u32 s1, s41, 0
	s_mul_i32 s2, s2, 12
	s_add_u32 s2, s34, s2
	s_addc_u32 s3, s35, 0
	s_mov_b32 s4, s13
.LBB57_46:                              ;   Parent Loop BB57_9 Depth=1
                                        ; =>  This Inner Loop Header: Depth=2
	s_load_dwordx2 s[6:7], s[2:3], 0x4
	s_load_dword s5, s[2:3], 0xc
	s_load_dword s16, s[0:1], 0x0
	s_add_u32 s2, s2, 12
	s_addc_u32 s3, s3, 0
	s_waitcnt lgkmcnt(0)
	v_mul_hi_u32 v2, s7, v1
	v_add_u32_e32 v2, v1, v2
	v_lshrrev_b32_e32 v2, s5, v2
	s_add_u32 s0, s0, 4
	v_mul_lo_u32 v7, v2, s6
	s_addc_u32 s1, s1, 0
	s_add_i32 s4, s4, -1
	v_sub_u32_e32 v7, v1, v7
	s_cmp_lg_u32 s4, 0
	v_mov_b32_e32 v1, v2
	v_mad_u64_u32 v[8:9], s[6:7], v7, s16, v[8:9]
	s_cbranch_scc1 .LBB57_46
.LBB57_47:                              ;   in Loop: Header=BB57_9 Depth=1
	s_cbranch_execnz .LBB57_7
.LBB57_48:                              ;   in Loop: Header=BB57_9 Depth=1
	v_mul_hi_u32 v1, v0, s10
	v_add_u32_e32 v1, v1, v0
	v_lshrrev_b32_e32 v1, s11, v1
	v_mul_lo_u32 v2, v1, s9
	v_sub_u32_e32 v0, v0, v2
	s_andn2_b64 vcc, exec, s[42:43]
	s_waitcnt lgkmcnt(0)
	v_mul_lo_u32 v8, v0, s44
	s_cbranch_vccnz .LBB57_7
; %bb.49:                               ;   in Loop: Header=BB57_9 Depth=1
	v_mul_hi_u32 v0, s8, v1
	v_add_u32_e32 v0, v1, v0
	v_lshrrev_b32_e32 v0, s14, v0
	v_mul_lo_u32 v0, v0, s12
	v_sub_u32_e32 v0, v1, v0
	v_mad_u64_u32 v[8:9], s[0:1], v0, s45, v[8:9]
	s_branch .LBB57_7
.LBB57_50:
	s_endpgm
.LBB57_51:
                                        ; implicit-def: $sgpr2_sgpr3
	s_andn2_b64 vcc, exec, s[0:1]
	s_cbranch_vccz .LBB57_4
	s_branch .LBB57_5
	.section	.rodata,"a",@progbits
	.p2align	6, 0x0
	.amdhsa_kernel _ZN2at6native12_GLOBAL__N_143distribution_elementwise_grid_stride_kernelImLi2EZZZNS0_9templates4cuda32random_full_64_bits_range_kernelIPNS_17CUDAGeneratorImplEEEvRNS_18TensorIteratorBaseET_ENKUlvE_clEvENKUlvE1_clEvEUlP25hiprandStatePhilox4_32_10E_ZNS1_27distribution_nullary_kernelIim15HIP_vector_typeIyLj2EES7_SF_ZZZNS5_IS7_EEvS9_SA_ENKSB_clEvENKSC_clEvEUlmE_EEvS9_T2_RKT3_T4_EUlimE0_EEvlNS_15PhiloxCudaStateET1_SK_
		.amdhsa_group_segment_fixed_size 0
		.amdhsa_private_segment_fixed_size 0
		.amdhsa_kernarg_size 584
		.amdhsa_user_sgpr_count 6
		.amdhsa_user_sgpr_private_segment_buffer 1
		.amdhsa_user_sgpr_dispatch_ptr 0
		.amdhsa_user_sgpr_queue_ptr 0
		.amdhsa_user_sgpr_kernarg_segment_ptr 1
		.amdhsa_user_sgpr_dispatch_id 0
		.amdhsa_user_sgpr_flat_scratch_init 0
		.amdhsa_user_sgpr_kernarg_preload_length 0
		.amdhsa_user_sgpr_kernarg_preload_offset 0
		.amdhsa_user_sgpr_private_segment_size 0
		.amdhsa_uses_dynamic_stack 0
		.amdhsa_system_sgpr_private_segment_wavefront_offset 0
		.amdhsa_system_sgpr_workgroup_id_x 1
		.amdhsa_system_sgpr_workgroup_id_y 0
		.amdhsa_system_sgpr_workgroup_id_z 0
		.amdhsa_system_sgpr_workgroup_info 0
		.amdhsa_system_vgpr_workitem_id 0
		.amdhsa_next_free_vgpr 42
		.amdhsa_next_free_sgpr 63
		.amdhsa_accum_offset 44
		.amdhsa_reserve_vcc 1
		.amdhsa_reserve_flat_scratch 0
		.amdhsa_float_round_mode_32 0
		.amdhsa_float_round_mode_16_64 0
		.amdhsa_float_denorm_mode_32 3
		.amdhsa_float_denorm_mode_16_64 3
		.amdhsa_dx10_clamp 1
		.amdhsa_ieee_mode 1
		.amdhsa_fp16_overflow 0
		.amdhsa_tg_split 0
		.amdhsa_exception_fp_ieee_invalid_op 0
		.amdhsa_exception_fp_denorm_src 0
		.amdhsa_exception_fp_ieee_div_zero 0
		.amdhsa_exception_fp_ieee_overflow 0
		.amdhsa_exception_fp_ieee_underflow 0
		.amdhsa_exception_fp_ieee_inexact 0
		.amdhsa_exception_int_div_zero 0
	.end_amdhsa_kernel
	.section	.text._ZN2at6native12_GLOBAL__N_143distribution_elementwise_grid_stride_kernelImLi2EZZZNS0_9templates4cuda32random_full_64_bits_range_kernelIPNS_17CUDAGeneratorImplEEEvRNS_18TensorIteratorBaseET_ENKUlvE_clEvENKUlvE1_clEvEUlP25hiprandStatePhilox4_32_10E_ZNS1_27distribution_nullary_kernelIim15HIP_vector_typeIyLj2EES7_SF_ZZZNS5_IS7_EEvS9_SA_ENKSB_clEvENKSC_clEvEUlmE_EEvS9_T2_RKT3_T4_EUlimE0_EEvlNS_15PhiloxCudaStateET1_SK_,"axG",@progbits,_ZN2at6native12_GLOBAL__N_143distribution_elementwise_grid_stride_kernelImLi2EZZZNS0_9templates4cuda32random_full_64_bits_range_kernelIPNS_17CUDAGeneratorImplEEEvRNS_18TensorIteratorBaseET_ENKUlvE_clEvENKUlvE1_clEvEUlP25hiprandStatePhilox4_32_10E_ZNS1_27distribution_nullary_kernelIim15HIP_vector_typeIyLj2EES7_SF_ZZZNS5_IS7_EEvS9_SA_ENKSB_clEvENKSC_clEvEUlmE_EEvS9_T2_RKT3_T4_EUlimE0_EEvlNS_15PhiloxCudaStateET1_SK_,comdat
.Lfunc_end57:
	.size	_ZN2at6native12_GLOBAL__N_143distribution_elementwise_grid_stride_kernelImLi2EZZZNS0_9templates4cuda32random_full_64_bits_range_kernelIPNS_17CUDAGeneratorImplEEEvRNS_18TensorIteratorBaseET_ENKUlvE_clEvENKUlvE1_clEvEUlP25hiprandStatePhilox4_32_10E_ZNS1_27distribution_nullary_kernelIim15HIP_vector_typeIyLj2EES7_SF_ZZZNS5_IS7_EEvS9_SA_ENKSB_clEvENKSC_clEvEUlmE_EEvS9_T2_RKT3_T4_EUlimE0_EEvlNS_15PhiloxCudaStateET1_SK_, .Lfunc_end57-_ZN2at6native12_GLOBAL__N_143distribution_elementwise_grid_stride_kernelImLi2EZZZNS0_9templates4cuda32random_full_64_bits_range_kernelIPNS_17CUDAGeneratorImplEEEvRNS_18TensorIteratorBaseET_ENKUlvE_clEvENKUlvE1_clEvEUlP25hiprandStatePhilox4_32_10E_ZNS1_27distribution_nullary_kernelIim15HIP_vector_typeIyLj2EES7_SF_ZZZNS5_IS7_EEvS9_SA_ENKSB_clEvENKSC_clEvEUlmE_EEvS9_T2_RKT3_T4_EUlimE0_EEvlNS_15PhiloxCudaStateET1_SK_
                                        ; -- End function
	.section	.AMDGPU.csdata,"",@progbits
; Kernel info:
; codeLenInByte = 3168
; NumSgprs: 67
; NumVgprs: 42
; NumAgprs: 0
; TotalNumVgprs: 42
; ScratchSize: 0
; MemoryBound: 0
; FloatMode: 240
; IeeeMode: 1
; LDSByteSize: 0 bytes/workgroup (compile time only)
; SGPRBlocks: 8
; VGPRBlocks: 5
; NumSGPRsForWavesPerEU: 67
; NumVGPRsForWavesPerEU: 42
; AccumOffset: 44
; Occupancy: 8
; WaveLimiterHint : 1
; COMPUTE_PGM_RSRC2:SCRATCH_EN: 0
; COMPUTE_PGM_RSRC2:USER_SGPR: 6
; COMPUTE_PGM_RSRC2:TRAP_HANDLER: 0
; COMPUTE_PGM_RSRC2:TGID_X_EN: 1
; COMPUTE_PGM_RSRC2:TGID_Y_EN: 0
; COMPUTE_PGM_RSRC2:TGID_Z_EN: 0
; COMPUTE_PGM_RSRC2:TIDIG_COMP_CNT: 0
; COMPUTE_PGM_RSRC3_GFX90A:ACCUM_OFFSET: 10
; COMPUTE_PGM_RSRC3_GFX90A:TG_SPLIT: 0
	.section	.text._ZN2at6native12_GLOBAL__N_143distribution_elementwise_grid_stride_kernelImLi2EZZZNS0_9templates4cuda32random_full_64_bits_range_kernelIPNS_17CUDAGeneratorImplEEEvRNS_18TensorIteratorBaseET_ENKUlvE_clEvENKUlvE2_clEvEUlP25hiprandStatePhilox4_32_10E_ZNS1_27distribution_nullary_kernelIlm15HIP_vector_typeIyLj2EES7_SF_ZZZNS5_IS7_EEvS9_SA_ENKSB_clEvENKSC_clEvEUlmE_EEvS9_T2_RKT3_T4_EUlimE_EEvlNS_15PhiloxCudaStateET1_SK_,"axG",@progbits,_ZN2at6native12_GLOBAL__N_143distribution_elementwise_grid_stride_kernelImLi2EZZZNS0_9templates4cuda32random_full_64_bits_range_kernelIPNS_17CUDAGeneratorImplEEEvRNS_18TensorIteratorBaseET_ENKUlvE_clEvENKUlvE2_clEvEUlP25hiprandStatePhilox4_32_10E_ZNS1_27distribution_nullary_kernelIlm15HIP_vector_typeIyLj2EES7_SF_ZZZNS5_IS7_EEvS9_SA_ENKSB_clEvENKSC_clEvEUlmE_EEvS9_T2_RKT3_T4_EUlimE_EEvlNS_15PhiloxCudaStateET1_SK_,comdat
	.globl	_ZN2at6native12_GLOBAL__N_143distribution_elementwise_grid_stride_kernelImLi2EZZZNS0_9templates4cuda32random_full_64_bits_range_kernelIPNS_17CUDAGeneratorImplEEEvRNS_18TensorIteratorBaseET_ENKUlvE_clEvENKUlvE2_clEvEUlP25hiprandStatePhilox4_32_10E_ZNS1_27distribution_nullary_kernelIlm15HIP_vector_typeIyLj2EES7_SF_ZZZNS5_IS7_EEvS9_SA_ENKSB_clEvENKSC_clEvEUlmE_EEvS9_T2_RKT3_T4_EUlimE_EEvlNS_15PhiloxCudaStateET1_SK_ ; -- Begin function _ZN2at6native12_GLOBAL__N_143distribution_elementwise_grid_stride_kernelImLi2EZZZNS0_9templates4cuda32random_full_64_bits_range_kernelIPNS_17CUDAGeneratorImplEEEvRNS_18TensorIteratorBaseET_ENKUlvE_clEvENKUlvE2_clEvEUlP25hiprandStatePhilox4_32_10E_ZNS1_27distribution_nullary_kernelIlm15HIP_vector_typeIyLj2EES7_SF_ZZZNS5_IS7_EEvS9_SA_ENKSB_clEvENKSC_clEvEUlmE_EEvS9_T2_RKT3_T4_EUlimE_EEvlNS_15PhiloxCudaStateET1_SK_
	.p2align	8
	.type	_ZN2at6native12_GLOBAL__N_143distribution_elementwise_grid_stride_kernelImLi2EZZZNS0_9templates4cuda32random_full_64_bits_range_kernelIPNS_17CUDAGeneratorImplEEEvRNS_18TensorIteratorBaseET_ENKUlvE_clEvENKUlvE2_clEvEUlP25hiprandStatePhilox4_32_10E_ZNS1_27distribution_nullary_kernelIlm15HIP_vector_typeIyLj2EES7_SF_ZZZNS5_IS7_EEvS9_SA_ENKSB_clEvENKSC_clEvEUlmE_EEvS9_T2_RKT3_T4_EUlimE_EEvlNS_15PhiloxCudaStateET1_SK_,@function
_ZN2at6native12_GLOBAL__N_143distribution_elementwise_grid_stride_kernelImLi2EZZZNS0_9templates4cuda32random_full_64_bits_range_kernelIPNS_17CUDAGeneratorImplEEEvRNS_18TensorIteratorBaseET_ENKUlvE_clEvENKUlvE2_clEvEUlP25hiprandStatePhilox4_32_10E_ZNS1_27distribution_nullary_kernelIlm15HIP_vector_typeIyLj2EES7_SF_ZZZNS5_IS7_EEvS9_SA_ENKSB_clEvENKSC_clEvEUlmE_EEvS9_T2_RKT3_T4_EUlimE_EEvlNS_15PhiloxCudaStateET1_SK_: ; @_ZN2at6native12_GLOBAL__N_143distribution_elementwise_grid_stride_kernelImLi2EZZZNS0_9templates4cuda32random_full_64_bits_range_kernelIPNS_17CUDAGeneratorImplEEEvRNS_18TensorIteratorBaseET_ENKUlvE_clEvENKUlvE2_clEvEUlP25hiprandStatePhilox4_32_10E_ZNS1_27distribution_nullary_kernelIlm15HIP_vector_typeIyLj2EES7_SF_ZZZNS5_IS7_EEvS9_SA_ENKSB_clEvENKSC_clEvEUlmE_EEvS9_T2_RKT3_T4_EUlimE_EEvlNS_15PhiloxCudaStateET1_SK_
; %bb.0:
	s_load_dword s7, s[4:5], 0x20
	s_load_dwordx2 s[10:11], s[4:5], 0x10
	s_load_dwordx4 s[0:3], s[4:5], 0x0
	s_mov_b32 s8, 0
	s_waitcnt lgkmcnt(0)
	s_bitcmp0_b32 s7, 0
	v_pk_mov_b32 v[2:3], s[10:11], s[10:11] op_sel:[0,1]
	v_pk_mov_b32 v[14:15], s[2:3], s[2:3] op_sel:[0,1]
	s_cbranch_scc1 .LBB58_2
; %bb.1:
	v_pk_mov_b32 v[2:3], s[10:11], s[10:11] op_sel:[0,1]
	flat_load_dwordx2 v[2:3], v[2:3]
	v_pk_mov_b32 v[4:5], s[2:3], s[2:3] op_sel:[0,1]
	flat_load_dwordx2 v[14:15], v[4:5]
	s_load_dwordx2 s[2:3], s[4:5], 0x18
	s_waitcnt lgkmcnt(0)
	v_mov_b32_e32 v1, s3
	s_waitcnt vmcnt(0)
	v_add_co_u32_e32 v2, vcc, s2, v2
	v_addc_co_u32_e32 v3, vcc, v3, v1, vcc
.LBB58_2:
	s_load_dword s2, s[4:5], 0x4c
	s_load_dword s10, s[4:5], 0x40
	s_waitcnt lgkmcnt(0)
	s_and_b32 s7, s2, 0xffff
	s_add_u32 s11, s0, -1
	s_mul_i32 s12, s10, s7
	s_addc_u32 s9, s1, -1
	s_lshl_b32 s13, s12, 1
	s_cmp_lg_u64 s[8:9], 0
	s_mov_b64 s[2:3], -1
	s_cbranch_scc0 .LBB58_23
; %bb.3:
	v_cvt_f32_u32_e32 v1, s13
	v_cvt_f32_ubyte0_e32 v4, 0
	s_sub_u32 s8, 0, s13
	s_subb_u32 s14, 0, 0
	v_madmk_f32 v1, v4, 0x4f800000, v1
	v_rcp_f32_e32 v1, v1
	v_mul_f32_e32 v1, 0x5f7ffffc, v1
	v_mul_f32_e32 v4, 0x2f800000, v1
	v_trunc_f32_e32 v4, v4
	v_madmk_f32 v1, v4, 0xcf800000, v1
	v_cvt_u32_f32_e32 v4, v4
	v_cvt_u32_f32_e32 v1, v1
	v_readfirstlane_b32 s15, v4
	v_readfirstlane_b32 s16, v1
	s_mul_i32 s17, s8, s15
	s_mul_hi_u32 s19, s8, s16
	s_mul_i32 s18, s14, s16
	s_add_i32 s17, s19, s17
	s_add_i32 s17, s17, s18
	s_mul_i32 s20, s8, s16
	s_mul_hi_u32 s18, s16, s17
	s_mul_i32 s19, s16, s17
	s_mul_hi_u32 s16, s16, s20
	s_add_u32 s16, s16, s19
	s_addc_u32 s18, 0, s18
	s_mul_hi_u32 s21, s15, s20
	s_mul_i32 s20, s15, s20
	s_add_u32 s16, s16, s20
	s_mul_hi_u32 s19, s15, s17
	s_addc_u32 s16, s18, s21
	s_addc_u32 s18, s19, 0
	s_mul_i32 s17, s15, s17
	s_add_u32 s16, s16, s17
	s_addc_u32 s17, 0, s18
	v_add_co_u32_e32 v1, vcc, s16, v1
	s_cmp_lg_u64 vcc, 0
	s_addc_u32 s15, s15, s17
	v_readfirstlane_b32 s17, v1
	s_mul_i32 s16, s8, s15
	s_mul_hi_u32 s18, s8, s17
	s_add_i32 s16, s18, s16
	s_mul_i32 s14, s14, s17
	s_add_i32 s16, s16, s14
	s_mul_i32 s8, s8, s17
	s_mul_hi_u32 s18, s15, s8
	s_mul_i32 s19, s15, s8
	s_mul_i32 s21, s17, s16
	s_mul_hi_u32 s8, s17, s8
	s_mul_hi_u32 s20, s17, s16
	s_add_u32 s8, s8, s21
	s_addc_u32 s17, 0, s20
	s_add_u32 s8, s8, s19
	s_mul_hi_u32 s14, s15, s16
	s_addc_u32 s8, s17, s18
	s_addc_u32 s14, s14, 0
	s_mul_i32 s16, s15, s16
	s_add_u32 s8, s8, s16
	s_addc_u32 s14, 0, s14
	v_add_co_u32_e32 v1, vcc, s8, v1
	s_cmp_lg_u64 vcc, 0
	s_addc_u32 s16, s15, s14
	s_ashr_i32 s14, s9, 31
	s_add_u32 s8, s11, s14
	s_mov_b32 s15, s14
	s_addc_u32 s9, s9, s14
	s_xor_b64 s[8:9], s[8:9], s[14:15]
	v_readfirstlane_b32 s19, v1
	s_mul_i32 s18, s8, s16
	s_mul_hi_u32 s20, s8, s19
	s_mul_hi_u32 s17, s8, s16
	s_add_u32 s18, s20, s18
	s_addc_u32 s17, 0, s17
	s_mul_hi_u32 s21, s9, s19
	s_mul_i32 s19, s9, s19
	s_add_u32 s18, s18, s19
	s_mul_hi_u32 s20, s9, s16
	s_addc_u32 s17, s17, s21
	s_addc_u32 s18, s20, 0
	s_mul_i32 s16, s9, s16
	s_add_u32 s16, s17, s16
	s_addc_u32 s17, 0, s18
	s_add_u32 s18, s16, 1
	s_addc_u32 s19, s17, 0
	s_add_u32 s20, s16, 2
	s_mul_i32 s22, s13, s17
	s_mul_hi_u32 s23, s13, s16
	s_addc_u32 s21, s17, 0
	s_add_i32 s23, s23, s22
	s_mul_i32 s22, s13, s16
	v_mov_b32_e32 v1, s22
	v_sub_co_u32_e32 v1, vcc, s8, v1
	s_cmp_lg_u64 vcc, 0
	s_subb_u32 s8, s9, s23
	v_subrev_co_u32_e32 v4, vcc, s13, v1
	s_cmp_lg_u64 vcc, 0
	s_subb_u32 s9, s8, 0
	v_readfirstlane_b32 s22, v4
	s_cmp_ge_u32 s22, s13
	s_cselect_b32 s22, -1, 0
	s_cmp_eq_u32 s9, 0
	s_cselect_b32 s9, s22, -1
	s_cmp_lg_u32 s9, 0
	s_cselect_b32 s9, s21, s19
	v_readfirstlane_b32 s19, v1
	s_cselect_b32 s18, s20, s18
	s_cmp_ge_u32 s19, s13
	s_cselect_b32 s19, -1, 0
	s_cmp_eq_u32 s8, 0
	s_cselect_b32 s8, s19, -1
	s_cmp_lg_u32 s8, 0
	s_cselect_b32 s9, s9, s17
	s_cselect_b32 s8, s18, s16
	s_xor_b64 s[8:9], s[8:9], s[14:15]
	s_sub_u32 s8, s8, s14
	s_subb_u32 s9, s9, s14
	s_cbranch_execnz .LBB58_5
.LBB58_4:
	v_cvt_f32_u32_e32 v1, s13
	s_sub_i32 s2, 0, s13
	s_mov_b32 s9, 0
	v_rcp_iflag_f32_e32 v1, v1
	v_mul_f32_e32 v1, 0x4f7ffffe, v1
	v_cvt_u32_f32_e32 v1, v1
	v_readfirstlane_b32 s3, v1
	s_mul_i32 s2, s2, s3
	s_mul_hi_u32 s2, s3, s2
	s_add_i32 s3, s3, s2
	s_mul_hi_u32 s2, s11, s3
	s_mul_i32 s8, s2, s13
	s_sub_i32 s8, s11, s8
	s_add_i32 s3, s2, 1
	s_sub_i32 s11, s8, s13
	s_cmp_ge_u32 s8, s13
	s_cselect_b32 s2, s3, s2
	s_cselect_b32 s8, s11, s8
	s_add_i32 s3, s2, 1
	s_cmp_ge_u32 s8, s13
	s_cselect_b32 s8, s3, s2
.LBB58_5:
	v_mov_b32_e32 v1, 0
	v_mov_b32_e32 v4, s6
	v_mad_u64_u32 v[16:17], s[2:3], s7, v4, v[0:1]
	s_add_u32 s2, s8, 1
	s_addc_u32 s3, s9, 0
	s_mul_hi_u32 s8, s10, s7
	s_mul_i32 s3, s12, s3
	s_mul_hi_u32 s9, s12, s2
	s_add_i32 s3, s9, s3
	s_mul_i32 s8, s8, s2
	s_add_i32 s3, s3, s8
	s_mul_i32 s2, s12, s2
	s_lshl_b64 s[2:3], s[2:3], 1
	v_cmp_gt_i64_e32 vcc, s[2:3], v[16:17]
	s_and_saveexec_b64 s[8:9], vcc
	s_cbranch_execz .LBB58_22
; %bb.6:
	s_load_dwordx2 s[8:9], s[4:5], 0x30
	s_load_dword s11, s[4:5], 0x38
	s_mov_b32 s4, 0x5384540f
	v_mov_b32_e32 v4, v15
	v_add_co_u32_e32 v22, vcc, s4, v14
	s_mov_b32 s4, 0x646e171e
	v_add_co_u32_e32 v23, vcc, s4, v4
	s_mov_b32 s4, 0x1715609d
	;; [unrolled: 2-line block ×6, first 2 shown]
	v_alignbit_b32 v29, v3, v2, 2
	s_mov_b32 s15, 0xd2511f53
	v_add_co_u32_e32 v28, vcc, s4, v14
	v_mad_u64_u32 v[6:7], s[4:5], v29, s15, 0
	v_xor_b32_e32 v1, v7, v15
	v_xor_b32_e32 v1, v1, v17
	s_mov_b32 s16, 0xcd9e8d57
	v_mad_u64_u32 v[8:9], s[4:5], v1, s16, 0
	v_xor_b32_e32 v1, v28, v9
	v_mad_u64_u32 v[10:11], s[4:5], v16, s16, 0
	v_and_b32_e32 v18, 3, v2
	v_xor_b32_e32 v1, v1, v10
	v_xor_b32_e32 v2, v14, v11
	v_lshrrev_b32_e32 v30, 2, v3
	v_mad_u64_u32 v[12:13], s[4:5], v1, s15, 0
	v_xor_b32_e32 v2, v2, v30
	v_xor_b32_e32 v1, v27, v13
	v_mad_u64_u32 v[2:3], s[4:5], v2, s15, 0
	v_xor_b32_e32 v1, v1, v2
	v_mad_u64_u32 v[10:11], s[4:5], v1, s16, 0
	s_mov_b32 s4, 0xbb67ae85
	v_add_co_u32_e32 v31, vcc, s4, v4
	v_xor_b32_e32 v2, v31, v3
	v_xor_b32_e32 v2, v2, v6
	v_xor_b32_e32 v1, v26, v11
	v_mad_u64_u32 v[2:3], s[4:5], v2, s16, 0
	v_xor_b32_e32 v1, v1, v2
	v_mad_u64_u32 v[6:7], s[4:5], v1, s15, 0
	s_mov_b32 s4, 0x3c6ef372
	v_add_co_u32_e32 v32, vcc, s4, v14
	v_xor_b32_e32 v2, v32, v3
	;; [unrolled: 8-line block ×6, first 2 shown]
	v_add_co_u32_e32 v21, vcc, 0xdb3d7428, v4
	v_xor_b32_e32 v2, v2, v8
	v_xor_b32_e32 v1, v21, v7
	v_mad_u64_u32 v[2:3], s[4:5], v2, s15, 0
	v_xor_b32_e32 v1, v1, v2
	v_mad_u64_u32 v[8:9], s[4:5], v1, s16, 0
	s_mov_b32 s4, 0x1fd5c5a3
	v_add_co_u32_e32 v37, vcc, s4, v4
	v_xor_b32_e32 v1, v37, v3
	v_xor_b32_e32 v1, v1, v12
	v_mad_u64_u32 v[2:3], s[4:5], v1, s16, 0
	s_mov_b32 s4, 0xf1bbcdc8
	v_add_u32_e32 v19, 0x8ff34781, v14
	v_xor_b32_e32 v1, v9, v2
	v_add_co_u32_e32 v38, vcc, s4, v14
	v_xor_b32_e32 v2, v19, v1
	v_xor_b32_e32 v1, v38, v3
	;; [unrolled: 1-line block ×3, first 2 shown]
	v_mad_u64_u32 v[10:11], s[4:5], v1, s15, 0
	v_add_u32_e32 v20, 0x96a522ad, v15
	v_xor_b32_e32 v1, v11, v6
	s_mul_i32 s4, s6, s7
	v_xor_b32_e32 v4, v20, v1
	v_add_u32_e32 v1, s4, v0
	s_waitcnt lgkmcnt(0)
	s_mul_i32 s4, s10, s11
	s_mul_i32 s4, s4, s7
	s_lshl_b32 s17, s4, 1
	s_add_i32 s4, s6, s10
	s_mul_i32 s4, s4, s7
	s_mov_b32 s14, 0
	v_add_u32_e32 v0, s4, v0
	v_mov_b32_e32 v3, v8
	v_mov_b32_e32 v5, v10
	v_mul_lo_u32 v39, s11, v1
	v_mul_lo_u32 v40, s11, v0
	s_mov_b64 s[4:5], 0
	s_mov_b32 s18, s14
	v_mov_b32_e32 v41, v16
	v_mov_b32_e32 v42, v17
	s_branch .LBB58_8
.LBB58_7:                               ;   in Loop: Header=BB58_8 Depth=1
	s_or_b64 exec, exec, s[6:7]
	v_add_co_u32_e32 v16, vcc, s13, v16
	v_addc_co_u32_e32 v17, vcc, 0, v17, vcc
	v_mov_b32_e32 v9, v0
	s_add_i32 s18, s18, s17
	v_cmp_le_i64_e32 vcc, s[2:3], v[16:17]
	v_pk_mov_b32 v[2:3], v[6:7], v[6:7] op_sel:[0,1]
	s_or_b64 s[4:5], vcc, s[4:5]
	v_pk_mov_b32 v[4:5], v[8:9], v[8:9] op_sel:[0,1]
	s_barrier
	s_andn2_b64 exec, exec, s[4:5]
	s_cbranch_execz .LBB58_22
.LBB58_8:                               ; =>This Inner Loop Header: Depth=1
	v_add_co_u32_e32 v29, vcc, 1, v29
	v_cndmask_b32_e64 v0, 0, 1, vcc
	v_addc_co_u32_e32 v30, vcc, 0, v30, vcc
	v_cmp_eq_u32_e32 vcc, 0, v30
	v_cndmask_b32_e32 v0, 0, v0, vcc
	v_add_u32_e32 v41, v0, v41
	v_cmp_eq_u32_e32 vcc, 0, v41
	v_cndmask_b32_e32 v0, 0, v0, vcc
	v_add_u32_e32 v42, v0, v42
	v_mad_u64_u32 v[0:1], s[6:7], v29, s15, 0
	v_mad_u64_u32 v[6:7], s[6:7], v41, s16, 0
	v_xor_b32_e32 v1, v1, v15
	v_xor_b32_e32 v7, v7, v14
	v_xor_b32_e32 v1, v42, v1
	v_xor_b32_e32 v7, v30, v7
	v_mad_u64_u32 v[10:11], s[6:7], v1, s16, 0
	v_mad_u64_u32 v[8:9], s[6:7], v7, s15, 0
	v_xor_b32_e32 v1, v28, v11
	v_xor_b32_e32 v1, v1, v6
	v_xor_b32_e32 v6, v31, v9
	v_xor_b32_e32 v6, v6, v0
	v_mad_u64_u32 v[0:1], s[6:7], v1, s15, 0
	v_mad_u64_u32 v[6:7], s[6:7], v6, s16, 0
	v_xor_b32_e32 v1, v27, v1
	v_xor_b32_e32 v7, v32, v7
	v_xor_b32_e32 v1, v1, v8
	v_xor_b32_e32 v7, v7, v10
	v_mad_u64_u32 v[10:11], s[6:7], v1, s16, 0
	v_mad_u64_u32 v[8:9], s[6:7], v7, s15, 0
	v_xor_b32_e32 v1, v26, v11
	v_xor_b32_e32 v1, v1, v6
	v_xor_b32_e32 v6, v33, v9
	v_xor_b32_e32 v6, v6, v0
	v_mad_u64_u32 v[0:1], s[6:7], v1, s15, 0
	v_mad_u64_u32 v[6:7], s[6:7], v6, s16, 0
	v_xor_b32_e32 v1, v25, v1
	v_xor_b32_e32 v7, v34, v7
	v_xor_b32_e32 v1, v1, v8
	v_xor_b32_e32 v7, v7, v10
	v_mad_u64_u32 v[10:11], s[6:7], v1, s16, 0
	v_mad_u64_u32 v[8:9], s[6:7], v7, s15, 0
	v_xor_b32_e32 v1, v24, v11
	v_xor_b32_e32 v1, v1, v6
	v_xor_b32_e32 v6, v35, v9
	v_xor_b32_e32 v6, v6, v0
	v_mad_u64_u32 v[0:1], s[6:7], v1, s15, 0
	v_mad_u64_u32 v[6:7], s[6:7], v6, s16, 0
	v_xor_b32_e32 v1, v23, v1
	v_xor_b32_e32 v7, v36, v7
	v_xor_b32_e32 v1, v1, v8
	v_xor_b32_e32 v7, v7, v10
	v_mad_u64_u32 v[10:11], s[6:7], v1, s16, 0
	v_mad_u64_u32 v[8:9], s[6:7], v7, s15, 0
	v_xor_b32_e32 v1, v22, v11
	v_xor_b32_e32 v1, v1, v6
	v_xor_b32_e32 v6, v37, v9
	v_xor_b32_e32 v0, v6, v0
	v_mad_u64_u32 v[6:7], s[6:7], v0, s16, 0
	v_mad_u64_u32 v[44:45], s[6:7], v1, s15, 0
	v_xor_b32_e32 v0, v38, v7
	v_xor_b32_e32 v0, v0, v10
	v_xor_b32_e32 v1, v21, v45
	v_xor_b32_e32 v7, v1, v8
	v_mad_u64_u32 v[0:1], s[6:7], v0, s15, 0
	v_mad_u64_u32 v[12:13], s[6:7], v7, s16, 0
	v_xor_b32_e32 v1, v1, v44
	v_xor_b32_e32 v6, v13, v6
	v_xor_b32_e32 v13, v20, v1
	v_xor_b32_e32 v6, v19, v6
	v_mov_b32_e32 v7, v12
	v_mov_b32_e32 v8, v13
	v_cmp_lt_i32_e32 vcc, 1, v18
	s_and_saveexec_b64 s[6:7], vcc
	s_xor_b64 s[6:7], exec, s[6:7]
	s_cbranch_execnz .LBB58_14
; %bb.9:                                ;   in Loop: Header=BB58_8 Depth=1
	s_andn2_saveexec_b64 s[6:7], s[6:7]
	s_cbranch_execnz .LBB58_19
.LBB58_10:                              ;   in Loop: Header=BB58_8 Depth=1
	s_or_b64 exec, exec, s[6:7]
	v_cmp_gt_i64_e32 vcc, s[0:1], v[16:17]
	s_and_saveexec_b64 s[6:7], vcc
	s_cbranch_execz .LBB58_12
.LBB58_11:                              ;   in Loop: Header=BB58_8 Depth=1
	v_add_u32_e32 v1, s18, v39
	v_mov_b32_e32 v10, v3
	v_mov_b32_e32 v11, v2
	v_ashrrev_i32_e32 v3, 31, v1
	v_mov_b32_e32 v9, s9
	v_add_co_u32_e32 v2, vcc, s8, v1
	v_addc_co_u32_e32 v3, vcc, v9, v3, vcc
	global_store_dwordx2 v[2:3], v[10:11], off
.LBB58_12:                              ;   in Loop: Header=BB58_8 Depth=1
	s_or_b64 exec, exec, s[6:7]
	v_mov_b32_e32 v1, s14
	v_add_co_u32_e32 v2, vcc, s12, v16
	v_addc_co_u32_e32 v3, vcc, v1, v17, vcc
	v_cmp_gt_i64_e32 vcc, s[0:1], v[2:3]
	s_and_saveexec_b64 s[6:7], vcc
	s_cbranch_execz .LBB58_7
; %bb.13:                               ;   in Loop: Header=BB58_8 Depth=1
	v_add_u32_e32 v1, s18, v40
	v_mov_b32_e32 v2, v5
	v_mov_b32_e32 v3, v4
	v_ashrrev_i32_e32 v5, 31, v1
	v_mov_b32_e32 v9, s9
	v_add_co_u32_e32 v4, vcc, s8, v1
	v_addc_co_u32_e32 v5, vcc, v9, v5, vcc
	global_store_dwordx2 v[4:5], v[2:3], off
	s_branch .LBB58_7
.LBB58_14:                              ;   in Loop: Header=BB58_8 Depth=1
	v_cmp_lt_i32_e32 vcc, 2, v18
	s_and_saveexec_b64 s[10:11], vcc
	s_xor_b64 s[10:11], exec, s[10:11]
; %bb.15:                               ;   in Loop: Header=BB58_8 Depth=1
	v_mov_b32_e32 v10, v5
	v_mov_b32_e32 v11, v6
	v_pk_mov_b32 v[2:3], v[10:11], v[10:11] op_sel:[0,1]
	v_pk_mov_b32 v[4:5], v[12:13], v[12:13] op_sel:[0,1]
                                        ; implicit-def: $vgpr12_vgpr13
; %bb.16:                               ;   in Loop: Header=BB58_8 Depth=1
	s_andn2_saveexec_b64 s[10:11], s[10:11]
; %bb.17:                               ;   in Loop: Header=BB58_8 Depth=1
	v_mov_b32_e32 v2, v4
	v_mov_b32_e32 v3, v5
	;; [unrolled: 1-line block ×4, first 2 shown]
; %bb.18:                               ;   in Loop: Header=BB58_8 Depth=1
	s_or_b64 exec, exec, s[10:11]
	s_andn2_saveexec_b64 s[6:7], s[6:7]
	s_cbranch_execz .LBB58_10
.LBB58_19:                              ;   in Loop: Header=BB58_8 Depth=1
	v_cmp_eq_u32_e32 vcc, 1, v18
	s_and_saveexec_b64 s[10:11], vcc
; %bb.20:                               ;   in Loop: Header=BB58_8 Depth=1
	v_mov_b32_e32 v2, v3
	v_mov_b32_e32 v3, v4
	;; [unrolled: 1-line block ×4, first 2 shown]
; %bb.21:                               ;   in Loop: Header=BB58_8 Depth=1
	s_or_b64 exec, exec, s[10:11]
	s_or_b64 exec, exec, s[6:7]
	v_cmp_gt_i64_e32 vcc, s[0:1], v[16:17]
	s_and_saveexec_b64 s[6:7], vcc
	s_cbranch_execnz .LBB58_11
	s_branch .LBB58_12
.LBB58_22:
	s_endpgm
.LBB58_23:
                                        ; implicit-def: $sgpr8_sgpr9
	s_andn2_b64 vcc, exec, s[2:3]
	s_cbranch_vccz .LBB58_4
	s_branch .LBB58_5
	.section	.rodata,"a",@progbits
	.p2align	6, 0x0
	.amdhsa_kernel _ZN2at6native12_GLOBAL__N_143distribution_elementwise_grid_stride_kernelImLi2EZZZNS0_9templates4cuda32random_full_64_bits_range_kernelIPNS_17CUDAGeneratorImplEEEvRNS_18TensorIteratorBaseET_ENKUlvE_clEvENKUlvE2_clEvEUlP25hiprandStatePhilox4_32_10E_ZNS1_27distribution_nullary_kernelIlm15HIP_vector_typeIyLj2EES7_SF_ZZZNS5_IS7_EEvS9_SA_ENKSB_clEvENKSC_clEvEUlmE_EEvS9_T2_RKT3_T4_EUlimE_EEvlNS_15PhiloxCudaStateET1_SK_
		.amdhsa_group_segment_fixed_size 0
		.amdhsa_private_segment_fixed_size 0
		.amdhsa_kernarg_size 320
		.amdhsa_user_sgpr_count 6
		.amdhsa_user_sgpr_private_segment_buffer 1
		.amdhsa_user_sgpr_dispatch_ptr 0
		.amdhsa_user_sgpr_queue_ptr 0
		.amdhsa_user_sgpr_kernarg_segment_ptr 1
		.amdhsa_user_sgpr_dispatch_id 0
		.amdhsa_user_sgpr_flat_scratch_init 0
		.amdhsa_user_sgpr_kernarg_preload_length 0
		.amdhsa_user_sgpr_kernarg_preload_offset 0
		.amdhsa_user_sgpr_private_segment_size 0
		.amdhsa_uses_dynamic_stack 0
		.amdhsa_system_sgpr_private_segment_wavefront_offset 0
		.amdhsa_system_sgpr_workgroup_id_x 1
		.amdhsa_system_sgpr_workgroup_id_y 0
		.amdhsa_system_sgpr_workgroup_id_z 0
		.amdhsa_system_sgpr_workgroup_info 0
		.amdhsa_system_vgpr_workitem_id 0
		.amdhsa_next_free_vgpr 46
		.amdhsa_next_free_sgpr 24
		.amdhsa_accum_offset 48
		.amdhsa_reserve_vcc 1
		.amdhsa_reserve_flat_scratch 0
		.amdhsa_float_round_mode_32 0
		.amdhsa_float_round_mode_16_64 0
		.amdhsa_float_denorm_mode_32 3
		.amdhsa_float_denorm_mode_16_64 3
		.amdhsa_dx10_clamp 1
		.amdhsa_ieee_mode 1
		.amdhsa_fp16_overflow 0
		.amdhsa_tg_split 0
		.amdhsa_exception_fp_ieee_invalid_op 0
		.amdhsa_exception_fp_denorm_src 0
		.amdhsa_exception_fp_ieee_div_zero 0
		.amdhsa_exception_fp_ieee_overflow 0
		.amdhsa_exception_fp_ieee_underflow 0
		.amdhsa_exception_fp_ieee_inexact 0
		.amdhsa_exception_int_div_zero 0
	.end_amdhsa_kernel
	.section	.text._ZN2at6native12_GLOBAL__N_143distribution_elementwise_grid_stride_kernelImLi2EZZZNS0_9templates4cuda32random_full_64_bits_range_kernelIPNS_17CUDAGeneratorImplEEEvRNS_18TensorIteratorBaseET_ENKUlvE_clEvENKUlvE2_clEvEUlP25hiprandStatePhilox4_32_10E_ZNS1_27distribution_nullary_kernelIlm15HIP_vector_typeIyLj2EES7_SF_ZZZNS5_IS7_EEvS9_SA_ENKSB_clEvENKSC_clEvEUlmE_EEvS9_T2_RKT3_T4_EUlimE_EEvlNS_15PhiloxCudaStateET1_SK_,"axG",@progbits,_ZN2at6native12_GLOBAL__N_143distribution_elementwise_grid_stride_kernelImLi2EZZZNS0_9templates4cuda32random_full_64_bits_range_kernelIPNS_17CUDAGeneratorImplEEEvRNS_18TensorIteratorBaseET_ENKUlvE_clEvENKUlvE2_clEvEUlP25hiprandStatePhilox4_32_10E_ZNS1_27distribution_nullary_kernelIlm15HIP_vector_typeIyLj2EES7_SF_ZZZNS5_IS7_EEvS9_SA_ENKSB_clEvENKSC_clEvEUlmE_EEvS9_T2_RKT3_T4_EUlimE_EEvlNS_15PhiloxCudaStateET1_SK_,comdat
.Lfunc_end58:
	.size	_ZN2at6native12_GLOBAL__N_143distribution_elementwise_grid_stride_kernelImLi2EZZZNS0_9templates4cuda32random_full_64_bits_range_kernelIPNS_17CUDAGeneratorImplEEEvRNS_18TensorIteratorBaseET_ENKUlvE_clEvENKUlvE2_clEvEUlP25hiprandStatePhilox4_32_10E_ZNS1_27distribution_nullary_kernelIlm15HIP_vector_typeIyLj2EES7_SF_ZZZNS5_IS7_EEvS9_SA_ENKSB_clEvENKSC_clEvEUlmE_EEvS9_T2_RKT3_T4_EUlimE_EEvlNS_15PhiloxCudaStateET1_SK_, .Lfunc_end58-_ZN2at6native12_GLOBAL__N_143distribution_elementwise_grid_stride_kernelImLi2EZZZNS0_9templates4cuda32random_full_64_bits_range_kernelIPNS_17CUDAGeneratorImplEEEvRNS_18TensorIteratorBaseET_ENKUlvE_clEvENKUlvE2_clEvEUlP25hiprandStatePhilox4_32_10E_ZNS1_27distribution_nullary_kernelIlm15HIP_vector_typeIyLj2EES7_SF_ZZZNS5_IS7_EEvS9_SA_ENKSB_clEvENKSC_clEvEUlmE_EEvS9_T2_RKT3_T4_EUlimE_EEvlNS_15PhiloxCudaStateET1_SK_
                                        ; -- End function
	.section	.AMDGPU.csdata,"",@progbits
; Kernel info:
; codeLenInByte = 2176
; NumSgprs: 28
; NumVgprs: 46
; NumAgprs: 0
; TotalNumVgprs: 46
; ScratchSize: 0
; MemoryBound: 0
; FloatMode: 240
; IeeeMode: 1
; LDSByteSize: 0 bytes/workgroup (compile time only)
; SGPRBlocks: 3
; VGPRBlocks: 5
; NumSGPRsForWavesPerEU: 28
; NumVGPRsForWavesPerEU: 46
; AccumOffset: 48
; Occupancy: 8
; WaveLimiterHint : 0
; COMPUTE_PGM_RSRC2:SCRATCH_EN: 0
; COMPUTE_PGM_RSRC2:USER_SGPR: 6
; COMPUTE_PGM_RSRC2:TRAP_HANDLER: 0
; COMPUTE_PGM_RSRC2:TGID_X_EN: 1
; COMPUTE_PGM_RSRC2:TGID_Y_EN: 0
; COMPUTE_PGM_RSRC2:TGID_Z_EN: 0
; COMPUTE_PGM_RSRC2:TIDIG_COMP_CNT: 0
; COMPUTE_PGM_RSRC3_GFX90A:ACCUM_OFFSET: 11
; COMPUTE_PGM_RSRC3_GFX90A:TG_SPLIT: 0
	.section	.text._ZN2at6native12_GLOBAL__N_143distribution_elementwise_grid_stride_kernelImLi2EZZZNS0_9templates4cuda32random_full_64_bits_range_kernelIPNS_17CUDAGeneratorImplEEEvRNS_18TensorIteratorBaseET_ENKUlvE_clEvENKUlvE2_clEvEUlP25hiprandStatePhilox4_32_10E_ZNS1_27distribution_nullary_kernelIlm15HIP_vector_typeIyLj2EES7_SF_ZZZNS5_IS7_EEvS9_SA_ENKSB_clEvENKSC_clEvEUlmE_EEvS9_T2_RKT3_T4_EUlimE0_EEvlNS_15PhiloxCudaStateET1_SK_,"axG",@progbits,_ZN2at6native12_GLOBAL__N_143distribution_elementwise_grid_stride_kernelImLi2EZZZNS0_9templates4cuda32random_full_64_bits_range_kernelIPNS_17CUDAGeneratorImplEEEvRNS_18TensorIteratorBaseET_ENKUlvE_clEvENKUlvE2_clEvEUlP25hiprandStatePhilox4_32_10E_ZNS1_27distribution_nullary_kernelIlm15HIP_vector_typeIyLj2EES7_SF_ZZZNS5_IS7_EEvS9_SA_ENKSB_clEvENKSC_clEvEUlmE_EEvS9_T2_RKT3_T4_EUlimE0_EEvlNS_15PhiloxCudaStateET1_SK_,comdat
	.globl	_ZN2at6native12_GLOBAL__N_143distribution_elementwise_grid_stride_kernelImLi2EZZZNS0_9templates4cuda32random_full_64_bits_range_kernelIPNS_17CUDAGeneratorImplEEEvRNS_18TensorIteratorBaseET_ENKUlvE_clEvENKUlvE2_clEvEUlP25hiprandStatePhilox4_32_10E_ZNS1_27distribution_nullary_kernelIlm15HIP_vector_typeIyLj2EES7_SF_ZZZNS5_IS7_EEvS9_SA_ENKSB_clEvENKSC_clEvEUlmE_EEvS9_T2_RKT3_T4_EUlimE0_EEvlNS_15PhiloxCudaStateET1_SK_ ; -- Begin function _ZN2at6native12_GLOBAL__N_143distribution_elementwise_grid_stride_kernelImLi2EZZZNS0_9templates4cuda32random_full_64_bits_range_kernelIPNS_17CUDAGeneratorImplEEEvRNS_18TensorIteratorBaseET_ENKUlvE_clEvENKUlvE2_clEvEUlP25hiprandStatePhilox4_32_10E_ZNS1_27distribution_nullary_kernelIlm15HIP_vector_typeIyLj2EES7_SF_ZZZNS5_IS7_EEvS9_SA_ENKSB_clEvENKSC_clEvEUlmE_EEvS9_T2_RKT3_T4_EUlimE0_EEvlNS_15PhiloxCudaStateET1_SK_
	.p2align	8
	.type	_ZN2at6native12_GLOBAL__N_143distribution_elementwise_grid_stride_kernelImLi2EZZZNS0_9templates4cuda32random_full_64_bits_range_kernelIPNS_17CUDAGeneratorImplEEEvRNS_18TensorIteratorBaseET_ENKUlvE_clEvENKUlvE2_clEvEUlP25hiprandStatePhilox4_32_10E_ZNS1_27distribution_nullary_kernelIlm15HIP_vector_typeIyLj2EES7_SF_ZZZNS5_IS7_EEvS9_SA_ENKSB_clEvENKSC_clEvEUlmE_EEvS9_T2_RKT3_T4_EUlimE0_EEvlNS_15PhiloxCudaStateET1_SK_,@function
_ZN2at6native12_GLOBAL__N_143distribution_elementwise_grid_stride_kernelImLi2EZZZNS0_9templates4cuda32random_full_64_bits_range_kernelIPNS_17CUDAGeneratorImplEEEvRNS_18TensorIteratorBaseET_ENKUlvE_clEvENKUlvE2_clEvEUlP25hiprandStatePhilox4_32_10E_ZNS1_27distribution_nullary_kernelIlm15HIP_vector_typeIyLj2EES7_SF_ZZZNS5_IS7_EEvS9_SA_ENKSB_clEvENKSC_clEvEUlmE_EEvS9_T2_RKT3_T4_EUlimE0_EEvlNS_15PhiloxCudaStateET1_SK_: ; @_ZN2at6native12_GLOBAL__N_143distribution_elementwise_grid_stride_kernelImLi2EZZZNS0_9templates4cuda32random_full_64_bits_range_kernelIPNS_17CUDAGeneratorImplEEEvRNS_18TensorIteratorBaseET_ENKUlvE_clEvENKUlvE2_clEvEUlP25hiprandStatePhilox4_32_10E_ZNS1_27distribution_nullary_kernelIlm15HIP_vector_typeIyLj2EES7_SF_ZZZNS5_IS7_EEvS9_SA_ENKSB_clEvENKSC_clEvEUlmE_EEvS9_T2_RKT3_T4_EUlimE0_EEvlNS_15PhiloxCudaStateET1_SK_
; %bb.0:
	s_load_dword s2, s[4:5], 0x20
	s_load_dwordx2 s[0:1], s[4:5], 0x10
	s_load_dwordx4 s[24:27], s[4:5], 0x0
	s_waitcnt lgkmcnt(0)
	s_bitcmp0_b32 s2, 0
	s_mov_b32 s2, 0
	v_pk_mov_b32 v[2:3], s[0:1], s[0:1] op_sel:[0,1]
	v_pk_mov_b32 v[12:13], s[26:27], s[26:27] op_sel:[0,1]
	s_cbranch_scc1 .LBB59_2
; %bb.1:
	v_pk_mov_b32 v[2:3], s[0:1], s[0:1] op_sel:[0,1]
	flat_load_dwordx2 v[2:3], v[2:3]
	v_pk_mov_b32 v[4:5], s[26:27], s[26:27] op_sel:[0,1]
	flat_load_dwordx2 v[12:13], v[4:5]
	s_load_dwordx2 s[0:1], s[4:5], 0x18
	s_waitcnt lgkmcnt(0)
	v_mov_b32_e32 v1, s1
	s_waitcnt vmcnt(0)
	v_add_co_u32_e32 v2, vcc, s0, v2
	v_addc_co_u32_e32 v3, vcc, v3, v1, vcc
.LBB59_2:
	s_load_dword s0, s[4:5], 0x154
	s_load_dword s7, s[4:5], 0x148
	s_waitcnt lgkmcnt(0)
	s_and_b32 s8, s0, 0xffff
	s_add_u32 s9, s24, -1
	s_mul_i32 s33, s7, s8
	s_addc_u32 s3, s25, -1
	s_lshl_b32 s58, s33, 1
	s_cmp_lg_u64 s[2:3], 0
	s_mov_b64 s[0:1], -1
	s_cbranch_scc0 .LBB59_51
; %bb.3:
	v_cvt_f32_u32_e32 v1, s58
	v_cvt_f32_ubyte0_e32 v4, 0
	s_sub_u32 s2, 0, s58
	s_subb_u32 s10, 0, 0
	v_madmk_f32 v1, v4, 0x4f800000, v1
	v_rcp_f32_e32 v1, v1
	v_mul_f32_e32 v1, 0x5f7ffffc, v1
	v_mul_f32_e32 v4, 0x2f800000, v1
	v_trunc_f32_e32 v4, v4
	v_madmk_f32 v1, v4, 0xcf800000, v1
	v_cvt_u32_f32_e32 v4, v4
	v_cvt_u32_f32_e32 v1, v1
	v_readfirstlane_b32 s11, v4
	v_readfirstlane_b32 s12, v1
	s_mul_i32 s13, s2, s11
	s_mul_hi_u32 s15, s2, s12
	s_mul_i32 s14, s10, s12
	s_add_i32 s13, s15, s13
	s_add_i32 s13, s13, s14
	s_mul_i32 s16, s2, s12
	s_mul_hi_u32 s14, s12, s13
	s_mul_i32 s15, s12, s13
	s_mul_hi_u32 s12, s12, s16
	s_add_u32 s12, s12, s15
	s_addc_u32 s14, 0, s14
	s_mul_hi_u32 s17, s11, s16
	s_mul_i32 s16, s11, s16
	s_add_u32 s12, s12, s16
	s_mul_hi_u32 s15, s11, s13
	s_addc_u32 s12, s14, s17
	s_addc_u32 s14, s15, 0
	s_mul_i32 s13, s11, s13
	s_add_u32 s12, s12, s13
	s_addc_u32 s13, 0, s14
	v_add_co_u32_e32 v1, vcc, s12, v1
	s_cmp_lg_u64 vcc, 0
	s_addc_u32 s11, s11, s13
	v_readfirstlane_b32 s13, v1
	s_mul_i32 s12, s2, s11
	s_mul_hi_u32 s14, s2, s13
	s_add_i32 s12, s14, s12
	s_mul_i32 s10, s10, s13
	s_add_i32 s12, s12, s10
	s_mul_i32 s2, s2, s13
	s_mul_hi_u32 s14, s11, s2
	s_mul_i32 s15, s11, s2
	s_mul_i32 s17, s13, s12
	s_mul_hi_u32 s2, s13, s2
	s_mul_hi_u32 s16, s13, s12
	s_add_u32 s2, s2, s17
	s_addc_u32 s13, 0, s16
	s_add_u32 s2, s2, s15
	s_mul_hi_u32 s10, s11, s12
	s_addc_u32 s2, s13, s14
	s_addc_u32 s10, s10, 0
	s_mul_i32 s12, s11, s12
	s_add_u32 s2, s2, s12
	s_addc_u32 s10, 0, s10
	v_add_co_u32_e32 v1, vcc, s2, v1
	s_cmp_lg_u64 vcc, 0
	s_addc_u32 s12, s11, s10
	s_ashr_i32 s10, s3, 31
	s_add_u32 s2, s9, s10
	s_mov_b32 s11, s10
	s_addc_u32 s3, s3, s10
	s_xor_b64 s[2:3], s[2:3], s[10:11]
	v_readfirstlane_b32 s15, v1
	s_mul_i32 s14, s2, s12
	s_mul_hi_u32 s16, s2, s15
	s_mul_hi_u32 s13, s2, s12
	s_add_u32 s14, s16, s14
	s_addc_u32 s13, 0, s13
	s_mul_hi_u32 s17, s3, s15
	s_mul_i32 s15, s3, s15
	s_add_u32 s14, s14, s15
	s_mul_hi_u32 s16, s3, s12
	s_addc_u32 s13, s13, s17
	s_addc_u32 s14, s16, 0
	s_mul_i32 s12, s3, s12
	s_add_u32 s12, s13, s12
	s_addc_u32 s13, 0, s14
	s_add_u32 s14, s12, 1
	s_addc_u32 s15, s13, 0
	s_add_u32 s16, s12, 2
	s_mul_i32 s18, s58, s13
	s_mul_hi_u32 s19, s58, s12
	s_addc_u32 s17, s13, 0
	s_add_i32 s19, s19, s18
	s_mul_i32 s18, s58, s12
	v_mov_b32_e32 v1, s18
	v_sub_co_u32_e32 v1, vcc, s2, v1
	s_cmp_lg_u64 vcc, 0
	s_subb_u32 s2, s3, s19
	v_subrev_co_u32_e32 v4, vcc, s58, v1
	s_cmp_lg_u64 vcc, 0
	s_subb_u32 s3, s2, 0
	v_readfirstlane_b32 s18, v4
	s_cmp_ge_u32 s18, s58
	s_cselect_b32 s18, -1, 0
	s_cmp_eq_u32 s3, 0
	s_cselect_b32 s3, s18, -1
	s_cmp_lg_u32 s3, 0
	s_cselect_b32 s3, s17, s15
	v_readfirstlane_b32 s15, v1
	s_cselect_b32 s14, s16, s14
	s_cmp_ge_u32 s15, s58
	s_cselect_b32 s15, -1, 0
	s_cmp_eq_u32 s2, 0
	s_cselect_b32 s2, s15, -1
	s_cmp_lg_u32 s2, 0
	s_cselect_b32 s3, s3, s13
	s_cselect_b32 s2, s14, s12
	s_xor_b64 s[2:3], s[2:3], s[10:11]
	s_sub_u32 s2, s2, s10
	s_subb_u32 s3, s3, s10
	s_cbranch_execnz .LBB59_5
.LBB59_4:
	v_cvt_f32_u32_e32 v1, s58
	s_sub_i32 s0, 0, s58
	s_mov_b32 s3, 0
	v_rcp_iflag_f32_e32 v1, v1
	v_mul_f32_e32 v1, 0x4f7ffffe, v1
	v_cvt_u32_f32_e32 v1, v1
	v_readfirstlane_b32 s1, v1
	s_mul_i32 s0, s0, s1
	s_mul_hi_u32 s0, s1, s0
	s_add_i32 s1, s1, s0
	s_mul_hi_u32 s0, s9, s1
	s_mul_i32 s2, s0, s58
	s_sub_i32 s2, s9, s2
	s_add_i32 s1, s0, 1
	s_sub_i32 s9, s2, s58
	s_cmp_ge_u32 s2, s58
	s_cselect_b32 s0, s1, s0
	s_cselect_b32 s2, s9, s2
	s_add_i32 s1, s0, 1
	s_cmp_ge_u32 s2, s58
	s_cselect_b32 s2, s1, s0
.LBB59_5:
	v_mov_b32_e32 v1, 0
	v_mov_b32_e32 v4, s6
	v_mad_u64_u32 v[14:15], s[0:1], s8, v4, v[0:1]
	s_add_u32 s0, s2, 1
	s_addc_u32 s1, s3, 0
	s_mul_hi_u32 s2, s7, s8
	s_mul_i32 s1, s33, s1
	s_mul_hi_u32 s3, s33, s0
	s_add_i32 s1, s3, s1
	s_mul_i32 s2, s2, s0
	s_add_i32 s1, s1, s2
	s_mul_i32 s0, s33, s0
	s_lshl_b64 s[26:27], s[0:1], 1
	v_cmp_gt_i64_e32 vcc, s[26:27], v[14:15]
	s_and_saveexec_b64 s[0:1], vcc
	s_cbranch_execz .LBB59_50
; %bb.6:
	s_mov_b32 s0, 0x5384540f
	v_mov_b32_e32 v0, v13
	v_add_co_u32_e32 v22, vcc, s0, v12
	s_mov_b32 s0, 0x646e171e
	v_add_co_u32_e32 v23, vcc, s0, v0
	s_mov_b32 s0, 0x1715609d
	;; [unrolled: 2-line block ×6, first 2 shown]
	v_alignbit_b32 v29, v3, v2, 2
	s_mov_b32 s60, 0xd2511f53
	v_add_co_u32_e32 v28, vcc, s0, v12
	v_mad_u64_u32 v[4:5], s[0:1], v29, s60, 0
	v_xor_b32_e32 v1, v5, v13
	v_xor_b32_e32 v1, v1, v15
	s_mov_b32 s61, 0xcd9e8d57
	v_mad_u64_u32 v[6:7], s[0:1], v1, s61, 0
	v_xor_b32_e32 v1, v28, v7
	v_mad_u64_u32 v[8:9], s[0:1], v14, s61, 0
	v_and_b32_e32 v18, 3, v2
	v_xor_b32_e32 v1, v1, v8
	v_xor_b32_e32 v2, v12, v9
	v_lshrrev_b32_e32 v30, 2, v3
	v_mad_u64_u32 v[10:11], s[0:1], v1, s60, 0
	v_xor_b32_e32 v2, v2, v30
	v_xor_b32_e32 v1, v27, v11
	v_mad_u64_u32 v[2:3], s[0:1], v2, s60, 0
	v_xor_b32_e32 v1, v1, v2
	v_mad_u64_u32 v[8:9], s[0:1], v1, s61, 0
	s_mov_b32 s0, 0xbb67ae85
	v_add_co_u32_e32 v31, vcc, s0, v0
	v_xor_b32_e32 v2, v31, v3
	v_xor_b32_e32 v2, v2, v4
	v_xor_b32_e32 v1, v26, v9
	v_mad_u64_u32 v[2:3], s[0:1], v2, s61, 0
	v_xor_b32_e32 v1, v1, v2
	v_mad_u64_u32 v[4:5], s[0:1], v1, s60, 0
	s_mov_b32 s0, 0x3c6ef372
	v_add_co_u32_e32 v32, vcc, s0, v12
	v_xor_b32_e32 v2, v32, v3
	;; [unrolled: 8-line block ×6, first 2 shown]
	v_add_co_u32_e32 v21, vcc, 0xdb3d7428, v0
	v_xor_b32_e32 v2, v2, v6
	v_xor_b32_e32 v1, v21, v5
	v_mad_u64_u32 v[2:3], s[0:1], v2, s60, 0
	v_xor_b32_e32 v1, v1, v2
	v_mad_u64_u32 v[6:7], s[0:1], v1, s61, 0
	s_mov_b32 s0, 0x1fd5c5a3
	v_add_co_u32_e32 v37, vcc, s0, v0
	v_xor_b32_e32 v0, v37, v3
	v_xor_b32_e32 v0, v0, v10
	v_mad_u64_u32 v[0:1], s[0:1], v0, s61, 0
	s_mov_b32 s0, 0xf1bbcdc8
	s_load_dwordx8 s[8:15], s[4:5], 0x30
	v_add_co_u32_e32 v38, vcc, s0, v12
	v_xor_b32_e32 v1, v38, v1
	v_xor_b32_e32 v1, v1, v8
	s_add_u32 s34, s4, 48
	v_mad_u64_u32 v[8:9], s[0:1], v1, s60, 0
	s_addc_u32 s35, s5, 0
	s_waitcnt lgkmcnt(0)
	s_add_i32 s0, s8, -1
	s_cmp_gt_u32 s0, 1
	s_cselect_b64 s[36:37], -1, 0
	s_cmp_lg_u32 s8, 0
	s_cselect_b64 s[38:39], -1, 0
	s_add_u32 s40, s4, 0xf4
	s_addc_u32 s41, s5, 0
	s_min_u32 s1, s0, 15
	s_cmp_gt_u32 s8, 1
	s_cselect_b64 s[42:43], -1, 0
	s_add_i32 s1, s1, 1
	s_mov_b32 s8, s13
	s_load_dwordx2 s[44:45], s[4:5], 0xf4
	s_load_dwordx2 s[46:47], s[4:5], 0x138
	s_and_b32 s13, s1, 3
	s_cmp_lg_u32 s0, 2
	s_cselect_b64 s[48:49], -1, 0
	s_and_b32 s15, s1, 28
	v_add_u32_e32 v19, 0x8ff34781, v12
	v_add_u32_e32 v20, 0x96a522ad, v13
	v_xor_b32_e32 v0, v7, v0
	v_xor_b32_e32 v1, v9, v4
	s_cmp_lg_u32 s13, 0
	s_mov_b32 s59, 0
	v_xor_b32_e32 v0, v19, v0
	v_xor_b32_e32 v2, v20, v1
	v_mov_b32_e32 v1, v6
	v_mov_b32_e32 v3, v8
	s_mov_b64 s[50:51], 0
	s_cselect_b64 s[52:53], -1, 0
	v_mov_b32_e32 v39, v14
	v_mov_b32_e32 v40, v15
	s_branch .LBB59_9
.LBB59_7:                               ;   in Loop: Header=BB59_9 Depth=1
	v_mov_b32_e32 v0, v3
	v_mov_b32_e32 v1, v2
	s_waitcnt lgkmcnt(0)
	global_store_dwordx2 v8, v[0:1], s[46:47]
.LBB59_8:                               ;   in Loop: Header=BB59_9 Depth=1
	s_or_b64 exec, exec, s[28:29]
	v_add_co_u32_e32 v14, vcc, s58, v14
	v_addc_co_u32_e32 v15, vcc, 0, v15, vcc
	v_mov_b32_e32 v7, v16
	v_cmp_le_i64_e32 vcc, s[26:27], v[14:15]
	v_pk_mov_b32 v[0:1], v[4:5], v[4:5] op_sel:[0,1]
	s_or_b64 s[50:51], vcc, s[50:51]
	v_pk_mov_b32 v[2:3], v[6:7], v[6:7] op_sel:[0,1]
	s_waitcnt lgkmcnt(0)
	s_barrier
	s_andn2_b64 exec, exec, s[50:51]
	s_cbranch_execz .LBB59_50
.LBB59_9:                               ; =>This Loop Header: Depth=1
                                        ;     Child Loop BB59_24 Depth 2
                                        ;     Child Loop BB59_30 Depth 2
	;; [unrolled: 1-line block ×4, first 2 shown]
	v_add_co_u32_e32 v29, vcc, 1, v29
	v_cndmask_b32_e64 v4, 0, 1, vcc
	v_addc_co_u32_e32 v30, vcc, 0, v30, vcc
	v_cmp_eq_u32_e32 vcc, 0, v30
	v_cndmask_b32_e32 v4, 0, v4, vcc
	v_add_u32_e32 v39, v4, v39
	v_cmp_eq_u32_e32 vcc, 0, v39
	v_cndmask_b32_e32 v4, 0, v4, vcc
	v_add_u32_e32 v40, v4, v40
	v_mad_u64_u32 v[4:5], s[0:1], v29, s60, 0
	v_mad_u64_u32 v[6:7], s[0:1], v39, s61, 0
	v_xor_b32_e32 v5, v5, v13
	v_xor_b32_e32 v7, v7, v12
	v_xor_b32_e32 v5, v40, v5
	v_xor_b32_e32 v7, v30, v7
	v_mad_u64_u32 v[10:11], s[0:1], v5, s61, 0
	v_mad_u64_u32 v[8:9], s[0:1], v7, s60, 0
	v_xor_b32_e32 v5, v28, v11
	v_xor_b32_e32 v5, v5, v6
	v_xor_b32_e32 v6, v31, v9
	v_xor_b32_e32 v6, v6, v4
	;; [unrolled: 6-line block ×10, first 2 shown]
	v_mov_b32_e32 v5, v10
	v_mov_b32_e32 v6, v11
	v_cmp_lt_i32_e32 vcc, 1, v18
	s_and_saveexec_b64 s[0:1], vcc
	s_xor_b64 s[0:1], exec, s[0:1]
	s_cbranch_execz .LBB59_15
; %bb.10:                               ;   in Loop: Header=BB59_9 Depth=1
	v_cmp_lt_i32_e32 vcc, 2, v18
	s_and_saveexec_b64 s[2:3], vcc
	s_xor_b64 s[2:3], exec, s[2:3]
; %bb.11:                               ;   in Loop: Header=BB59_9 Depth=1
	v_mov_b32_e32 v8, v3
	v_mov_b32_e32 v9, v4
	v_pk_mov_b32 v[0:1], v[8:9], v[8:9] op_sel:[0,1]
	v_pk_mov_b32 v[2:3], v[10:11], v[10:11] op_sel:[0,1]
                                        ; implicit-def: $vgpr10_vgpr11
; %bb.12:                               ;   in Loop: Header=BB59_9 Depth=1
	s_andn2_saveexec_b64 s[2:3], s[2:3]
; %bb.13:                               ;   in Loop: Header=BB59_9 Depth=1
	v_mov_b32_e32 v0, v2
	v_mov_b32_e32 v1, v3
	;; [unrolled: 1-line block ×4, first 2 shown]
; %bb.14:                               ;   in Loop: Header=BB59_9 Depth=1
	s_or_b64 exec, exec, s[2:3]
.LBB59_15:                              ;   in Loop: Header=BB59_9 Depth=1
	s_andn2_saveexec_b64 s[0:1], s[0:1]
	s_cbranch_execz .LBB59_19
; %bb.16:                               ;   in Loop: Header=BB59_9 Depth=1
	v_cmp_eq_u32_e32 vcc, 1, v18
	s_and_saveexec_b64 s[2:3], vcc
; %bb.17:                               ;   in Loop: Header=BB59_9 Depth=1
	v_mov_b32_e32 v0, v1
	v_mov_b32_e32 v1, v2
	;; [unrolled: 1-line block ×4, first 2 shown]
; %bb.18:                               ;   in Loop: Header=BB59_9 Depth=1
	s_or_b64 exec, exec, s[2:3]
.LBB59_19:                              ;   in Loop: Header=BB59_9 Depth=1
	s_or_b64 exec, exec, s[0:1]
	v_cndmask_b32_e64 v7, 0, 1, s[36:37]
	v_cmp_gt_i64_e32 vcc, s[24:25], v[14:15]
	v_cmp_ne_u32_e64 s[0:1], 1, v7
	s_and_saveexec_b64 s[2:3], vcc
	s_cbranch_execz .LBB59_35
; %bb.20:                               ;   in Loop: Header=BB59_9 Depth=1
	s_and_b64 vcc, exec, s[0:1]
	s_cbranch_vccnz .LBB59_26
; %bb.21:                               ;   in Loop: Header=BB59_9 Depth=1
	s_andn2_b64 vcc, exec, s[38:39]
	s_cbranch_vccnz .LBB59_27
; %bb.22:                               ;   in Loop: Header=BB59_9 Depth=1
	s_mov_b32 s6, 0
	s_andn2_b64 vcc, exec, s[48:49]
	v_mov_b32_e32 v8, 0
	s_cbranch_vccnz .LBB59_28
; %bb.23:                               ;   in Loop: Header=BB59_9 Depth=1
	s_mov_b32 s62, 0
	v_mov_b32_e32 v8, 0
	s_mov_b64 s[54:55], s[34:35]
	s_mov_b64 s[56:57], s[40:41]
	v_mov_b32_e32 v7, v14
.LBB59_24:                              ;   Parent Loop BB59_9 Depth=1
                                        ; =>  This Inner Loop Header: Depth=2
	s_load_dwordx8 s[16:23], s[54:55], 0x4
	s_load_dwordx4 s[4:7], s[54:55], 0x24
	s_load_dwordx4 s[28:31], s[56:57], 0x0
	s_add_u32 s54, s54, 48
	s_addc_u32 s55, s55, 0
	s_waitcnt lgkmcnt(0)
	v_mul_hi_u32 v9, s17, v7
	v_add_u32_e32 v9, v7, v9
	v_lshrrev_b32_e32 v9, s18, v9
	v_mul_lo_u32 v10, v9, s16
	v_mul_hi_u32 v11, s20, v9
	v_sub_u32_e32 v7, v7, v10
	v_add_u32_e32 v10, v9, v11
	v_lshrrev_b32_e32 v10, s21, v10
	v_mul_lo_u32 v11, v10, s19
	v_mul_hi_u32 v17, s23, v10
	v_sub_u32_e32 v9, v9, v11
	v_add_u32_e32 v11, v10, v17
	v_mul_lo_u32 v7, v7, s28
	v_mul_lo_u32 v9, v9, s29
	v_lshrrev_b32_e32 v11, s4, v11
	v_add3_u32 v8, v7, v8, v9
	v_mul_lo_u32 v7, v11, s22
	v_mul_hi_u32 v9, s6, v11
	v_sub_u32_e32 v7, v10, v7
	v_add_u32_e32 v9, v11, v9
	v_mul_lo_u32 v10, v7, s30
	v_lshrrev_b32_e32 v7, s7, v9
	s_add_i32 s62, s62, 4
	v_mul_lo_u32 v9, v7, s5
	s_add_u32 s56, s56, 16
	v_sub_u32_e32 v9, v11, v9
	s_addc_u32 s57, s57, 0
	v_mul_lo_u32 v9, v9, s31
	s_cmp_lg_u32 s15, s62
	v_add3_u32 v8, v10, v8, v9
	s_cbranch_scc1 .LBB59_24
; %bb.25:                               ;   in Loop: Header=BB59_9 Depth=1
	s_mov_b32 s6, s15
	s_andn2_b64 vcc, exec, s[52:53]
	s_cbranch_vccz .LBB59_29
	s_branch .LBB59_31
.LBB59_26:                              ;   in Loop: Header=BB59_9 Depth=1
                                        ; implicit-def: $vgpr8
	s_branch .LBB59_32
.LBB59_27:                              ;   in Loop: Header=BB59_9 Depth=1
	v_mov_b32_e32 v8, 0
	s_branch .LBB59_31
.LBB59_28:                              ;   in Loop: Header=BB59_9 Depth=1
	v_mov_b32_e32 v7, v14
	s_andn2_b64 vcc, exec, s[52:53]
	s_cbranch_vccnz .LBB59_31
.LBB59_29:                              ;   in Loop: Header=BB59_9 Depth=1
	s_lshl_b32 s4, s6, 2
	s_add_u32 s4, s40, s4
	s_addc_u32 s5, s41, 0
	s_mul_i32 s6, s6, 12
	s_add_u32 s6, s34, s6
	s_addc_u32 s7, s35, 0
	s_mov_b32 s16, s13
.LBB59_30:                              ;   Parent Loop BB59_9 Depth=1
                                        ; =>  This Inner Loop Header: Depth=2
	s_load_dwordx2 s[18:19], s[6:7], 0x4
	s_load_dword s17, s[6:7], 0xc
	s_load_dword s20, s[4:5], 0x0
	s_add_u32 s6, s6, 12
	s_addc_u32 s7, s7, 0
	s_waitcnt lgkmcnt(0)
	v_mul_hi_u32 v9, s19, v7
	v_add_u32_e32 v9, v7, v9
	v_lshrrev_b32_e32 v9, s17, v9
	s_add_u32 s4, s4, 4
	v_mul_lo_u32 v10, v9, s18
	s_addc_u32 s5, s5, 0
	s_add_i32 s16, s16, -1
	v_sub_u32_e32 v10, v7, v10
	s_cmp_lg_u32 s16, 0
	v_mov_b32_e32 v7, v9
	v_mad_u64_u32 v[8:9], s[18:19], v10, s20, v[8:9]
	s_cbranch_scc1 .LBB59_30
.LBB59_31:                              ;   in Loop: Header=BB59_9 Depth=1
	s_cbranch_execnz .LBB59_34
.LBB59_32:                              ;   in Loop: Header=BB59_9 Depth=1
	v_mul_hi_u32 v7, v14, s10
	v_add_u32_e32 v7, v7, v14
	v_lshrrev_b32_e32 v7, s11, v7
	v_mul_lo_u32 v8, v7, s9
	v_sub_u32_e32 v8, v14, v8
	s_andn2_b64 vcc, exec, s[42:43]
	s_waitcnt lgkmcnt(0)
	v_mul_lo_u32 v8, v8, s44
	s_cbranch_vccnz .LBB59_34
; %bb.33:                               ;   in Loop: Header=BB59_9 Depth=1
	v_mul_hi_u32 v9, s8, v7
	v_add_u32_e32 v9, v7, v9
	v_lshrrev_b32_e32 v9, s14, v9
	v_mul_lo_u32 v9, v9, s12
	v_sub_u32_e32 v7, v7, v9
	v_mad_u64_u32 v[8:9], s[4:5], v7, s45, v[8:9]
.LBB59_34:                              ;   in Loop: Header=BB59_9 Depth=1
	v_mov_b32_e32 v10, v1
	v_mov_b32_e32 v11, v0
	s_waitcnt lgkmcnt(0)
	global_store_dwordx2 v8, v[10:11], s[46:47]
.LBB59_35:                              ;   in Loop: Header=BB59_9 Depth=1
	s_or_b64 exec, exec, s[2:3]
	v_mov_b32_e32 v1, s59
	v_add_co_u32_e32 v0, vcc, s33, v14
	v_addc_co_u32_e32 v1, vcc, v15, v1, vcc
	v_cmp_gt_i64_e32 vcc, s[24:25], v[0:1]
	s_and_saveexec_b64 s[28:29], vcc
	s_cbranch_execz .LBB59_8
; %bb.36:                               ;   in Loop: Header=BB59_9 Depth=1
	s_and_b64 vcc, exec, s[0:1]
	s_cbranch_vccnz .LBB59_42
; %bb.37:                               ;   in Loop: Header=BB59_9 Depth=1
	s_andn2_b64 vcc, exec, s[38:39]
	s_cbranch_vccnz .LBB59_43
; %bb.38:                               ;   in Loop: Header=BB59_9 Depth=1
	s_mov_b32 s2, 0
	s_andn2_b64 vcc, exec, s[48:49]
	v_mov_b32_e32 v8, 0
	s_cbranch_vccnz .LBB59_44
; %bb.39:                               ;   in Loop: Header=BB59_9 Depth=1
	s_mov_b32 s56, 0
	v_mov_b32_e32 v8, 0
	s_mov_b64 s[30:31], s[34:35]
	s_mov_b64 s[54:55], s[40:41]
	v_mov_b32_e32 v1, v0
.LBB59_40:                              ;   Parent Loop BB59_9 Depth=1
                                        ; =>  This Inner Loop Header: Depth=2
	s_load_dwordx8 s[0:7], s[30:31], 0x4
	s_load_dwordx4 s[16:19], s[30:31], 0x24
	s_load_dwordx4 s[20:23], s[54:55], 0x0
	s_add_u32 s30, s30, 48
	s_addc_u32 s31, s31, 0
	s_waitcnt lgkmcnt(0)
	v_mul_hi_u32 v7, s1, v1
	v_add_u32_e32 v7, v1, v7
	v_lshrrev_b32_e32 v7, s2, v7
	v_mul_lo_u32 v9, v7, s0
	v_mul_hi_u32 v10, s4, v7
	v_sub_u32_e32 v1, v1, v9
	v_add_u32_e32 v9, v7, v10
	v_lshrrev_b32_e32 v9, s5, v9
	v_mul_lo_u32 v10, v9, s3
	v_mul_hi_u32 v11, s7, v9
	v_sub_u32_e32 v7, v7, v10
	v_add_u32_e32 v10, v9, v11
	v_mul_lo_u32 v1, v1, s20
	v_mul_lo_u32 v7, v7, s21
	v_lshrrev_b32_e32 v10, s16, v10
	v_add3_u32 v7, v1, v8, v7
	v_mul_lo_u32 v1, v10, s6
	v_mul_hi_u32 v8, s18, v10
	v_sub_u32_e32 v1, v9, v1
	v_add_u32_e32 v8, v10, v8
	v_mul_lo_u32 v9, v1, s22
	v_lshrrev_b32_e32 v1, s19, v8
	s_add_i32 s56, s56, 4
	v_mul_lo_u32 v8, v1, s17
	s_add_u32 s54, s54, 16
	v_sub_u32_e32 v8, v10, v8
	s_addc_u32 s55, s55, 0
	v_mul_lo_u32 v8, v8, s23
	s_cmp_eq_u32 s15, s56
	v_add3_u32 v8, v9, v7, v8
	s_cbranch_scc0 .LBB59_40
; %bb.41:                               ;   in Loop: Header=BB59_9 Depth=1
	s_mov_b32 s2, s15
	s_andn2_b64 vcc, exec, s[52:53]
	s_cbranch_vccz .LBB59_45
	s_branch .LBB59_47
.LBB59_42:                              ;   in Loop: Header=BB59_9 Depth=1
                                        ; implicit-def: $vgpr8
	s_branch .LBB59_48
.LBB59_43:                              ;   in Loop: Header=BB59_9 Depth=1
	v_mov_b32_e32 v8, 0
	s_branch .LBB59_47
.LBB59_44:                              ;   in Loop: Header=BB59_9 Depth=1
	v_mov_b32_e32 v1, v0
	s_andn2_b64 vcc, exec, s[52:53]
	s_cbranch_vccnz .LBB59_47
.LBB59_45:                              ;   in Loop: Header=BB59_9 Depth=1
	s_lshl_b32 s0, s2, 2
	s_add_u32 s0, s40, s0
	s_addc_u32 s1, s41, 0
	s_mul_i32 s2, s2, 12
	s_add_u32 s2, s34, s2
	s_addc_u32 s3, s35, 0
	s_mov_b32 s4, s13
.LBB59_46:                              ;   Parent Loop BB59_9 Depth=1
                                        ; =>  This Inner Loop Header: Depth=2
	s_load_dwordx2 s[6:7], s[2:3], 0x4
	s_load_dword s5, s[2:3], 0xc
	s_load_dword s16, s[0:1], 0x0
	s_add_u32 s2, s2, 12
	s_addc_u32 s3, s3, 0
	s_waitcnt lgkmcnt(0)
	v_mul_hi_u32 v7, s7, v1
	v_add_u32_e32 v7, v1, v7
	v_lshrrev_b32_e32 v7, s5, v7
	s_add_u32 s0, s0, 4
	v_mul_lo_u32 v9, v7, s6
	s_addc_u32 s1, s1, 0
	s_add_i32 s4, s4, -1
	v_sub_u32_e32 v9, v1, v9
	s_cmp_lg_u32 s4, 0
	v_mov_b32_e32 v1, v7
	v_mad_u64_u32 v[8:9], s[6:7], v9, s16, v[8:9]
	s_cbranch_scc1 .LBB59_46
.LBB59_47:                              ;   in Loop: Header=BB59_9 Depth=1
	s_cbranch_execnz .LBB59_7
.LBB59_48:                              ;   in Loop: Header=BB59_9 Depth=1
	v_mul_hi_u32 v1, v0, s10
	v_add_u32_e32 v1, v1, v0
	v_lshrrev_b32_e32 v1, s11, v1
	v_mul_lo_u32 v7, v1, s9
	v_sub_u32_e32 v0, v0, v7
	s_andn2_b64 vcc, exec, s[42:43]
	s_waitcnt lgkmcnt(0)
	v_mul_lo_u32 v8, v0, s44
	s_cbranch_vccnz .LBB59_7
; %bb.49:                               ;   in Loop: Header=BB59_9 Depth=1
	v_mul_hi_u32 v0, s8, v1
	v_add_u32_e32 v0, v1, v0
	v_lshrrev_b32_e32 v0, s14, v0
	v_mul_lo_u32 v0, v0, s12
	v_sub_u32_e32 v0, v1, v0
	v_mad_u64_u32 v[8:9], s[0:1], v0, s45, v[8:9]
	s_branch .LBB59_7
.LBB59_50:
	s_endpgm
.LBB59_51:
                                        ; implicit-def: $sgpr2_sgpr3
	s_andn2_b64 vcc, exec, s[0:1]
	s_cbranch_vccz .LBB59_4
	s_branch .LBB59_5
	.section	.rodata,"a",@progbits
	.p2align	6, 0x0
	.amdhsa_kernel _ZN2at6native12_GLOBAL__N_143distribution_elementwise_grid_stride_kernelImLi2EZZZNS0_9templates4cuda32random_full_64_bits_range_kernelIPNS_17CUDAGeneratorImplEEEvRNS_18TensorIteratorBaseET_ENKUlvE_clEvENKUlvE2_clEvEUlP25hiprandStatePhilox4_32_10E_ZNS1_27distribution_nullary_kernelIlm15HIP_vector_typeIyLj2EES7_SF_ZZZNS5_IS7_EEvS9_SA_ENKSB_clEvENKSC_clEvEUlmE_EEvS9_T2_RKT3_T4_EUlimE0_EEvlNS_15PhiloxCudaStateET1_SK_
		.amdhsa_group_segment_fixed_size 0
		.amdhsa_private_segment_fixed_size 0
		.amdhsa_kernarg_size 584
		.amdhsa_user_sgpr_count 6
		.amdhsa_user_sgpr_private_segment_buffer 1
		.amdhsa_user_sgpr_dispatch_ptr 0
		.amdhsa_user_sgpr_queue_ptr 0
		.amdhsa_user_sgpr_kernarg_segment_ptr 1
		.amdhsa_user_sgpr_dispatch_id 0
		.amdhsa_user_sgpr_flat_scratch_init 0
		.amdhsa_user_sgpr_kernarg_preload_length 0
		.amdhsa_user_sgpr_kernarg_preload_offset 0
		.amdhsa_user_sgpr_private_segment_size 0
		.amdhsa_uses_dynamic_stack 0
		.amdhsa_system_sgpr_private_segment_wavefront_offset 0
		.amdhsa_system_sgpr_workgroup_id_x 1
		.amdhsa_system_sgpr_workgroup_id_y 0
		.amdhsa_system_sgpr_workgroup_id_z 0
		.amdhsa_system_sgpr_workgroup_info 0
		.amdhsa_system_vgpr_workitem_id 0
		.amdhsa_next_free_vgpr 41
		.amdhsa_next_free_sgpr 63
		.amdhsa_accum_offset 44
		.amdhsa_reserve_vcc 1
		.amdhsa_reserve_flat_scratch 0
		.amdhsa_float_round_mode_32 0
		.amdhsa_float_round_mode_16_64 0
		.amdhsa_float_denorm_mode_32 3
		.amdhsa_float_denorm_mode_16_64 3
		.amdhsa_dx10_clamp 1
		.amdhsa_ieee_mode 1
		.amdhsa_fp16_overflow 0
		.amdhsa_tg_split 0
		.amdhsa_exception_fp_ieee_invalid_op 0
		.amdhsa_exception_fp_denorm_src 0
		.amdhsa_exception_fp_ieee_div_zero 0
		.amdhsa_exception_fp_ieee_overflow 0
		.amdhsa_exception_fp_ieee_underflow 0
		.amdhsa_exception_fp_ieee_inexact 0
		.amdhsa_exception_int_div_zero 0
	.end_amdhsa_kernel
	.section	.text._ZN2at6native12_GLOBAL__N_143distribution_elementwise_grid_stride_kernelImLi2EZZZNS0_9templates4cuda32random_full_64_bits_range_kernelIPNS_17CUDAGeneratorImplEEEvRNS_18TensorIteratorBaseET_ENKUlvE_clEvENKUlvE2_clEvEUlP25hiprandStatePhilox4_32_10E_ZNS1_27distribution_nullary_kernelIlm15HIP_vector_typeIyLj2EES7_SF_ZZZNS5_IS7_EEvS9_SA_ENKSB_clEvENKSC_clEvEUlmE_EEvS9_T2_RKT3_T4_EUlimE0_EEvlNS_15PhiloxCudaStateET1_SK_,"axG",@progbits,_ZN2at6native12_GLOBAL__N_143distribution_elementwise_grid_stride_kernelImLi2EZZZNS0_9templates4cuda32random_full_64_bits_range_kernelIPNS_17CUDAGeneratorImplEEEvRNS_18TensorIteratorBaseET_ENKUlvE_clEvENKUlvE2_clEvEUlP25hiprandStatePhilox4_32_10E_ZNS1_27distribution_nullary_kernelIlm15HIP_vector_typeIyLj2EES7_SF_ZZZNS5_IS7_EEvS9_SA_ENKSB_clEvENKSC_clEvEUlmE_EEvS9_T2_RKT3_T4_EUlimE0_EEvlNS_15PhiloxCudaStateET1_SK_,comdat
.Lfunc_end59:
	.size	_ZN2at6native12_GLOBAL__N_143distribution_elementwise_grid_stride_kernelImLi2EZZZNS0_9templates4cuda32random_full_64_bits_range_kernelIPNS_17CUDAGeneratorImplEEEvRNS_18TensorIteratorBaseET_ENKUlvE_clEvENKUlvE2_clEvEUlP25hiprandStatePhilox4_32_10E_ZNS1_27distribution_nullary_kernelIlm15HIP_vector_typeIyLj2EES7_SF_ZZZNS5_IS7_EEvS9_SA_ENKSB_clEvENKSC_clEvEUlmE_EEvS9_T2_RKT3_T4_EUlimE0_EEvlNS_15PhiloxCudaStateET1_SK_, .Lfunc_end59-_ZN2at6native12_GLOBAL__N_143distribution_elementwise_grid_stride_kernelImLi2EZZZNS0_9templates4cuda32random_full_64_bits_range_kernelIPNS_17CUDAGeneratorImplEEEvRNS_18TensorIteratorBaseET_ENKUlvE_clEvENKUlvE2_clEvEUlP25hiprandStatePhilox4_32_10E_ZNS1_27distribution_nullary_kernelIlm15HIP_vector_typeIyLj2EES7_SF_ZZZNS5_IS7_EEvS9_SA_ENKSB_clEvENKSC_clEvEUlmE_EEvS9_T2_RKT3_T4_EUlimE0_EEvlNS_15PhiloxCudaStateET1_SK_
                                        ; -- End function
	.section	.AMDGPU.csdata,"",@progbits
; Kernel info:
; codeLenInByte = 3212
; NumSgprs: 67
; NumVgprs: 41
; NumAgprs: 0
; TotalNumVgprs: 41
; ScratchSize: 0
; MemoryBound: 0
; FloatMode: 240
; IeeeMode: 1
; LDSByteSize: 0 bytes/workgroup (compile time only)
; SGPRBlocks: 8
; VGPRBlocks: 5
; NumSGPRsForWavesPerEU: 67
; NumVGPRsForWavesPerEU: 41
; AccumOffset: 44
; Occupancy: 8
; WaveLimiterHint : 1
; COMPUTE_PGM_RSRC2:SCRATCH_EN: 0
; COMPUTE_PGM_RSRC2:USER_SGPR: 6
; COMPUTE_PGM_RSRC2:TRAP_HANDLER: 0
; COMPUTE_PGM_RSRC2:TGID_X_EN: 1
; COMPUTE_PGM_RSRC2:TGID_Y_EN: 0
; COMPUTE_PGM_RSRC2:TGID_Z_EN: 0
; COMPUTE_PGM_RSRC2:TIDIG_COMP_CNT: 0
; COMPUTE_PGM_RSRC3_GFX90A:ACCUM_OFFSET: 10
; COMPUTE_PGM_RSRC3_GFX90A:TG_SPLIT: 0
	.section	.text._ZN2at6native12_GLOBAL__N_143distribution_elementwise_grid_stride_kernelImLi2EZZZNS0_9templates4cuda32random_full_64_bits_range_kernelIPNS_17CUDAGeneratorImplEEEvRNS_18TensorIteratorBaseET_ENKUlvE_clEvENKUlvE3_clEvEUlP25hiprandStatePhilox4_32_10E_ZNS1_27distribution_nullary_kernelIsm15HIP_vector_typeIyLj2EES7_SF_ZZZNS5_IS7_EEvS9_SA_ENKSB_clEvENKSC_clEvEUlmE_EEvS9_T2_RKT3_T4_EUlimE_EEvlNS_15PhiloxCudaStateET1_SK_,"axG",@progbits,_ZN2at6native12_GLOBAL__N_143distribution_elementwise_grid_stride_kernelImLi2EZZZNS0_9templates4cuda32random_full_64_bits_range_kernelIPNS_17CUDAGeneratorImplEEEvRNS_18TensorIteratorBaseET_ENKUlvE_clEvENKUlvE3_clEvEUlP25hiprandStatePhilox4_32_10E_ZNS1_27distribution_nullary_kernelIsm15HIP_vector_typeIyLj2EES7_SF_ZZZNS5_IS7_EEvS9_SA_ENKSB_clEvENKSC_clEvEUlmE_EEvS9_T2_RKT3_T4_EUlimE_EEvlNS_15PhiloxCudaStateET1_SK_,comdat
	.globl	_ZN2at6native12_GLOBAL__N_143distribution_elementwise_grid_stride_kernelImLi2EZZZNS0_9templates4cuda32random_full_64_bits_range_kernelIPNS_17CUDAGeneratorImplEEEvRNS_18TensorIteratorBaseET_ENKUlvE_clEvENKUlvE3_clEvEUlP25hiprandStatePhilox4_32_10E_ZNS1_27distribution_nullary_kernelIsm15HIP_vector_typeIyLj2EES7_SF_ZZZNS5_IS7_EEvS9_SA_ENKSB_clEvENKSC_clEvEUlmE_EEvS9_T2_RKT3_T4_EUlimE_EEvlNS_15PhiloxCudaStateET1_SK_ ; -- Begin function _ZN2at6native12_GLOBAL__N_143distribution_elementwise_grid_stride_kernelImLi2EZZZNS0_9templates4cuda32random_full_64_bits_range_kernelIPNS_17CUDAGeneratorImplEEEvRNS_18TensorIteratorBaseET_ENKUlvE_clEvENKUlvE3_clEvEUlP25hiprandStatePhilox4_32_10E_ZNS1_27distribution_nullary_kernelIsm15HIP_vector_typeIyLj2EES7_SF_ZZZNS5_IS7_EEvS9_SA_ENKSB_clEvENKSC_clEvEUlmE_EEvS9_T2_RKT3_T4_EUlimE_EEvlNS_15PhiloxCudaStateET1_SK_
	.p2align	8
	.type	_ZN2at6native12_GLOBAL__N_143distribution_elementwise_grid_stride_kernelImLi2EZZZNS0_9templates4cuda32random_full_64_bits_range_kernelIPNS_17CUDAGeneratorImplEEEvRNS_18TensorIteratorBaseET_ENKUlvE_clEvENKUlvE3_clEvEUlP25hiprandStatePhilox4_32_10E_ZNS1_27distribution_nullary_kernelIsm15HIP_vector_typeIyLj2EES7_SF_ZZZNS5_IS7_EEvS9_SA_ENKSB_clEvENKSC_clEvEUlmE_EEvS9_T2_RKT3_T4_EUlimE_EEvlNS_15PhiloxCudaStateET1_SK_,@function
_ZN2at6native12_GLOBAL__N_143distribution_elementwise_grid_stride_kernelImLi2EZZZNS0_9templates4cuda32random_full_64_bits_range_kernelIPNS_17CUDAGeneratorImplEEEvRNS_18TensorIteratorBaseET_ENKUlvE_clEvENKUlvE3_clEvEUlP25hiprandStatePhilox4_32_10E_ZNS1_27distribution_nullary_kernelIsm15HIP_vector_typeIyLj2EES7_SF_ZZZNS5_IS7_EEvS9_SA_ENKSB_clEvENKSC_clEvEUlmE_EEvS9_T2_RKT3_T4_EUlimE_EEvlNS_15PhiloxCudaStateET1_SK_: ; @_ZN2at6native12_GLOBAL__N_143distribution_elementwise_grid_stride_kernelImLi2EZZZNS0_9templates4cuda32random_full_64_bits_range_kernelIPNS_17CUDAGeneratorImplEEEvRNS_18TensorIteratorBaseET_ENKUlvE_clEvENKUlvE3_clEvEUlP25hiprandStatePhilox4_32_10E_ZNS1_27distribution_nullary_kernelIsm15HIP_vector_typeIyLj2EES7_SF_ZZZNS5_IS7_EEvS9_SA_ENKSB_clEvENKSC_clEvEUlmE_EEvS9_T2_RKT3_T4_EUlimE_EEvlNS_15PhiloxCudaStateET1_SK_
; %bb.0:
	s_load_dword s7, s[4:5], 0x20
	s_load_dwordx2 s[10:11], s[4:5], 0x10
	s_load_dwordx4 s[0:3], s[4:5], 0x0
	s_mov_b32 s8, 0
	s_waitcnt lgkmcnt(0)
	s_bitcmp0_b32 s7, 0
	v_pk_mov_b32 v[2:3], s[10:11], s[10:11] op_sel:[0,1]
	v_pk_mov_b32 v[12:13], s[2:3], s[2:3] op_sel:[0,1]
	s_cbranch_scc1 .LBB60_2
; %bb.1:
	v_pk_mov_b32 v[2:3], s[10:11], s[10:11] op_sel:[0,1]
	flat_load_dwordx2 v[2:3], v[2:3]
	v_pk_mov_b32 v[4:5], s[2:3], s[2:3] op_sel:[0,1]
	flat_load_dwordx2 v[12:13], v[4:5]
	s_load_dwordx2 s[2:3], s[4:5], 0x18
	s_waitcnt lgkmcnt(0)
	v_mov_b32_e32 v1, s3
	s_waitcnt vmcnt(0)
	v_add_co_u32_e32 v2, vcc, s2, v2
	v_addc_co_u32_e32 v3, vcc, v3, v1, vcc
.LBB60_2:
	s_load_dword s2, s[4:5], 0x4c
	s_load_dword s10, s[4:5], 0x40
	s_waitcnt lgkmcnt(0)
	s_and_b32 s7, s2, 0xffff
	s_add_u32 s11, s0, -1
	s_mul_i32 s12, s10, s7
	s_addc_u32 s9, s1, -1
	s_lshl_b32 s13, s12, 1
	s_cmp_lg_u64 s[8:9], 0
	s_mov_b64 s[2:3], -1
	s_cbranch_scc0 .LBB60_23
; %bb.3:
	v_cvt_f32_u32_e32 v1, s13
	v_cvt_f32_ubyte0_e32 v4, 0
	s_sub_u32 s8, 0, s13
	s_subb_u32 s14, 0, 0
	v_madmk_f32 v1, v4, 0x4f800000, v1
	v_rcp_f32_e32 v1, v1
	v_mul_f32_e32 v1, 0x5f7ffffc, v1
	v_mul_f32_e32 v4, 0x2f800000, v1
	v_trunc_f32_e32 v4, v4
	v_madmk_f32 v1, v4, 0xcf800000, v1
	v_cvt_u32_f32_e32 v4, v4
	v_cvt_u32_f32_e32 v1, v1
	v_readfirstlane_b32 s15, v4
	v_readfirstlane_b32 s16, v1
	s_mul_i32 s17, s8, s15
	s_mul_hi_u32 s19, s8, s16
	s_mul_i32 s18, s14, s16
	s_add_i32 s17, s19, s17
	s_add_i32 s17, s17, s18
	s_mul_i32 s20, s8, s16
	s_mul_hi_u32 s18, s16, s17
	s_mul_i32 s19, s16, s17
	s_mul_hi_u32 s16, s16, s20
	s_add_u32 s16, s16, s19
	s_addc_u32 s18, 0, s18
	s_mul_hi_u32 s21, s15, s20
	s_mul_i32 s20, s15, s20
	s_add_u32 s16, s16, s20
	s_mul_hi_u32 s19, s15, s17
	s_addc_u32 s16, s18, s21
	s_addc_u32 s18, s19, 0
	s_mul_i32 s17, s15, s17
	s_add_u32 s16, s16, s17
	s_addc_u32 s17, 0, s18
	v_add_co_u32_e32 v1, vcc, s16, v1
	s_cmp_lg_u64 vcc, 0
	s_addc_u32 s15, s15, s17
	v_readfirstlane_b32 s17, v1
	s_mul_i32 s16, s8, s15
	s_mul_hi_u32 s18, s8, s17
	s_add_i32 s16, s18, s16
	s_mul_i32 s14, s14, s17
	s_add_i32 s16, s16, s14
	s_mul_i32 s8, s8, s17
	s_mul_hi_u32 s18, s15, s8
	s_mul_i32 s19, s15, s8
	s_mul_i32 s21, s17, s16
	s_mul_hi_u32 s8, s17, s8
	s_mul_hi_u32 s20, s17, s16
	s_add_u32 s8, s8, s21
	s_addc_u32 s17, 0, s20
	s_add_u32 s8, s8, s19
	s_mul_hi_u32 s14, s15, s16
	s_addc_u32 s8, s17, s18
	s_addc_u32 s14, s14, 0
	s_mul_i32 s16, s15, s16
	s_add_u32 s8, s8, s16
	s_addc_u32 s14, 0, s14
	v_add_co_u32_e32 v1, vcc, s8, v1
	s_cmp_lg_u64 vcc, 0
	s_addc_u32 s16, s15, s14
	s_ashr_i32 s14, s9, 31
	s_add_u32 s8, s11, s14
	s_mov_b32 s15, s14
	s_addc_u32 s9, s9, s14
	s_xor_b64 s[8:9], s[8:9], s[14:15]
	v_readfirstlane_b32 s19, v1
	s_mul_i32 s18, s8, s16
	s_mul_hi_u32 s20, s8, s19
	s_mul_hi_u32 s17, s8, s16
	s_add_u32 s18, s20, s18
	s_addc_u32 s17, 0, s17
	s_mul_hi_u32 s21, s9, s19
	s_mul_i32 s19, s9, s19
	s_add_u32 s18, s18, s19
	s_mul_hi_u32 s20, s9, s16
	s_addc_u32 s17, s17, s21
	s_addc_u32 s18, s20, 0
	s_mul_i32 s16, s9, s16
	s_add_u32 s16, s17, s16
	s_addc_u32 s17, 0, s18
	s_add_u32 s18, s16, 1
	s_addc_u32 s19, s17, 0
	s_add_u32 s20, s16, 2
	s_mul_i32 s22, s13, s17
	s_mul_hi_u32 s23, s13, s16
	s_addc_u32 s21, s17, 0
	s_add_i32 s23, s23, s22
	s_mul_i32 s22, s13, s16
	v_mov_b32_e32 v1, s22
	v_sub_co_u32_e32 v1, vcc, s8, v1
	s_cmp_lg_u64 vcc, 0
	s_subb_u32 s8, s9, s23
	v_subrev_co_u32_e32 v4, vcc, s13, v1
	s_cmp_lg_u64 vcc, 0
	s_subb_u32 s9, s8, 0
	v_readfirstlane_b32 s22, v4
	s_cmp_ge_u32 s22, s13
	s_cselect_b32 s22, -1, 0
	s_cmp_eq_u32 s9, 0
	s_cselect_b32 s9, s22, -1
	s_cmp_lg_u32 s9, 0
	s_cselect_b32 s9, s21, s19
	v_readfirstlane_b32 s19, v1
	s_cselect_b32 s18, s20, s18
	s_cmp_ge_u32 s19, s13
	s_cselect_b32 s19, -1, 0
	s_cmp_eq_u32 s8, 0
	s_cselect_b32 s8, s19, -1
	s_cmp_lg_u32 s8, 0
	s_cselect_b32 s9, s9, s17
	s_cselect_b32 s8, s18, s16
	s_xor_b64 s[8:9], s[8:9], s[14:15]
	s_sub_u32 s8, s8, s14
	s_subb_u32 s9, s9, s14
	s_cbranch_execnz .LBB60_5
.LBB60_4:
	v_cvt_f32_u32_e32 v1, s13
	s_sub_i32 s2, 0, s13
	s_mov_b32 s9, 0
	v_rcp_iflag_f32_e32 v1, v1
	v_mul_f32_e32 v1, 0x4f7ffffe, v1
	v_cvt_u32_f32_e32 v1, v1
	v_readfirstlane_b32 s3, v1
	s_mul_i32 s2, s2, s3
	s_mul_hi_u32 s2, s3, s2
	s_add_i32 s3, s3, s2
	s_mul_hi_u32 s2, s11, s3
	s_mul_i32 s8, s2, s13
	s_sub_i32 s8, s11, s8
	s_add_i32 s3, s2, 1
	s_sub_i32 s11, s8, s13
	s_cmp_ge_u32 s8, s13
	s_cselect_b32 s2, s3, s2
	s_cselect_b32 s8, s11, s8
	s_add_i32 s3, s2, 1
	s_cmp_ge_u32 s8, s13
	s_cselect_b32 s8, s3, s2
.LBB60_5:
	v_mov_b32_e32 v1, 0
	v_mov_b32_e32 v4, s6
	v_mad_u64_u32 v[14:15], s[2:3], s7, v4, v[0:1]
	s_add_u32 s2, s8, 1
	s_addc_u32 s3, s9, 0
	s_mul_hi_u32 s8, s10, s7
	s_mul_i32 s3, s12, s3
	s_mul_hi_u32 s9, s12, s2
	s_add_i32 s3, s9, s3
	s_mul_i32 s8, s8, s2
	s_add_i32 s3, s3, s8
	s_mul_i32 s2, s12, s2
	s_lshl_b64 s[2:3], s[2:3], 1
	v_cmp_gt_i64_e32 vcc, s[2:3], v[14:15]
	s_and_saveexec_b64 s[8:9], vcc
	s_cbranch_execz .LBB60_22
; %bb.6:
	s_load_dwordx2 s[8:9], s[4:5], 0x30
	s_load_dword s11, s[4:5], 0x38
	s_mov_b32 s4, 0x5384540f
	v_mov_b32_e32 v4, v13
	v_add_co_u32_e32 v20, vcc, s4, v12
	s_mov_b32 s4, 0x646e171e
	v_add_co_u32_e32 v21, vcc, s4, v4
	s_mov_b32 s4, 0x1715609d
	;; [unrolled: 2-line block ×6, first 2 shown]
	v_alignbit_b32 v27, v3, v2, 2
	s_mov_b32 s15, 0xd2511f53
	v_add_co_u32_e32 v26, vcc, s4, v12
	v_mad_u64_u32 v[6:7], s[4:5], v27, s15, 0
	v_xor_b32_e32 v1, v7, v13
	v_xor_b32_e32 v1, v1, v15
	s_mov_b32 s16, 0xcd9e8d57
	v_mad_u64_u32 v[8:9], s[4:5], v1, s16, 0
	v_xor_b32_e32 v1, v26, v9
	v_mad_u64_u32 v[10:11], s[4:5], v14, s16, 0
	v_and_b32_e32 v16, 3, v2
	v_xor_b32_e32 v1, v1, v10
	v_xor_b32_e32 v2, v12, v11
	v_lshrrev_b32_e32 v28, 2, v3
	v_mad_u64_u32 v[32:33], s[4:5], v1, s15, 0
	v_xor_b32_e32 v2, v2, v28
	v_xor_b32_e32 v1, v25, v33
	v_mad_u64_u32 v[2:3], s[4:5], v2, s15, 0
	v_xor_b32_e32 v1, v1, v2
	v_mad_u64_u32 v[10:11], s[4:5], v1, s16, 0
	s_mov_b32 s4, 0xbb67ae85
	v_add_co_u32_e32 v29, vcc, s4, v4
	v_xor_b32_e32 v2, v29, v3
	v_xor_b32_e32 v2, v2, v6
	v_xor_b32_e32 v1, v24, v11
	v_mad_u64_u32 v[2:3], s[4:5], v2, s16, 0
	v_xor_b32_e32 v1, v1, v2
	v_mad_u64_u32 v[6:7], s[4:5], v1, s15, 0
	s_mov_b32 s4, 0x3c6ef372
	v_add_co_u32_e32 v30, vcc, s4, v12
	v_xor_b32_e32 v2, v30, v3
	;; [unrolled: 8-line block ×6, first 2 shown]
	v_add_co_u32_e32 v19, vcc, 0xdb3d7428, v4
	v_xor_b32_e32 v2, v2, v8
	v_xor_b32_e32 v1, v19, v7
	v_mad_u64_u32 v[2:3], s[4:5], v2, s15, 0
	v_xor_b32_e32 v1, v1, v2
	v_mad_u64_u32 v[8:9], s[4:5], v1, s16, 0
	s_mov_b32 s4, 0x1fd5c5a3
	v_add_co_u32_e32 v35, vcc, s4, v4
	v_xor_b32_e32 v1, v35, v3
	v_xor_b32_e32 v1, v1, v36
	v_mad_u64_u32 v[2:3], s[4:5], v1, s16, 0
	s_mov_b32 s4, 0xf1bbcdc8
	v_add_co_u32_e32 v36, vcc, s4, v12
	v_xor_b32_e32 v1, v36, v3
	v_xor_b32_e32 v1, v1, v10
	v_mad_u64_u32 v[4:5], s[4:5], v1, s15, 0
	s_mul_i32 s4, s6, s7
	v_mov_b32_e32 v3, v4
	v_add_u32_e32 v4, s4, v0
	s_waitcnt lgkmcnt(0)
	s_mul_i32 s4, s10, s11
	s_mul_i32 s4, s4, s7
	s_lshl_b32 s17, s4, 1
	s_add_i32 s4, s6, s10
	s_mul_i32 s4, s4, s7
	s_mov_b32 s14, 0
	v_add_u32_e32 v18, 0x96a522ad, v13
	v_xor_b32_e32 v1, v5, v6
	v_add_u32_e32 v0, s4, v0
	v_add_u32_e32 v17, 0x8ff34781, v12
	v_xor_b32_e32 v2, v18, v1
	v_mov_b32_e32 v1, v8
	v_mul_lo_u32 v37, s11, v4
	v_mul_lo_u32 v38, s11, v0
	s_mov_b64 s[4:5], 0
	s_mov_b32 s18, s14
	v_mov_b32_e32 v39, v14
	v_mov_b32_e32 v40, v15
	s_branch .LBB60_8
.LBB60_7:                               ;   in Loop: Header=BB60_8 Depth=1
	s_or_b64 exec, exec, s[6:7]
	v_add_co_u32_e32 v14, vcc, s13, v14
	v_addc_co_u32_e32 v15, vcc, 0, v15, vcc
	v_mov_b32_e32 v7, v4
	s_add_i32 s18, s18, s17
	v_cmp_le_i64_e32 vcc, s[2:3], v[14:15]
	v_pk_mov_b32 v[0:1], v[4:5], v[4:5] op_sel:[0,1]
	s_or_b64 s[4:5], vcc, s[4:5]
	v_pk_mov_b32 v[2:3], v[6:7], v[6:7] op_sel:[0,1]
	s_barrier
	s_andn2_b64 exec, exec, s[4:5]
	s_cbranch_execz .LBB60_22
.LBB60_8:                               ; =>This Inner Loop Header: Depth=1
	v_add_co_u32_e32 v27, vcc, 1, v27
	v_cndmask_b32_e64 v0, 0, 1, vcc
	v_addc_co_u32_e32 v28, vcc, 0, v28, vcc
	v_cmp_eq_u32_e32 vcc, 0, v28
	v_cndmask_b32_e32 v0, 0, v0, vcc
	v_add_u32_e32 v39, v0, v39
	v_cmp_eq_u32_e32 vcc, 0, v39
	v_cndmask_b32_e32 v0, 0, v0, vcc
	v_mad_u64_u32 v[4:5], s[6:7], v27, s15, 0
	v_add_u32_e32 v40, v0, v40
	v_mad_u64_u32 v[6:7], s[6:7], v39, s16, 0
	v_xor_b32_e32 v5, v5, v13
	v_xor_b32_e32 v0, v7, v12
	v_xor_b32_e32 v5, v40, v5
	v_xor_b32_e32 v0, v28, v0
	v_mad_u64_u32 v[10:11], s[6:7], v5, s16, 0
	v_mad_u64_u32 v[8:9], s[6:7], v0, s15, 0
	v_xor_b32_e32 v0, v26, v11
	v_xor_b32_e32 v0, v0, v6
	v_xor_b32_e32 v5, v29, v9
	v_xor_b32_e32 v6, v5, v4
	v_mad_u64_u32 v[4:5], s[6:7], v0, s15, 0
	;; [unrolled: 6-line block ×9, first 2 shown]
	v_mad_u64_u32 v[4:5], s[6:7], v0, s15, 0
	v_xor_b32_e32 v0, v11, v42
	v_xor_b32_e32 v8, v17, v0
	;; [unrolled: 1-line block ×4, first 2 shown]
	v_mov_b32_e32 v5, v10
	v_mov_b32_e32 v6, v9
	v_cmp_lt_i32_e32 vcc, 1, v16
	s_and_saveexec_b64 s[6:7], vcc
	s_xor_b64 s[6:7], exec, s[6:7]
	s_cbranch_execnz .LBB60_14
; %bb.9:                                ;   in Loop: Header=BB60_8 Depth=1
	s_andn2_saveexec_b64 s[6:7], s[6:7]
	s_cbranch_execnz .LBB60_19
.LBB60_10:                              ;   in Loop: Header=BB60_8 Depth=1
	s_or_b64 exec, exec, s[6:7]
	v_cmp_gt_i64_e32 vcc, s[0:1], v[14:15]
	s_and_saveexec_b64 s[6:7], vcc
	s_cbranch_execz .LBB60_12
.LBB60_11:                              ;   in Loop: Header=BB60_8 Depth=1
	v_add_u32_e32 v0, s18, v37
	v_ashrrev_i32_e32 v2, 31, v0
	v_mov_b32_e32 v7, s9
	v_add_co_u32_e32 v8, vcc, s8, v0
	v_addc_co_u32_e32 v9, vcc, v7, v2, vcc
	global_store_short v[8:9], v1, off
.LBB60_12:                              ;   in Loop: Header=BB60_8 Depth=1
	s_or_b64 exec, exec, s[6:7]
	v_mov_b32_e32 v1, s14
	v_add_co_u32_e32 v0, vcc, s12, v14
	v_addc_co_u32_e32 v1, vcc, v1, v15, vcc
	v_cmp_gt_i64_e32 vcc, s[0:1], v[0:1]
	s_and_saveexec_b64 s[6:7], vcc
	s_cbranch_execz .LBB60_7
; %bb.13:                               ;   in Loop: Header=BB60_8 Depth=1
	v_add_u32_e32 v0, s18, v38
	v_ashrrev_i32_e32 v1, 31, v0
	v_mov_b32_e32 v2, s9
	v_add_co_u32_e32 v0, vcc, s8, v0
	v_addc_co_u32_e32 v1, vcc, v2, v1, vcc
	global_store_short v[0:1], v3, off
	s_branch .LBB60_7
.LBB60_14:                              ;   in Loop: Header=BB60_8 Depth=1
	v_cmp_lt_i32_e32 vcc, 2, v16
	s_and_saveexec_b64 s[10:11], vcc
	s_xor_b64 s[10:11], exec, s[10:11]
; %bb.15:                               ;   in Loop: Header=BB60_8 Depth=1
	v_mov_b32_e32 v7, v8
	v_pk_mov_b32 v[0:1], v[6:7], v[6:7] op_sel:[0,1]
	v_pk_mov_b32 v[2:3], v[8:9], v[8:9] op_sel:[0,1]
                                        ; implicit-def: $vgpr10_vgpr11
; %bb.16:                               ;   in Loop: Header=BB60_8 Depth=1
	s_andn2_saveexec_b64 s[10:11], s[10:11]
; %bb.17:                               ;   in Loop: Header=BB60_8 Depth=1
	v_mov_b32_e32 v1, v3
	v_mov_b32_e32 v3, v10
; %bb.18:                               ;   in Loop: Header=BB60_8 Depth=1
	s_or_b64 exec, exec, s[10:11]
                                        ; implicit-def: $vgpr8_vgpr9_vgpr10_vgpr11
	s_andn2_saveexec_b64 s[6:7], s[6:7]
	s_cbranch_execz .LBB60_10
.LBB60_19:                              ;   in Loop: Header=BB60_8 Depth=1
	v_cmp_eq_u32_e32 vcc, 1, v16
	s_and_saveexec_b64 s[10:11], vcc
; %bb.20:                               ;   in Loop: Header=BB60_8 Depth=1
	v_mov_b32_e32 v1, v2
	v_mov_b32_e32 v3, v8
; %bb.21:                               ;   in Loop: Header=BB60_8 Depth=1
	s_or_b64 exec, exec, s[10:11]
	s_or_b64 exec, exec, s[6:7]
	v_cmp_gt_i64_e32 vcc, s[0:1], v[14:15]
	s_and_saveexec_b64 s[6:7], vcc
	s_cbranch_execnz .LBB60_11
	s_branch .LBB60_12
.LBB60_22:
	s_endpgm
.LBB60_23:
                                        ; implicit-def: $sgpr8_sgpr9
	s_andn2_b64 vcc, exec, s[2:3]
	s_cbranch_vccz .LBB60_4
	s_branch .LBB60_5
	.section	.rodata,"a",@progbits
	.p2align	6, 0x0
	.amdhsa_kernel _ZN2at6native12_GLOBAL__N_143distribution_elementwise_grid_stride_kernelImLi2EZZZNS0_9templates4cuda32random_full_64_bits_range_kernelIPNS_17CUDAGeneratorImplEEEvRNS_18TensorIteratorBaseET_ENKUlvE_clEvENKUlvE3_clEvEUlP25hiprandStatePhilox4_32_10E_ZNS1_27distribution_nullary_kernelIsm15HIP_vector_typeIyLj2EES7_SF_ZZZNS5_IS7_EEvS9_SA_ENKSB_clEvENKSC_clEvEUlmE_EEvS9_T2_RKT3_T4_EUlimE_EEvlNS_15PhiloxCudaStateET1_SK_
		.amdhsa_group_segment_fixed_size 0
		.amdhsa_private_segment_fixed_size 0
		.amdhsa_kernarg_size 320
		.amdhsa_user_sgpr_count 6
		.amdhsa_user_sgpr_private_segment_buffer 1
		.amdhsa_user_sgpr_dispatch_ptr 0
		.amdhsa_user_sgpr_queue_ptr 0
		.amdhsa_user_sgpr_kernarg_segment_ptr 1
		.amdhsa_user_sgpr_dispatch_id 0
		.amdhsa_user_sgpr_flat_scratch_init 0
		.amdhsa_user_sgpr_kernarg_preload_length 0
		.amdhsa_user_sgpr_kernarg_preload_offset 0
		.amdhsa_user_sgpr_private_segment_size 0
		.amdhsa_uses_dynamic_stack 0
		.amdhsa_system_sgpr_private_segment_wavefront_offset 0
		.amdhsa_system_sgpr_workgroup_id_x 1
		.amdhsa_system_sgpr_workgroup_id_y 0
		.amdhsa_system_sgpr_workgroup_id_z 0
		.amdhsa_system_sgpr_workgroup_info 0
		.amdhsa_system_vgpr_workitem_id 0
		.amdhsa_next_free_vgpr 44
		.amdhsa_next_free_sgpr 24
		.amdhsa_accum_offset 44
		.amdhsa_reserve_vcc 1
		.amdhsa_reserve_flat_scratch 0
		.amdhsa_float_round_mode_32 0
		.amdhsa_float_round_mode_16_64 0
		.amdhsa_float_denorm_mode_32 3
		.amdhsa_float_denorm_mode_16_64 3
		.amdhsa_dx10_clamp 1
		.amdhsa_ieee_mode 1
		.amdhsa_fp16_overflow 0
		.amdhsa_tg_split 0
		.amdhsa_exception_fp_ieee_invalid_op 0
		.amdhsa_exception_fp_denorm_src 0
		.amdhsa_exception_fp_ieee_div_zero 0
		.amdhsa_exception_fp_ieee_overflow 0
		.amdhsa_exception_fp_ieee_underflow 0
		.amdhsa_exception_fp_ieee_inexact 0
		.amdhsa_exception_int_div_zero 0
	.end_amdhsa_kernel
	.section	.text._ZN2at6native12_GLOBAL__N_143distribution_elementwise_grid_stride_kernelImLi2EZZZNS0_9templates4cuda32random_full_64_bits_range_kernelIPNS_17CUDAGeneratorImplEEEvRNS_18TensorIteratorBaseET_ENKUlvE_clEvENKUlvE3_clEvEUlP25hiprandStatePhilox4_32_10E_ZNS1_27distribution_nullary_kernelIsm15HIP_vector_typeIyLj2EES7_SF_ZZZNS5_IS7_EEvS9_SA_ENKSB_clEvENKSC_clEvEUlmE_EEvS9_T2_RKT3_T4_EUlimE_EEvlNS_15PhiloxCudaStateET1_SK_,"axG",@progbits,_ZN2at6native12_GLOBAL__N_143distribution_elementwise_grid_stride_kernelImLi2EZZZNS0_9templates4cuda32random_full_64_bits_range_kernelIPNS_17CUDAGeneratorImplEEEvRNS_18TensorIteratorBaseET_ENKUlvE_clEvENKUlvE3_clEvEUlP25hiprandStatePhilox4_32_10E_ZNS1_27distribution_nullary_kernelIsm15HIP_vector_typeIyLj2EES7_SF_ZZZNS5_IS7_EEvS9_SA_ENKSB_clEvENKSC_clEvEUlmE_EEvS9_T2_RKT3_T4_EUlimE_EEvlNS_15PhiloxCudaStateET1_SK_,comdat
.Lfunc_end60:
	.size	_ZN2at6native12_GLOBAL__N_143distribution_elementwise_grid_stride_kernelImLi2EZZZNS0_9templates4cuda32random_full_64_bits_range_kernelIPNS_17CUDAGeneratorImplEEEvRNS_18TensorIteratorBaseET_ENKUlvE_clEvENKUlvE3_clEvEUlP25hiprandStatePhilox4_32_10E_ZNS1_27distribution_nullary_kernelIsm15HIP_vector_typeIyLj2EES7_SF_ZZZNS5_IS7_EEvS9_SA_ENKSB_clEvENKSC_clEvEUlmE_EEvS9_T2_RKT3_T4_EUlimE_EEvlNS_15PhiloxCudaStateET1_SK_, .Lfunc_end60-_ZN2at6native12_GLOBAL__N_143distribution_elementwise_grid_stride_kernelImLi2EZZZNS0_9templates4cuda32random_full_64_bits_range_kernelIPNS_17CUDAGeneratorImplEEEvRNS_18TensorIteratorBaseET_ENKUlvE_clEvENKUlvE3_clEvEUlP25hiprandStatePhilox4_32_10E_ZNS1_27distribution_nullary_kernelIsm15HIP_vector_typeIyLj2EES7_SF_ZZZNS5_IS7_EEvS9_SA_ENKSB_clEvENKSC_clEvEUlmE_EEvS9_T2_RKT3_T4_EUlimE_EEvlNS_15PhiloxCudaStateET1_SK_
                                        ; -- End function
	.section	.AMDGPU.csdata,"",@progbits
; Kernel info:
; codeLenInByte = 2132
; NumSgprs: 28
; NumVgprs: 44
; NumAgprs: 0
; TotalNumVgprs: 44
; ScratchSize: 0
; MemoryBound: 0
; FloatMode: 240
; IeeeMode: 1
; LDSByteSize: 0 bytes/workgroup (compile time only)
; SGPRBlocks: 3
; VGPRBlocks: 5
; NumSGPRsForWavesPerEU: 28
; NumVGPRsForWavesPerEU: 44
; AccumOffset: 44
; Occupancy: 8
; WaveLimiterHint : 0
; COMPUTE_PGM_RSRC2:SCRATCH_EN: 0
; COMPUTE_PGM_RSRC2:USER_SGPR: 6
; COMPUTE_PGM_RSRC2:TRAP_HANDLER: 0
; COMPUTE_PGM_RSRC2:TGID_X_EN: 1
; COMPUTE_PGM_RSRC2:TGID_Y_EN: 0
; COMPUTE_PGM_RSRC2:TGID_Z_EN: 0
; COMPUTE_PGM_RSRC2:TIDIG_COMP_CNT: 0
; COMPUTE_PGM_RSRC3_GFX90A:ACCUM_OFFSET: 10
; COMPUTE_PGM_RSRC3_GFX90A:TG_SPLIT: 0
	.section	.text._ZN2at6native12_GLOBAL__N_143distribution_elementwise_grid_stride_kernelImLi2EZZZNS0_9templates4cuda32random_full_64_bits_range_kernelIPNS_17CUDAGeneratorImplEEEvRNS_18TensorIteratorBaseET_ENKUlvE_clEvENKUlvE3_clEvEUlP25hiprandStatePhilox4_32_10E_ZNS1_27distribution_nullary_kernelIsm15HIP_vector_typeIyLj2EES7_SF_ZZZNS5_IS7_EEvS9_SA_ENKSB_clEvENKSC_clEvEUlmE_EEvS9_T2_RKT3_T4_EUlimE0_EEvlNS_15PhiloxCudaStateET1_SK_,"axG",@progbits,_ZN2at6native12_GLOBAL__N_143distribution_elementwise_grid_stride_kernelImLi2EZZZNS0_9templates4cuda32random_full_64_bits_range_kernelIPNS_17CUDAGeneratorImplEEEvRNS_18TensorIteratorBaseET_ENKUlvE_clEvENKUlvE3_clEvEUlP25hiprandStatePhilox4_32_10E_ZNS1_27distribution_nullary_kernelIsm15HIP_vector_typeIyLj2EES7_SF_ZZZNS5_IS7_EEvS9_SA_ENKSB_clEvENKSC_clEvEUlmE_EEvS9_T2_RKT3_T4_EUlimE0_EEvlNS_15PhiloxCudaStateET1_SK_,comdat
	.globl	_ZN2at6native12_GLOBAL__N_143distribution_elementwise_grid_stride_kernelImLi2EZZZNS0_9templates4cuda32random_full_64_bits_range_kernelIPNS_17CUDAGeneratorImplEEEvRNS_18TensorIteratorBaseET_ENKUlvE_clEvENKUlvE3_clEvEUlP25hiprandStatePhilox4_32_10E_ZNS1_27distribution_nullary_kernelIsm15HIP_vector_typeIyLj2EES7_SF_ZZZNS5_IS7_EEvS9_SA_ENKSB_clEvENKSC_clEvEUlmE_EEvS9_T2_RKT3_T4_EUlimE0_EEvlNS_15PhiloxCudaStateET1_SK_ ; -- Begin function _ZN2at6native12_GLOBAL__N_143distribution_elementwise_grid_stride_kernelImLi2EZZZNS0_9templates4cuda32random_full_64_bits_range_kernelIPNS_17CUDAGeneratorImplEEEvRNS_18TensorIteratorBaseET_ENKUlvE_clEvENKUlvE3_clEvEUlP25hiprandStatePhilox4_32_10E_ZNS1_27distribution_nullary_kernelIsm15HIP_vector_typeIyLj2EES7_SF_ZZZNS5_IS7_EEvS9_SA_ENKSB_clEvENKSC_clEvEUlmE_EEvS9_T2_RKT3_T4_EUlimE0_EEvlNS_15PhiloxCudaStateET1_SK_
	.p2align	8
	.type	_ZN2at6native12_GLOBAL__N_143distribution_elementwise_grid_stride_kernelImLi2EZZZNS0_9templates4cuda32random_full_64_bits_range_kernelIPNS_17CUDAGeneratorImplEEEvRNS_18TensorIteratorBaseET_ENKUlvE_clEvENKUlvE3_clEvEUlP25hiprandStatePhilox4_32_10E_ZNS1_27distribution_nullary_kernelIsm15HIP_vector_typeIyLj2EES7_SF_ZZZNS5_IS7_EEvS9_SA_ENKSB_clEvENKSC_clEvEUlmE_EEvS9_T2_RKT3_T4_EUlimE0_EEvlNS_15PhiloxCudaStateET1_SK_,@function
_ZN2at6native12_GLOBAL__N_143distribution_elementwise_grid_stride_kernelImLi2EZZZNS0_9templates4cuda32random_full_64_bits_range_kernelIPNS_17CUDAGeneratorImplEEEvRNS_18TensorIteratorBaseET_ENKUlvE_clEvENKUlvE3_clEvEUlP25hiprandStatePhilox4_32_10E_ZNS1_27distribution_nullary_kernelIsm15HIP_vector_typeIyLj2EES7_SF_ZZZNS5_IS7_EEvS9_SA_ENKSB_clEvENKSC_clEvEUlmE_EEvS9_T2_RKT3_T4_EUlimE0_EEvlNS_15PhiloxCudaStateET1_SK_: ; @_ZN2at6native12_GLOBAL__N_143distribution_elementwise_grid_stride_kernelImLi2EZZZNS0_9templates4cuda32random_full_64_bits_range_kernelIPNS_17CUDAGeneratorImplEEEvRNS_18TensorIteratorBaseET_ENKUlvE_clEvENKUlvE3_clEvEUlP25hiprandStatePhilox4_32_10E_ZNS1_27distribution_nullary_kernelIsm15HIP_vector_typeIyLj2EES7_SF_ZZZNS5_IS7_EEvS9_SA_ENKSB_clEvENKSC_clEvEUlmE_EEvS9_T2_RKT3_T4_EUlimE0_EEvlNS_15PhiloxCudaStateET1_SK_
; %bb.0:
	s_load_dword s2, s[4:5], 0x20
	s_load_dwordx2 s[0:1], s[4:5], 0x10
	s_load_dwordx4 s[24:27], s[4:5], 0x0
	s_waitcnt lgkmcnt(0)
	s_bitcmp0_b32 s2, 0
	s_mov_b32 s2, 0
	v_pk_mov_b32 v[2:3], s[0:1], s[0:1] op_sel:[0,1]
	v_pk_mov_b32 v[12:13], s[26:27], s[26:27] op_sel:[0,1]
	s_cbranch_scc1 .LBB61_2
; %bb.1:
	v_pk_mov_b32 v[2:3], s[0:1], s[0:1] op_sel:[0,1]
	flat_load_dwordx2 v[2:3], v[2:3]
	v_pk_mov_b32 v[4:5], s[26:27], s[26:27] op_sel:[0,1]
	flat_load_dwordx2 v[12:13], v[4:5]
	s_load_dwordx2 s[0:1], s[4:5], 0x18
	s_waitcnt lgkmcnt(0)
	v_mov_b32_e32 v1, s1
	s_waitcnt vmcnt(0)
	v_add_co_u32_e32 v2, vcc, s0, v2
	v_addc_co_u32_e32 v3, vcc, v3, v1, vcc
.LBB61_2:
	s_load_dword s0, s[4:5], 0x154
	s_load_dword s7, s[4:5], 0x148
	s_waitcnt lgkmcnt(0)
	s_and_b32 s8, s0, 0xffff
	s_add_u32 s9, s24, -1
	s_mul_i32 s33, s7, s8
	s_addc_u32 s3, s25, -1
	s_lshl_b32 s58, s33, 1
	s_cmp_lg_u64 s[2:3], 0
	s_mov_b64 s[0:1], -1
	s_cbranch_scc0 .LBB61_51
; %bb.3:
	v_cvt_f32_u32_e32 v1, s58
	v_cvt_f32_ubyte0_e32 v4, 0
	s_sub_u32 s2, 0, s58
	s_subb_u32 s10, 0, 0
	v_madmk_f32 v1, v4, 0x4f800000, v1
	v_rcp_f32_e32 v1, v1
	v_mul_f32_e32 v1, 0x5f7ffffc, v1
	v_mul_f32_e32 v4, 0x2f800000, v1
	v_trunc_f32_e32 v4, v4
	v_madmk_f32 v1, v4, 0xcf800000, v1
	v_cvt_u32_f32_e32 v4, v4
	v_cvt_u32_f32_e32 v1, v1
	v_readfirstlane_b32 s11, v4
	v_readfirstlane_b32 s12, v1
	s_mul_i32 s13, s2, s11
	s_mul_hi_u32 s15, s2, s12
	s_mul_i32 s14, s10, s12
	s_add_i32 s13, s15, s13
	s_add_i32 s13, s13, s14
	s_mul_i32 s16, s2, s12
	s_mul_hi_u32 s14, s12, s13
	s_mul_i32 s15, s12, s13
	s_mul_hi_u32 s12, s12, s16
	s_add_u32 s12, s12, s15
	s_addc_u32 s14, 0, s14
	s_mul_hi_u32 s17, s11, s16
	s_mul_i32 s16, s11, s16
	s_add_u32 s12, s12, s16
	s_mul_hi_u32 s15, s11, s13
	s_addc_u32 s12, s14, s17
	s_addc_u32 s14, s15, 0
	s_mul_i32 s13, s11, s13
	s_add_u32 s12, s12, s13
	s_addc_u32 s13, 0, s14
	v_add_co_u32_e32 v1, vcc, s12, v1
	s_cmp_lg_u64 vcc, 0
	s_addc_u32 s11, s11, s13
	v_readfirstlane_b32 s13, v1
	s_mul_i32 s12, s2, s11
	s_mul_hi_u32 s14, s2, s13
	s_add_i32 s12, s14, s12
	s_mul_i32 s10, s10, s13
	s_add_i32 s12, s12, s10
	s_mul_i32 s2, s2, s13
	s_mul_hi_u32 s14, s11, s2
	s_mul_i32 s15, s11, s2
	s_mul_i32 s17, s13, s12
	s_mul_hi_u32 s2, s13, s2
	s_mul_hi_u32 s16, s13, s12
	s_add_u32 s2, s2, s17
	s_addc_u32 s13, 0, s16
	s_add_u32 s2, s2, s15
	s_mul_hi_u32 s10, s11, s12
	s_addc_u32 s2, s13, s14
	s_addc_u32 s10, s10, 0
	s_mul_i32 s12, s11, s12
	s_add_u32 s2, s2, s12
	s_addc_u32 s10, 0, s10
	v_add_co_u32_e32 v1, vcc, s2, v1
	s_cmp_lg_u64 vcc, 0
	s_addc_u32 s12, s11, s10
	s_ashr_i32 s10, s3, 31
	s_add_u32 s2, s9, s10
	s_mov_b32 s11, s10
	s_addc_u32 s3, s3, s10
	s_xor_b64 s[2:3], s[2:3], s[10:11]
	v_readfirstlane_b32 s15, v1
	s_mul_i32 s14, s2, s12
	s_mul_hi_u32 s16, s2, s15
	s_mul_hi_u32 s13, s2, s12
	s_add_u32 s14, s16, s14
	s_addc_u32 s13, 0, s13
	s_mul_hi_u32 s17, s3, s15
	s_mul_i32 s15, s3, s15
	s_add_u32 s14, s14, s15
	s_mul_hi_u32 s16, s3, s12
	s_addc_u32 s13, s13, s17
	s_addc_u32 s14, s16, 0
	s_mul_i32 s12, s3, s12
	s_add_u32 s12, s13, s12
	s_addc_u32 s13, 0, s14
	s_add_u32 s14, s12, 1
	s_addc_u32 s15, s13, 0
	s_add_u32 s16, s12, 2
	s_mul_i32 s18, s58, s13
	s_mul_hi_u32 s19, s58, s12
	s_addc_u32 s17, s13, 0
	s_add_i32 s19, s19, s18
	s_mul_i32 s18, s58, s12
	v_mov_b32_e32 v1, s18
	v_sub_co_u32_e32 v1, vcc, s2, v1
	s_cmp_lg_u64 vcc, 0
	s_subb_u32 s2, s3, s19
	v_subrev_co_u32_e32 v4, vcc, s58, v1
	s_cmp_lg_u64 vcc, 0
	s_subb_u32 s3, s2, 0
	v_readfirstlane_b32 s18, v4
	s_cmp_ge_u32 s18, s58
	s_cselect_b32 s18, -1, 0
	s_cmp_eq_u32 s3, 0
	s_cselect_b32 s3, s18, -1
	s_cmp_lg_u32 s3, 0
	s_cselect_b32 s3, s17, s15
	v_readfirstlane_b32 s15, v1
	s_cselect_b32 s14, s16, s14
	s_cmp_ge_u32 s15, s58
	s_cselect_b32 s15, -1, 0
	s_cmp_eq_u32 s2, 0
	s_cselect_b32 s2, s15, -1
	s_cmp_lg_u32 s2, 0
	s_cselect_b32 s3, s3, s13
	s_cselect_b32 s2, s14, s12
	s_xor_b64 s[2:3], s[2:3], s[10:11]
	s_sub_u32 s2, s2, s10
	s_subb_u32 s3, s3, s10
	s_cbranch_execnz .LBB61_5
.LBB61_4:
	v_cvt_f32_u32_e32 v1, s58
	s_sub_i32 s0, 0, s58
	s_mov_b32 s3, 0
	v_rcp_iflag_f32_e32 v1, v1
	v_mul_f32_e32 v1, 0x4f7ffffe, v1
	v_cvt_u32_f32_e32 v1, v1
	v_readfirstlane_b32 s1, v1
	s_mul_i32 s0, s0, s1
	s_mul_hi_u32 s0, s1, s0
	s_add_i32 s1, s1, s0
	s_mul_hi_u32 s0, s9, s1
	s_mul_i32 s2, s0, s58
	s_sub_i32 s2, s9, s2
	s_add_i32 s1, s0, 1
	s_sub_i32 s9, s2, s58
	s_cmp_ge_u32 s2, s58
	s_cselect_b32 s0, s1, s0
	s_cselect_b32 s2, s9, s2
	s_add_i32 s1, s0, 1
	s_cmp_ge_u32 s2, s58
	s_cselect_b32 s2, s1, s0
.LBB61_5:
	v_mov_b32_e32 v1, 0
	v_mov_b32_e32 v4, s6
	v_mad_u64_u32 v[14:15], s[0:1], s8, v4, v[0:1]
	s_add_u32 s0, s2, 1
	s_addc_u32 s1, s3, 0
	s_mul_hi_u32 s2, s7, s8
	s_mul_i32 s1, s33, s1
	s_mul_hi_u32 s3, s33, s0
	s_add_i32 s1, s3, s1
	s_mul_i32 s2, s2, s0
	s_add_i32 s1, s1, s2
	s_mul_i32 s0, s33, s0
	s_lshl_b64 s[26:27], s[0:1], 1
	v_cmp_gt_i64_e32 vcc, s[26:27], v[14:15]
	s_and_saveexec_b64 s[0:1], vcc
	s_cbranch_execz .LBB61_50
; %bb.6:
	s_mov_b32 s0, 0x5384540f
	v_mov_b32_e32 v0, v13
	v_add_co_u32_e32 v20, vcc, s0, v12
	s_mov_b32 s0, 0x646e171e
	v_add_co_u32_e32 v21, vcc, s0, v0
	s_mov_b32 s0, 0x1715609d
	;; [unrolled: 2-line block ×6, first 2 shown]
	v_alignbit_b32 v27, v3, v2, 2
	s_mov_b32 s60, 0xd2511f53
	v_add_co_u32_e32 v26, vcc, s0, v12
	v_mad_u64_u32 v[4:5], s[0:1], v27, s60, 0
	v_xor_b32_e32 v1, v5, v13
	v_xor_b32_e32 v1, v1, v15
	s_mov_b32 s61, 0xcd9e8d57
	v_mad_u64_u32 v[6:7], s[0:1], v1, s61, 0
	v_xor_b32_e32 v1, v26, v7
	v_mad_u64_u32 v[8:9], s[0:1], v14, s61, 0
	v_and_b32_e32 v16, 3, v2
	v_xor_b32_e32 v1, v1, v8
	v_xor_b32_e32 v2, v12, v9
	v_lshrrev_b32_e32 v28, 2, v3
	v_mad_u64_u32 v[10:11], s[0:1], v1, s60, 0
	v_xor_b32_e32 v2, v2, v28
	v_xor_b32_e32 v1, v25, v11
	v_mad_u64_u32 v[2:3], s[0:1], v2, s60, 0
	v_xor_b32_e32 v1, v1, v2
	v_mad_u64_u32 v[8:9], s[0:1], v1, s61, 0
	s_mov_b32 s0, 0xbb67ae85
	v_add_co_u32_e32 v29, vcc, s0, v0
	v_xor_b32_e32 v2, v29, v3
	v_xor_b32_e32 v2, v2, v4
	v_xor_b32_e32 v1, v24, v9
	v_mad_u64_u32 v[2:3], s[0:1], v2, s61, 0
	v_xor_b32_e32 v1, v1, v2
	v_mad_u64_u32 v[4:5], s[0:1], v1, s60, 0
	s_mov_b32 s0, 0x3c6ef372
	v_add_co_u32_e32 v30, vcc, s0, v12
	v_xor_b32_e32 v2, v30, v3
	;; [unrolled: 8-line block ×6, first 2 shown]
	v_add_co_u32_e32 v19, vcc, 0xdb3d7428, v0
	v_xor_b32_e32 v2, v2, v6
	v_xor_b32_e32 v1, v19, v5
	v_mad_u64_u32 v[2:3], s[0:1], v2, s60, 0
	v_xor_b32_e32 v1, v1, v2
	v_mad_u64_u32 v[6:7], s[0:1], v1, s61, 0
	s_mov_b32 s0, 0x1fd5c5a3
	v_add_co_u32_e32 v35, vcc, s0, v0
	v_xor_b32_e32 v0, v35, v3
	v_xor_b32_e32 v0, v0, v10
	v_mad_u64_u32 v[0:1], s[0:1], v0, s61, 0
	s_mov_b32 s0, 0xf1bbcdc8
	s_load_dwordx8 s[8:15], s[4:5], 0x30
	v_add_co_u32_e32 v36, vcc, s0, v12
	v_xor_b32_e32 v0, v36, v1
	v_xor_b32_e32 v0, v0, v8
	s_add_u32 s34, s4, 48
	v_mad_u64_u32 v[0:1], s[0:1], v0, s60, 0
	s_addc_u32 s35, s5, 0
	s_waitcnt lgkmcnt(0)
	s_add_i32 s0, s8, -1
	s_cmp_gt_u32 s0, 1
	s_cselect_b64 s[36:37], -1, 0
	s_cmp_lg_u32 s8, 0
	s_cselect_b64 s[38:39], -1, 0
	s_add_u32 s40, s4, 0xf4
	s_addc_u32 s41, s5, 0
	s_min_u32 s1, s0, 15
	s_cmp_gt_u32 s8, 1
	s_cselect_b64 s[42:43], -1, 0
	s_add_i32 s1, s1, 1
	s_mov_b32 s8, s13
	s_load_dwordx2 s[44:45], s[4:5], 0xf4
	s_load_dwordx2 s[46:47], s[4:5], 0x138
	s_and_b32 s13, s1, 3
	s_cmp_lg_u32 s0, 2
	s_cselect_b64 s[48:49], -1, 0
	s_and_b32 s15, s1, 28
	v_add_u32_e32 v18, 0x96a522ad, v13
	v_xor_b32_e32 v1, v1, v4
	s_cmp_lg_u32 s13, 0
	s_mov_b32 s59, 0
	v_add_u32_e32 v17, 0x8ff34781, v12
	v_xor_b32_e32 v2, v18, v1
	v_mov_b32_e32 v1, v6
	v_mov_b32_e32 v3, v0
	s_mov_b64 s[50:51], 0
	s_cselect_b64 s[52:53], -1, 0
	v_mov_b32_e32 v37, v14
	v_mov_b32_e32 v38, v15
	s_branch .LBB61_9
.LBB61_7:                               ;   in Loop: Header=BB61_9 Depth=1
	s_waitcnt lgkmcnt(0)
	global_store_short v8, v3, s[46:47]
.LBB61_8:                               ;   in Loop: Header=BB61_9 Depth=1
	s_or_b64 exec, exec, s[28:29]
	v_add_co_u32_e32 v14, vcc, s58, v14
	v_addc_co_u32_e32 v15, vcc, 0, v15, vcc
	v_mov_b32_e32 v7, v4
	v_cmp_le_i64_e32 vcc, s[26:27], v[14:15]
	v_pk_mov_b32 v[0:1], v[4:5], v[4:5] op_sel:[0,1]
	s_or_b64 s[50:51], vcc, s[50:51]
	v_pk_mov_b32 v[2:3], v[6:7], v[6:7] op_sel:[0,1]
	s_waitcnt lgkmcnt(0)
	s_barrier
	s_andn2_b64 exec, exec, s[50:51]
	s_cbranch_execz .LBB61_50
.LBB61_9:                               ; =>This Loop Header: Depth=1
                                        ;     Child Loop BB61_24 Depth 2
                                        ;     Child Loop BB61_30 Depth 2
	;; [unrolled: 1-line block ×4, first 2 shown]
	v_add_co_u32_e32 v27, vcc, 1, v27
	v_cndmask_b32_e64 v0, 0, 1, vcc
	v_addc_co_u32_e32 v28, vcc, 0, v28, vcc
	v_cmp_eq_u32_e32 vcc, 0, v28
	v_cndmask_b32_e32 v0, 0, v0, vcc
	v_add_u32_e32 v37, v0, v37
	v_cmp_eq_u32_e32 vcc, 0, v37
	v_cndmask_b32_e32 v0, 0, v0, vcc
	v_mad_u64_u32 v[4:5], s[0:1], v27, s60, 0
	v_add_u32_e32 v38, v0, v38
	v_mad_u64_u32 v[6:7], s[0:1], v37, s61, 0
	v_xor_b32_e32 v5, v5, v13
	v_xor_b32_e32 v0, v7, v12
	v_xor_b32_e32 v5, v38, v5
	v_xor_b32_e32 v0, v28, v0
	v_mad_u64_u32 v[10:11], s[0:1], v5, s61, 0
	v_mad_u64_u32 v[8:9], s[0:1], v0, s60, 0
	v_xor_b32_e32 v0, v26, v11
	v_xor_b32_e32 v0, v0, v6
	v_xor_b32_e32 v5, v29, v9
	v_xor_b32_e32 v6, v5, v4
	v_mad_u64_u32 v[4:5], s[0:1], v0, s60, 0
	;; [unrolled: 6-line block ×9, first 2 shown]
	v_mad_u64_u32 v[4:5], s[0:1], v0, s60, 0
	v_xor_b32_e32 v0, v11, v40
	v_xor_b32_e32 v8, v17, v0
	;; [unrolled: 1-line block ×4, first 2 shown]
	v_mov_b32_e32 v5, v10
	v_mov_b32_e32 v6, v9
	v_cmp_lt_i32_e32 vcc, 1, v16
	s_and_saveexec_b64 s[0:1], vcc
	s_xor_b64 s[0:1], exec, s[0:1]
	s_cbranch_execz .LBB61_15
; %bb.10:                               ;   in Loop: Header=BB61_9 Depth=1
	v_cmp_lt_i32_e32 vcc, 2, v16
	s_and_saveexec_b64 s[2:3], vcc
	s_xor_b64 s[2:3], exec, s[2:3]
; %bb.11:                               ;   in Loop: Header=BB61_9 Depth=1
	v_mov_b32_e32 v7, v8
	v_pk_mov_b32 v[0:1], v[6:7], v[6:7] op_sel:[0,1]
	v_pk_mov_b32 v[2:3], v[8:9], v[8:9] op_sel:[0,1]
                                        ; implicit-def: $vgpr10_vgpr11
; %bb.12:                               ;   in Loop: Header=BB61_9 Depth=1
	s_andn2_saveexec_b64 s[2:3], s[2:3]
; %bb.13:                               ;   in Loop: Header=BB61_9 Depth=1
	v_mov_b32_e32 v1, v3
	v_mov_b32_e32 v3, v10
; %bb.14:                               ;   in Loop: Header=BB61_9 Depth=1
	s_or_b64 exec, exec, s[2:3]
                                        ; implicit-def: $vgpr8_vgpr9_vgpr10_vgpr11
.LBB61_15:                              ;   in Loop: Header=BB61_9 Depth=1
	s_andn2_saveexec_b64 s[0:1], s[0:1]
	s_cbranch_execz .LBB61_19
; %bb.16:                               ;   in Loop: Header=BB61_9 Depth=1
	v_cmp_eq_u32_e32 vcc, 1, v16
	s_and_saveexec_b64 s[2:3], vcc
; %bb.17:                               ;   in Loop: Header=BB61_9 Depth=1
	v_mov_b32_e32 v1, v2
	v_mov_b32_e32 v3, v8
; %bb.18:                               ;   in Loop: Header=BB61_9 Depth=1
	s_or_b64 exec, exec, s[2:3]
.LBB61_19:                              ;   in Loop: Header=BB61_9 Depth=1
	s_or_b64 exec, exec, s[0:1]
	v_cndmask_b32_e64 v0, 0, 1, s[36:37]
	v_cmp_gt_i64_e32 vcc, s[24:25], v[14:15]
	v_cmp_ne_u32_e64 s[0:1], 1, v0
	s_and_saveexec_b64 s[2:3], vcc
	s_cbranch_execz .LBB61_35
; %bb.20:                               ;   in Loop: Header=BB61_9 Depth=1
	s_and_b64 vcc, exec, s[0:1]
	s_cbranch_vccnz .LBB61_26
; %bb.21:                               ;   in Loop: Header=BB61_9 Depth=1
	s_andn2_b64 vcc, exec, s[38:39]
	s_cbranch_vccnz .LBB61_27
; %bb.22:                               ;   in Loop: Header=BB61_9 Depth=1
	s_mov_b32 s6, 0
	s_andn2_b64 vcc, exec, s[48:49]
	v_mov_b32_e32 v8, 0
	s_cbranch_vccnz .LBB61_28
; %bb.23:                               ;   in Loop: Header=BB61_9 Depth=1
	s_mov_b32 s62, 0
	v_mov_b32_e32 v8, 0
	s_mov_b64 s[54:55], s[34:35]
	s_mov_b64 s[56:57], s[40:41]
	v_mov_b32_e32 v0, v14
.LBB61_24:                              ;   Parent Loop BB61_9 Depth=1
                                        ; =>  This Inner Loop Header: Depth=2
	s_load_dwordx8 s[16:23], s[54:55], 0x4
	s_load_dwordx4 s[4:7], s[54:55], 0x24
	s_load_dwordx4 s[28:31], s[56:57], 0x0
	s_add_u32 s54, s54, 48
	s_addc_u32 s55, s55, 0
	s_waitcnt lgkmcnt(0)
	v_mul_hi_u32 v2, s17, v0
	v_add_u32_e32 v2, v0, v2
	v_lshrrev_b32_e32 v2, s18, v2
	v_mul_lo_u32 v7, v2, s16
	v_mul_hi_u32 v9, s20, v2
	v_sub_u32_e32 v0, v0, v7
	v_add_u32_e32 v7, v2, v9
	v_lshrrev_b32_e32 v7, s21, v7
	v_mul_lo_u32 v9, v7, s19
	v_mul_hi_u32 v10, s23, v7
	v_sub_u32_e32 v2, v2, v9
	v_add_u32_e32 v9, v7, v10
	v_mul_lo_u32 v0, v0, s28
	v_mul_lo_u32 v2, v2, s29
	v_lshrrev_b32_e32 v9, s4, v9
	v_add3_u32 v2, v0, v8, v2
	v_mul_lo_u32 v0, v9, s22
	v_mul_hi_u32 v8, s6, v9
	v_sub_u32_e32 v0, v7, v0
	v_add_u32_e32 v7, v9, v8
	v_mul_lo_u32 v8, v0, s30
	v_lshrrev_b32_e32 v0, s7, v7
	s_add_i32 s62, s62, 4
	v_mul_lo_u32 v7, v0, s5
	s_add_u32 s56, s56, 16
	v_sub_u32_e32 v7, v9, v7
	s_addc_u32 s57, s57, 0
	v_mul_lo_u32 v7, v7, s31
	s_cmp_lg_u32 s15, s62
	v_add3_u32 v8, v8, v2, v7
	s_cbranch_scc1 .LBB61_24
; %bb.25:                               ;   in Loop: Header=BB61_9 Depth=1
	s_mov_b32 s6, s15
	s_andn2_b64 vcc, exec, s[52:53]
	s_cbranch_vccz .LBB61_29
	s_branch .LBB61_31
.LBB61_26:                              ;   in Loop: Header=BB61_9 Depth=1
                                        ; implicit-def: $vgpr8
	s_branch .LBB61_32
.LBB61_27:                              ;   in Loop: Header=BB61_9 Depth=1
	v_mov_b32_e32 v8, 0
	s_branch .LBB61_31
.LBB61_28:                              ;   in Loop: Header=BB61_9 Depth=1
	v_mov_b32_e32 v0, v14
	s_andn2_b64 vcc, exec, s[52:53]
	s_cbranch_vccnz .LBB61_31
.LBB61_29:                              ;   in Loop: Header=BB61_9 Depth=1
	s_lshl_b32 s4, s6, 2
	s_add_u32 s4, s40, s4
	s_addc_u32 s5, s41, 0
	s_mul_i32 s6, s6, 12
	s_add_u32 s6, s34, s6
	s_addc_u32 s7, s35, 0
	s_mov_b32 s16, s13
.LBB61_30:                              ;   Parent Loop BB61_9 Depth=1
                                        ; =>  This Inner Loop Header: Depth=2
	s_load_dwordx2 s[18:19], s[6:7], 0x4
	s_load_dword s17, s[6:7], 0xc
	s_load_dword s20, s[4:5], 0x0
	s_add_u32 s6, s6, 12
	s_addc_u32 s7, s7, 0
	s_waitcnt lgkmcnt(0)
	v_mul_hi_u32 v2, s19, v0
	v_add_u32_e32 v2, v0, v2
	v_lshrrev_b32_e32 v2, s17, v2
	s_add_u32 s4, s4, 4
	v_mul_lo_u32 v7, v2, s18
	s_addc_u32 s5, s5, 0
	s_add_i32 s16, s16, -1
	v_sub_u32_e32 v7, v0, v7
	s_cmp_lg_u32 s16, 0
	v_mov_b32_e32 v0, v2
	v_mad_u64_u32 v[8:9], s[18:19], v7, s20, v[8:9]
	s_cbranch_scc1 .LBB61_30
.LBB61_31:                              ;   in Loop: Header=BB61_9 Depth=1
	s_cbranch_execnz .LBB61_34
.LBB61_32:                              ;   in Loop: Header=BB61_9 Depth=1
	v_mul_hi_u32 v0, v14, s10
	v_add_u32_e32 v0, v0, v14
	v_lshrrev_b32_e32 v0, s11, v0
	v_mul_lo_u32 v2, v0, s9
	v_sub_u32_e32 v2, v14, v2
	s_andn2_b64 vcc, exec, s[42:43]
	s_waitcnt lgkmcnt(0)
	v_mul_lo_u32 v8, v2, s44
	s_cbranch_vccnz .LBB61_34
; %bb.33:                               ;   in Loop: Header=BB61_9 Depth=1
	v_mul_hi_u32 v2, s8, v0
	v_add_u32_e32 v2, v0, v2
	v_lshrrev_b32_e32 v2, s14, v2
	v_mul_lo_u32 v2, v2, s12
	v_sub_u32_e32 v0, v0, v2
	v_mad_u64_u32 v[8:9], s[4:5], v0, s45, v[8:9]
.LBB61_34:                              ;   in Loop: Header=BB61_9 Depth=1
	s_waitcnt lgkmcnt(0)
	global_store_short v8, v1, s[46:47]
.LBB61_35:                              ;   in Loop: Header=BB61_9 Depth=1
	s_or_b64 exec, exec, s[2:3]
	v_mov_b32_e32 v1, s59
	v_add_co_u32_e32 v0, vcc, s33, v14
	v_addc_co_u32_e32 v1, vcc, v15, v1, vcc
	v_cmp_gt_i64_e32 vcc, s[24:25], v[0:1]
	s_and_saveexec_b64 s[28:29], vcc
	s_cbranch_execz .LBB61_8
; %bb.36:                               ;   in Loop: Header=BB61_9 Depth=1
	s_and_b64 vcc, exec, s[0:1]
	s_cbranch_vccnz .LBB61_42
; %bb.37:                               ;   in Loop: Header=BB61_9 Depth=1
	s_andn2_b64 vcc, exec, s[38:39]
	s_cbranch_vccnz .LBB61_43
; %bb.38:                               ;   in Loop: Header=BB61_9 Depth=1
	s_mov_b32 s2, 0
	s_andn2_b64 vcc, exec, s[48:49]
	v_mov_b32_e32 v8, 0
	s_cbranch_vccnz .LBB61_44
; %bb.39:                               ;   in Loop: Header=BB61_9 Depth=1
	s_mov_b32 s56, 0
	v_mov_b32_e32 v8, 0
	s_mov_b64 s[30:31], s[34:35]
	s_mov_b64 s[54:55], s[40:41]
	v_mov_b32_e32 v1, v0
.LBB61_40:                              ;   Parent Loop BB61_9 Depth=1
                                        ; =>  This Inner Loop Header: Depth=2
	s_load_dwordx8 s[0:7], s[30:31], 0x4
	s_load_dwordx4 s[16:19], s[30:31], 0x24
	s_load_dwordx4 s[20:23], s[54:55], 0x0
	s_add_u32 s30, s30, 48
	s_addc_u32 s31, s31, 0
	s_waitcnt lgkmcnt(0)
	v_mul_hi_u32 v2, s1, v1
	v_add_u32_e32 v2, v1, v2
	v_lshrrev_b32_e32 v2, s2, v2
	v_mul_lo_u32 v7, v2, s0
	v_mul_hi_u32 v9, s4, v2
	v_sub_u32_e32 v1, v1, v7
	v_add_u32_e32 v7, v2, v9
	v_lshrrev_b32_e32 v7, s5, v7
	v_mul_lo_u32 v9, v7, s3
	v_mul_hi_u32 v10, s7, v7
	v_sub_u32_e32 v2, v2, v9
	v_add_u32_e32 v9, v7, v10
	v_mul_lo_u32 v1, v1, s20
	v_mul_lo_u32 v2, v2, s21
	v_lshrrev_b32_e32 v9, s16, v9
	v_add3_u32 v2, v1, v8, v2
	v_mul_lo_u32 v1, v9, s6
	v_mul_hi_u32 v8, s18, v9
	v_sub_u32_e32 v1, v7, v1
	v_add_u32_e32 v7, v9, v8
	v_mul_lo_u32 v8, v1, s22
	v_lshrrev_b32_e32 v1, s19, v7
	s_add_i32 s56, s56, 4
	v_mul_lo_u32 v7, v1, s17
	s_add_u32 s54, s54, 16
	v_sub_u32_e32 v7, v9, v7
	s_addc_u32 s55, s55, 0
	v_mul_lo_u32 v7, v7, s23
	s_cmp_eq_u32 s15, s56
	v_add3_u32 v8, v8, v2, v7
	s_cbranch_scc0 .LBB61_40
; %bb.41:                               ;   in Loop: Header=BB61_9 Depth=1
	s_mov_b32 s2, s15
	s_andn2_b64 vcc, exec, s[52:53]
	s_cbranch_vccz .LBB61_45
	s_branch .LBB61_47
.LBB61_42:                              ;   in Loop: Header=BB61_9 Depth=1
                                        ; implicit-def: $vgpr8
	s_branch .LBB61_48
.LBB61_43:                              ;   in Loop: Header=BB61_9 Depth=1
	v_mov_b32_e32 v8, 0
	s_branch .LBB61_47
.LBB61_44:                              ;   in Loop: Header=BB61_9 Depth=1
	v_mov_b32_e32 v1, v0
	s_andn2_b64 vcc, exec, s[52:53]
	s_cbranch_vccnz .LBB61_47
.LBB61_45:                              ;   in Loop: Header=BB61_9 Depth=1
	s_lshl_b32 s0, s2, 2
	s_add_u32 s0, s40, s0
	s_addc_u32 s1, s41, 0
	s_mul_i32 s2, s2, 12
	s_add_u32 s2, s34, s2
	s_addc_u32 s3, s35, 0
	s_mov_b32 s4, s13
.LBB61_46:                              ;   Parent Loop BB61_9 Depth=1
                                        ; =>  This Inner Loop Header: Depth=2
	s_load_dwordx2 s[6:7], s[2:3], 0x4
	s_load_dword s5, s[2:3], 0xc
	s_load_dword s16, s[0:1], 0x0
	s_add_u32 s2, s2, 12
	s_addc_u32 s3, s3, 0
	s_waitcnt lgkmcnt(0)
	v_mul_hi_u32 v2, s7, v1
	v_add_u32_e32 v2, v1, v2
	v_lshrrev_b32_e32 v2, s5, v2
	s_add_u32 s0, s0, 4
	v_mul_lo_u32 v7, v2, s6
	s_addc_u32 s1, s1, 0
	s_add_i32 s4, s4, -1
	v_sub_u32_e32 v7, v1, v7
	s_cmp_lg_u32 s4, 0
	v_mov_b32_e32 v1, v2
	v_mad_u64_u32 v[8:9], s[6:7], v7, s16, v[8:9]
	s_cbranch_scc1 .LBB61_46
.LBB61_47:                              ;   in Loop: Header=BB61_9 Depth=1
	s_cbranch_execnz .LBB61_7
.LBB61_48:                              ;   in Loop: Header=BB61_9 Depth=1
	v_mul_hi_u32 v1, v0, s10
	v_add_u32_e32 v1, v1, v0
	v_lshrrev_b32_e32 v1, s11, v1
	v_mul_lo_u32 v2, v1, s9
	v_sub_u32_e32 v0, v0, v2
	s_andn2_b64 vcc, exec, s[42:43]
	s_waitcnt lgkmcnt(0)
	v_mul_lo_u32 v8, v0, s44
	s_cbranch_vccnz .LBB61_7
; %bb.49:                               ;   in Loop: Header=BB61_9 Depth=1
	v_mul_hi_u32 v0, s8, v1
	v_add_u32_e32 v0, v1, v0
	v_lshrrev_b32_e32 v0, s14, v0
	v_mul_lo_u32 v0, v0, s12
	v_sub_u32_e32 v0, v1, v0
	v_mad_u64_u32 v[8:9], s[0:1], v0, s45, v[8:9]
	s_branch .LBB61_7
.LBB61_50:
	s_endpgm
.LBB61_51:
                                        ; implicit-def: $sgpr2_sgpr3
	s_andn2_b64 vcc, exec, s[0:1]
	s_cbranch_vccz .LBB61_4
	s_branch .LBB61_5
	.section	.rodata,"a",@progbits
	.p2align	6, 0x0
	.amdhsa_kernel _ZN2at6native12_GLOBAL__N_143distribution_elementwise_grid_stride_kernelImLi2EZZZNS0_9templates4cuda32random_full_64_bits_range_kernelIPNS_17CUDAGeneratorImplEEEvRNS_18TensorIteratorBaseET_ENKUlvE_clEvENKUlvE3_clEvEUlP25hiprandStatePhilox4_32_10E_ZNS1_27distribution_nullary_kernelIsm15HIP_vector_typeIyLj2EES7_SF_ZZZNS5_IS7_EEvS9_SA_ENKSB_clEvENKSC_clEvEUlmE_EEvS9_T2_RKT3_T4_EUlimE0_EEvlNS_15PhiloxCudaStateET1_SK_
		.amdhsa_group_segment_fixed_size 0
		.amdhsa_private_segment_fixed_size 0
		.amdhsa_kernarg_size 584
		.amdhsa_user_sgpr_count 6
		.amdhsa_user_sgpr_private_segment_buffer 1
		.amdhsa_user_sgpr_dispatch_ptr 0
		.amdhsa_user_sgpr_queue_ptr 0
		.amdhsa_user_sgpr_kernarg_segment_ptr 1
		.amdhsa_user_sgpr_dispatch_id 0
		.amdhsa_user_sgpr_flat_scratch_init 0
		.amdhsa_user_sgpr_kernarg_preload_length 0
		.amdhsa_user_sgpr_kernarg_preload_offset 0
		.amdhsa_user_sgpr_private_segment_size 0
		.amdhsa_uses_dynamic_stack 0
		.amdhsa_system_sgpr_private_segment_wavefront_offset 0
		.amdhsa_system_sgpr_workgroup_id_x 1
		.amdhsa_system_sgpr_workgroup_id_y 0
		.amdhsa_system_sgpr_workgroup_id_z 0
		.amdhsa_system_sgpr_workgroup_info 0
		.amdhsa_system_vgpr_workitem_id 0
		.amdhsa_next_free_vgpr 42
		.amdhsa_next_free_sgpr 63
		.amdhsa_accum_offset 44
		.amdhsa_reserve_vcc 1
		.amdhsa_reserve_flat_scratch 0
		.amdhsa_float_round_mode_32 0
		.amdhsa_float_round_mode_16_64 0
		.amdhsa_float_denorm_mode_32 3
		.amdhsa_float_denorm_mode_16_64 3
		.amdhsa_dx10_clamp 1
		.amdhsa_ieee_mode 1
		.amdhsa_fp16_overflow 0
		.amdhsa_tg_split 0
		.amdhsa_exception_fp_ieee_invalid_op 0
		.amdhsa_exception_fp_denorm_src 0
		.amdhsa_exception_fp_ieee_div_zero 0
		.amdhsa_exception_fp_ieee_overflow 0
		.amdhsa_exception_fp_ieee_underflow 0
		.amdhsa_exception_fp_ieee_inexact 0
		.amdhsa_exception_int_div_zero 0
	.end_amdhsa_kernel
	.section	.text._ZN2at6native12_GLOBAL__N_143distribution_elementwise_grid_stride_kernelImLi2EZZZNS0_9templates4cuda32random_full_64_bits_range_kernelIPNS_17CUDAGeneratorImplEEEvRNS_18TensorIteratorBaseET_ENKUlvE_clEvENKUlvE3_clEvEUlP25hiprandStatePhilox4_32_10E_ZNS1_27distribution_nullary_kernelIsm15HIP_vector_typeIyLj2EES7_SF_ZZZNS5_IS7_EEvS9_SA_ENKSB_clEvENKSC_clEvEUlmE_EEvS9_T2_RKT3_T4_EUlimE0_EEvlNS_15PhiloxCudaStateET1_SK_,"axG",@progbits,_ZN2at6native12_GLOBAL__N_143distribution_elementwise_grid_stride_kernelImLi2EZZZNS0_9templates4cuda32random_full_64_bits_range_kernelIPNS_17CUDAGeneratorImplEEEvRNS_18TensorIteratorBaseET_ENKUlvE_clEvENKUlvE3_clEvEUlP25hiprandStatePhilox4_32_10E_ZNS1_27distribution_nullary_kernelIsm15HIP_vector_typeIyLj2EES7_SF_ZZZNS5_IS7_EEvS9_SA_ENKSB_clEvENKSC_clEvEUlmE_EEvS9_T2_RKT3_T4_EUlimE0_EEvlNS_15PhiloxCudaStateET1_SK_,comdat
.Lfunc_end61:
	.size	_ZN2at6native12_GLOBAL__N_143distribution_elementwise_grid_stride_kernelImLi2EZZZNS0_9templates4cuda32random_full_64_bits_range_kernelIPNS_17CUDAGeneratorImplEEEvRNS_18TensorIteratorBaseET_ENKUlvE_clEvENKUlvE3_clEvEUlP25hiprandStatePhilox4_32_10E_ZNS1_27distribution_nullary_kernelIsm15HIP_vector_typeIyLj2EES7_SF_ZZZNS5_IS7_EEvS9_SA_ENKSB_clEvENKSC_clEvEUlmE_EEvS9_T2_RKT3_T4_EUlimE0_EEvlNS_15PhiloxCudaStateET1_SK_, .Lfunc_end61-_ZN2at6native12_GLOBAL__N_143distribution_elementwise_grid_stride_kernelImLi2EZZZNS0_9templates4cuda32random_full_64_bits_range_kernelIPNS_17CUDAGeneratorImplEEEvRNS_18TensorIteratorBaseET_ENKUlvE_clEvENKUlvE3_clEvEUlP25hiprandStatePhilox4_32_10E_ZNS1_27distribution_nullary_kernelIsm15HIP_vector_typeIyLj2EES7_SF_ZZZNS5_IS7_EEvS9_SA_ENKSB_clEvENKSC_clEvEUlmE_EEvS9_T2_RKT3_T4_EUlimE0_EEvlNS_15PhiloxCudaStateET1_SK_
                                        ; -- End function
	.section	.AMDGPU.csdata,"",@progbits
; Kernel info:
; codeLenInByte = 3168
; NumSgprs: 67
; NumVgprs: 42
; NumAgprs: 0
; TotalNumVgprs: 42
; ScratchSize: 0
; MemoryBound: 0
; FloatMode: 240
; IeeeMode: 1
; LDSByteSize: 0 bytes/workgroup (compile time only)
; SGPRBlocks: 8
; VGPRBlocks: 5
; NumSGPRsForWavesPerEU: 67
; NumVGPRsForWavesPerEU: 42
; AccumOffset: 44
; Occupancy: 8
; WaveLimiterHint : 1
; COMPUTE_PGM_RSRC2:SCRATCH_EN: 0
; COMPUTE_PGM_RSRC2:USER_SGPR: 6
; COMPUTE_PGM_RSRC2:TRAP_HANDLER: 0
; COMPUTE_PGM_RSRC2:TGID_X_EN: 1
; COMPUTE_PGM_RSRC2:TGID_Y_EN: 0
; COMPUTE_PGM_RSRC2:TGID_Z_EN: 0
; COMPUTE_PGM_RSRC2:TIDIG_COMP_CNT: 0
; COMPUTE_PGM_RSRC3_GFX90A:ACCUM_OFFSET: 10
; COMPUTE_PGM_RSRC3_GFX90A:TG_SPLIT: 0
	.section	.text._ZN2at6native12_GLOBAL__N_143distribution_elementwise_grid_stride_kernelImLi2EZZZNS0_9templates4cuda32random_full_64_bits_range_kernelIPNS_17CUDAGeneratorImplEEEvRNS_18TensorIteratorBaseET_ENKUlvE_clEvENKUlvE4_clEvEUlP25hiprandStatePhilox4_32_10E_ZNS1_27distribution_nullary_kernelIdm15HIP_vector_typeIyLj2EES7_SF_ZZZNS5_IS7_EEvS9_SA_ENKSB_clEvENKSC_clEvEUlmE_EEvS9_T2_RKT3_T4_EUlimE_EEvlNS_15PhiloxCudaStateET1_SK_,"axG",@progbits,_ZN2at6native12_GLOBAL__N_143distribution_elementwise_grid_stride_kernelImLi2EZZZNS0_9templates4cuda32random_full_64_bits_range_kernelIPNS_17CUDAGeneratorImplEEEvRNS_18TensorIteratorBaseET_ENKUlvE_clEvENKUlvE4_clEvEUlP25hiprandStatePhilox4_32_10E_ZNS1_27distribution_nullary_kernelIdm15HIP_vector_typeIyLj2EES7_SF_ZZZNS5_IS7_EEvS9_SA_ENKSB_clEvENKSC_clEvEUlmE_EEvS9_T2_RKT3_T4_EUlimE_EEvlNS_15PhiloxCudaStateET1_SK_,comdat
	.globl	_ZN2at6native12_GLOBAL__N_143distribution_elementwise_grid_stride_kernelImLi2EZZZNS0_9templates4cuda32random_full_64_bits_range_kernelIPNS_17CUDAGeneratorImplEEEvRNS_18TensorIteratorBaseET_ENKUlvE_clEvENKUlvE4_clEvEUlP25hiprandStatePhilox4_32_10E_ZNS1_27distribution_nullary_kernelIdm15HIP_vector_typeIyLj2EES7_SF_ZZZNS5_IS7_EEvS9_SA_ENKSB_clEvENKSC_clEvEUlmE_EEvS9_T2_RKT3_T4_EUlimE_EEvlNS_15PhiloxCudaStateET1_SK_ ; -- Begin function _ZN2at6native12_GLOBAL__N_143distribution_elementwise_grid_stride_kernelImLi2EZZZNS0_9templates4cuda32random_full_64_bits_range_kernelIPNS_17CUDAGeneratorImplEEEvRNS_18TensorIteratorBaseET_ENKUlvE_clEvENKUlvE4_clEvEUlP25hiprandStatePhilox4_32_10E_ZNS1_27distribution_nullary_kernelIdm15HIP_vector_typeIyLj2EES7_SF_ZZZNS5_IS7_EEvS9_SA_ENKSB_clEvENKSC_clEvEUlmE_EEvS9_T2_RKT3_T4_EUlimE_EEvlNS_15PhiloxCudaStateET1_SK_
	.p2align	8
	.type	_ZN2at6native12_GLOBAL__N_143distribution_elementwise_grid_stride_kernelImLi2EZZZNS0_9templates4cuda32random_full_64_bits_range_kernelIPNS_17CUDAGeneratorImplEEEvRNS_18TensorIteratorBaseET_ENKUlvE_clEvENKUlvE4_clEvEUlP25hiprandStatePhilox4_32_10E_ZNS1_27distribution_nullary_kernelIdm15HIP_vector_typeIyLj2EES7_SF_ZZZNS5_IS7_EEvS9_SA_ENKSB_clEvENKSC_clEvEUlmE_EEvS9_T2_RKT3_T4_EUlimE_EEvlNS_15PhiloxCudaStateET1_SK_,@function
_ZN2at6native12_GLOBAL__N_143distribution_elementwise_grid_stride_kernelImLi2EZZZNS0_9templates4cuda32random_full_64_bits_range_kernelIPNS_17CUDAGeneratorImplEEEvRNS_18TensorIteratorBaseET_ENKUlvE_clEvENKUlvE4_clEvEUlP25hiprandStatePhilox4_32_10E_ZNS1_27distribution_nullary_kernelIdm15HIP_vector_typeIyLj2EES7_SF_ZZZNS5_IS7_EEvS9_SA_ENKSB_clEvENKSC_clEvEUlmE_EEvS9_T2_RKT3_T4_EUlimE_EEvlNS_15PhiloxCudaStateET1_SK_: ; @_ZN2at6native12_GLOBAL__N_143distribution_elementwise_grid_stride_kernelImLi2EZZZNS0_9templates4cuda32random_full_64_bits_range_kernelIPNS_17CUDAGeneratorImplEEEvRNS_18TensorIteratorBaseET_ENKUlvE_clEvENKUlvE4_clEvEUlP25hiprandStatePhilox4_32_10E_ZNS1_27distribution_nullary_kernelIdm15HIP_vector_typeIyLj2EES7_SF_ZZZNS5_IS7_EEvS9_SA_ENKSB_clEvENKSC_clEvEUlmE_EEvS9_T2_RKT3_T4_EUlimE_EEvlNS_15PhiloxCudaStateET1_SK_
; %bb.0:
	s_load_dword s7, s[4:5], 0x20
	s_load_dwordx2 s[10:11], s[4:5], 0x10
	s_load_dwordx4 s[0:3], s[4:5], 0x0
	s_mov_b32 s8, 0
	s_waitcnt lgkmcnt(0)
	s_bitcmp0_b32 s7, 0
	v_pk_mov_b32 v[2:3], s[10:11], s[10:11] op_sel:[0,1]
	v_pk_mov_b32 v[14:15], s[2:3], s[2:3] op_sel:[0,1]
	s_cbranch_scc1 .LBB62_2
; %bb.1:
	v_pk_mov_b32 v[2:3], s[10:11], s[10:11] op_sel:[0,1]
	flat_load_dwordx2 v[2:3], v[2:3]
	v_pk_mov_b32 v[4:5], s[2:3], s[2:3] op_sel:[0,1]
	flat_load_dwordx2 v[14:15], v[4:5]
	s_load_dwordx2 s[2:3], s[4:5], 0x18
	s_waitcnt lgkmcnt(0)
	v_mov_b32_e32 v1, s3
	s_waitcnt vmcnt(0)
	v_add_co_u32_e32 v2, vcc, s2, v2
	v_addc_co_u32_e32 v3, vcc, v3, v1, vcc
.LBB62_2:
	s_load_dword s2, s[4:5], 0x4c
	s_load_dword s10, s[4:5], 0x40
	s_waitcnt lgkmcnt(0)
	s_and_b32 s7, s2, 0xffff
	s_add_u32 s11, s0, -1
	s_mul_i32 s12, s10, s7
	s_addc_u32 s9, s1, -1
	s_lshl_b32 s13, s12, 1
	s_cmp_lg_u64 s[8:9], 0
	s_mov_b64 s[2:3], -1
	s_cbranch_scc0 .LBB62_23
; %bb.3:
	v_cvt_f32_u32_e32 v1, s13
	v_cvt_f32_ubyte0_e32 v4, 0
	s_sub_u32 s8, 0, s13
	s_subb_u32 s14, 0, 0
	v_madmk_f32 v1, v4, 0x4f800000, v1
	v_rcp_f32_e32 v1, v1
	v_mul_f32_e32 v1, 0x5f7ffffc, v1
	v_mul_f32_e32 v4, 0x2f800000, v1
	v_trunc_f32_e32 v4, v4
	v_madmk_f32 v1, v4, 0xcf800000, v1
	v_cvt_u32_f32_e32 v4, v4
	v_cvt_u32_f32_e32 v1, v1
	v_readfirstlane_b32 s15, v4
	v_readfirstlane_b32 s16, v1
	s_mul_i32 s17, s8, s15
	s_mul_hi_u32 s19, s8, s16
	s_mul_i32 s18, s14, s16
	s_add_i32 s17, s19, s17
	s_add_i32 s17, s17, s18
	s_mul_i32 s20, s8, s16
	s_mul_hi_u32 s18, s16, s17
	s_mul_i32 s19, s16, s17
	s_mul_hi_u32 s16, s16, s20
	s_add_u32 s16, s16, s19
	s_addc_u32 s18, 0, s18
	s_mul_hi_u32 s21, s15, s20
	s_mul_i32 s20, s15, s20
	s_add_u32 s16, s16, s20
	s_mul_hi_u32 s19, s15, s17
	s_addc_u32 s16, s18, s21
	s_addc_u32 s18, s19, 0
	s_mul_i32 s17, s15, s17
	s_add_u32 s16, s16, s17
	s_addc_u32 s17, 0, s18
	v_add_co_u32_e32 v1, vcc, s16, v1
	s_cmp_lg_u64 vcc, 0
	s_addc_u32 s15, s15, s17
	v_readfirstlane_b32 s17, v1
	s_mul_i32 s16, s8, s15
	s_mul_hi_u32 s18, s8, s17
	s_add_i32 s16, s18, s16
	s_mul_i32 s14, s14, s17
	s_add_i32 s16, s16, s14
	s_mul_i32 s8, s8, s17
	s_mul_hi_u32 s18, s15, s8
	s_mul_i32 s19, s15, s8
	s_mul_i32 s21, s17, s16
	s_mul_hi_u32 s8, s17, s8
	s_mul_hi_u32 s20, s17, s16
	s_add_u32 s8, s8, s21
	s_addc_u32 s17, 0, s20
	s_add_u32 s8, s8, s19
	s_mul_hi_u32 s14, s15, s16
	s_addc_u32 s8, s17, s18
	s_addc_u32 s14, s14, 0
	s_mul_i32 s16, s15, s16
	s_add_u32 s8, s8, s16
	s_addc_u32 s14, 0, s14
	v_add_co_u32_e32 v1, vcc, s8, v1
	s_cmp_lg_u64 vcc, 0
	s_addc_u32 s16, s15, s14
	s_ashr_i32 s14, s9, 31
	s_add_u32 s8, s11, s14
	s_mov_b32 s15, s14
	s_addc_u32 s9, s9, s14
	s_xor_b64 s[8:9], s[8:9], s[14:15]
	v_readfirstlane_b32 s19, v1
	s_mul_i32 s18, s8, s16
	s_mul_hi_u32 s20, s8, s19
	s_mul_hi_u32 s17, s8, s16
	s_add_u32 s18, s20, s18
	s_addc_u32 s17, 0, s17
	s_mul_hi_u32 s21, s9, s19
	s_mul_i32 s19, s9, s19
	s_add_u32 s18, s18, s19
	s_mul_hi_u32 s20, s9, s16
	s_addc_u32 s17, s17, s21
	s_addc_u32 s18, s20, 0
	s_mul_i32 s16, s9, s16
	s_add_u32 s16, s17, s16
	s_addc_u32 s17, 0, s18
	s_add_u32 s18, s16, 1
	s_addc_u32 s19, s17, 0
	s_add_u32 s20, s16, 2
	s_mul_i32 s22, s13, s17
	s_mul_hi_u32 s23, s13, s16
	s_addc_u32 s21, s17, 0
	s_add_i32 s23, s23, s22
	s_mul_i32 s22, s13, s16
	v_mov_b32_e32 v1, s22
	v_sub_co_u32_e32 v1, vcc, s8, v1
	s_cmp_lg_u64 vcc, 0
	s_subb_u32 s8, s9, s23
	v_subrev_co_u32_e32 v4, vcc, s13, v1
	s_cmp_lg_u64 vcc, 0
	s_subb_u32 s9, s8, 0
	v_readfirstlane_b32 s22, v4
	s_cmp_ge_u32 s22, s13
	s_cselect_b32 s22, -1, 0
	s_cmp_eq_u32 s9, 0
	s_cselect_b32 s9, s22, -1
	s_cmp_lg_u32 s9, 0
	s_cselect_b32 s9, s21, s19
	v_readfirstlane_b32 s19, v1
	s_cselect_b32 s18, s20, s18
	s_cmp_ge_u32 s19, s13
	s_cselect_b32 s19, -1, 0
	s_cmp_eq_u32 s8, 0
	s_cselect_b32 s8, s19, -1
	s_cmp_lg_u32 s8, 0
	s_cselect_b32 s9, s9, s17
	s_cselect_b32 s8, s18, s16
	s_xor_b64 s[8:9], s[8:9], s[14:15]
	s_sub_u32 s8, s8, s14
	s_subb_u32 s9, s9, s14
	s_cbranch_execnz .LBB62_5
.LBB62_4:
	v_cvt_f32_u32_e32 v1, s13
	s_sub_i32 s2, 0, s13
	s_mov_b32 s9, 0
	v_rcp_iflag_f32_e32 v1, v1
	v_mul_f32_e32 v1, 0x4f7ffffe, v1
	v_cvt_u32_f32_e32 v1, v1
	v_readfirstlane_b32 s3, v1
	s_mul_i32 s2, s2, s3
	s_mul_hi_u32 s2, s3, s2
	s_add_i32 s3, s3, s2
	s_mul_hi_u32 s2, s11, s3
	s_mul_i32 s8, s2, s13
	s_sub_i32 s8, s11, s8
	s_add_i32 s3, s2, 1
	s_sub_i32 s11, s8, s13
	s_cmp_ge_u32 s8, s13
	s_cselect_b32 s2, s3, s2
	s_cselect_b32 s8, s11, s8
	s_add_i32 s3, s2, 1
	s_cmp_ge_u32 s8, s13
	s_cselect_b32 s8, s3, s2
.LBB62_5:
	v_mov_b32_e32 v1, 0
	v_mov_b32_e32 v4, s6
	v_mad_u64_u32 v[16:17], s[2:3], s7, v4, v[0:1]
	s_add_u32 s2, s8, 1
	s_addc_u32 s3, s9, 0
	s_mul_hi_u32 s8, s10, s7
	s_mul_i32 s3, s12, s3
	s_mul_hi_u32 s9, s12, s2
	s_add_i32 s3, s9, s3
	s_mul_i32 s8, s8, s2
	s_add_i32 s3, s3, s8
	s_mul_i32 s2, s12, s2
	s_lshl_b64 s[2:3], s[2:3], 1
	v_cmp_gt_i64_e32 vcc, s[2:3], v[16:17]
	s_and_saveexec_b64 s[8:9], vcc
	s_cbranch_execz .LBB62_22
; %bb.6:
	s_load_dwordx2 s[8:9], s[4:5], 0x30
	s_load_dword s11, s[4:5], 0x38
	s_mov_b32 s4, 0x5384540f
	v_mov_b32_e32 v4, v15
	v_add_co_u32_e32 v22, vcc, s4, v14
	s_mov_b32 s4, 0x646e171e
	v_add_co_u32_e32 v23, vcc, s4, v4
	s_mov_b32 s4, 0x1715609d
	;; [unrolled: 2-line block ×6, first 2 shown]
	v_alignbit_b32 v29, v3, v2, 2
	s_mov_b32 s15, 0xd2511f53
	v_add_co_u32_e32 v28, vcc, s4, v14
	v_mad_u64_u32 v[6:7], s[4:5], v29, s15, 0
	v_xor_b32_e32 v1, v7, v15
	v_xor_b32_e32 v1, v1, v17
	s_mov_b32 s16, 0xcd9e8d57
	v_mad_u64_u32 v[8:9], s[4:5], v1, s16, 0
	v_xor_b32_e32 v1, v28, v9
	v_mad_u64_u32 v[10:11], s[4:5], v16, s16, 0
	v_and_b32_e32 v18, 3, v2
	v_xor_b32_e32 v1, v1, v10
	v_xor_b32_e32 v2, v14, v11
	v_lshrrev_b32_e32 v30, 2, v3
	v_mad_u64_u32 v[12:13], s[4:5], v1, s15, 0
	v_xor_b32_e32 v2, v2, v30
	v_xor_b32_e32 v1, v27, v13
	v_mad_u64_u32 v[2:3], s[4:5], v2, s15, 0
	v_xor_b32_e32 v1, v1, v2
	v_mad_u64_u32 v[10:11], s[4:5], v1, s16, 0
	s_mov_b32 s4, 0xbb67ae85
	v_add_co_u32_e32 v31, vcc, s4, v4
	v_xor_b32_e32 v2, v31, v3
	v_xor_b32_e32 v2, v2, v6
	v_xor_b32_e32 v1, v26, v11
	v_mad_u64_u32 v[2:3], s[4:5], v2, s16, 0
	v_xor_b32_e32 v1, v1, v2
	v_mad_u64_u32 v[6:7], s[4:5], v1, s15, 0
	s_mov_b32 s4, 0x3c6ef372
	v_add_co_u32_e32 v32, vcc, s4, v14
	v_xor_b32_e32 v2, v32, v3
	;; [unrolled: 8-line block ×6, first 2 shown]
	v_add_co_u32_e32 v21, vcc, 0xdb3d7428, v4
	v_xor_b32_e32 v2, v2, v8
	v_xor_b32_e32 v1, v21, v7
	v_mad_u64_u32 v[2:3], s[4:5], v2, s15, 0
	v_xor_b32_e32 v1, v1, v2
	v_mad_u64_u32 v[8:9], s[4:5], v1, s16, 0
	s_mov_b32 s4, 0x1fd5c5a3
	v_add_co_u32_e32 v37, vcc, s4, v4
	v_xor_b32_e32 v1, v37, v3
	v_xor_b32_e32 v1, v1, v12
	v_mad_u64_u32 v[2:3], s[4:5], v1, s16, 0
	s_mov_b32 s4, 0xf1bbcdc8
	v_add_u32_e32 v19, 0x8ff34781, v14
	v_xor_b32_e32 v1, v9, v2
	v_add_co_u32_e32 v38, vcc, s4, v14
	v_xor_b32_e32 v2, v19, v1
	v_xor_b32_e32 v1, v38, v3
	;; [unrolled: 1-line block ×3, first 2 shown]
	v_mad_u64_u32 v[10:11], s[4:5], v1, s15, 0
	v_add_u32_e32 v20, 0x96a522ad, v15
	v_xor_b32_e32 v1, v11, v6
	s_mul_i32 s4, s6, s7
	v_xor_b32_e32 v4, v20, v1
	v_add_u32_e32 v1, s4, v0
	s_waitcnt lgkmcnt(0)
	s_mul_i32 s4, s10, s11
	s_mul_i32 s4, s4, s7
	s_lshl_b32 s17, s4, 1
	s_add_i32 s4, s6, s10
	s_mul_i32 s4, s4, s7
	s_mov_b32 s14, 0
	v_add_u32_e32 v0, s4, v0
	v_mov_b32_e32 v3, v8
	v_mov_b32_e32 v5, v10
	v_mul_lo_u32 v39, s11, v1
	v_mul_lo_u32 v40, s11, v0
	s_mov_b64 s[4:5], 0
	s_mov_b32 s18, s14
	v_mov_b32_e32 v41, v16
	v_mov_b32_e32 v42, v17
	s_branch .LBB62_8
.LBB62_7:                               ;   in Loop: Header=BB62_8 Depth=1
	s_or_b64 exec, exec, s[6:7]
	v_add_co_u32_e32 v16, vcc, s13, v16
	v_addc_co_u32_e32 v17, vcc, 0, v17, vcc
	v_mov_b32_e32 v9, v0
	s_add_i32 s18, s18, s17
	v_cmp_le_i64_e32 vcc, s[2:3], v[16:17]
	v_pk_mov_b32 v[2:3], v[6:7], v[6:7] op_sel:[0,1]
	s_or_b64 s[4:5], vcc, s[4:5]
	v_pk_mov_b32 v[4:5], v[8:9], v[8:9] op_sel:[0,1]
	s_barrier
	s_andn2_b64 exec, exec, s[4:5]
	s_cbranch_execz .LBB62_22
.LBB62_8:                               ; =>This Inner Loop Header: Depth=1
	v_add_co_u32_e32 v29, vcc, 1, v29
	v_cndmask_b32_e64 v0, 0, 1, vcc
	v_addc_co_u32_e32 v30, vcc, 0, v30, vcc
	v_cmp_eq_u32_e32 vcc, 0, v30
	v_cndmask_b32_e32 v0, 0, v0, vcc
	v_add_u32_e32 v41, v0, v41
	v_cmp_eq_u32_e32 vcc, 0, v41
	v_cndmask_b32_e32 v0, 0, v0, vcc
	v_add_u32_e32 v42, v0, v42
	v_mad_u64_u32 v[0:1], s[6:7], v29, s15, 0
	v_mad_u64_u32 v[6:7], s[6:7], v41, s16, 0
	v_xor_b32_e32 v1, v1, v15
	v_xor_b32_e32 v7, v7, v14
	v_xor_b32_e32 v1, v42, v1
	v_xor_b32_e32 v7, v30, v7
	v_mad_u64_u32 v[10:11], s[6:7], v1, s16, 0
	v_mad_u64_u32 v[8:9], s[6:7], v7, s15, 0
	v_xor_b32_e32 v1, v28, v11
	v_xor_b32_e32 v1, v1, v6
	v_xor_b32_e32 v6, v31, v9
	v_xor_b32_e32 v6, v6, v0
	;; [unrolled: 6-line block ×10, first 2 shown]
	v_mov_b32_e32 v7, v12
	v_mov_b32_e32 v8, v13
	v_cmp_lt_i32_e32 vcc, 1, v18
	s_and_saveexec_b64 s[6:7], vcc
	s_xor_b64 s[6:7], exec, s[6:7]
	s_cbranch_execnz .LBB62_14
; %bb.9:                                ;   in Loop: Header=BB62_8 Depth=1
	s_andn2_saveexec_b64 s[6:7], s[6:7]
	s_cbranch_execnz .LBB62_19
.LBB62_10:                              ;   in Loop: Header=BB62_8 Depth=1
	s_or_b64 exec, exec, s[6:7]
	v_cmp_gt_i64_e32 vcc, s[0:1], v[16:17]
	s_and_saveexec_b64 s[6:7], vcc
	s_cbranch_execz .LBB62_12
.LBB62_11:                              ;   in Loop: Header=BB62_8 Depth=1
	v_add_u32_e32 v1, s18, v39
	v_cvt_f64_i32_e32 v[12:13], v2
	v_ashrrev_i32_e32 v9, 31, v1
	v_mov_b32_e32 v11, s9
	v_add_co_u32_e32 v10, vcc, s8, v1
	v_ldexp_f64 v[12:13], v[12:13], 32
	v_cvt_f64_u32_e32 v[2:3], v3
	v_addc_co_u32_e32 v11, vcc, v11, v9, vcc
	v_add_f64 v[2:3], v[12:13], v[2:3]
	global_store_dwordx2 v[10:11], v[2:3], off
.LBB62_12:                              ;   in Loop: Header=BB62_8 Depth=1
	s_or_b64 exec, exec, s[6:7]
	v_mov_b32_e32 v1, s14
	v_add_co_u32_e32 v2, vcc, s12, v16
	v_addc_co_u32_e32 v3, vcc, v1, v17, vcc
	v_cmp_gt_i64_e32 vcc, s[0:1], v[2:3]
	s_and_saveexec_b64 s[6:7], vcc
	s_cbranch_execz .LBB62_7
; %bb.13:                               ;   in Loop: Header=BB62_8 Depth=1
	v_add_u32_e32 v1, s18, v40
	v_cvt_f64_i32_e32 v[10:11], v4
	v_ashrrev_i32_e32 v3, 31, v1
	v_mov_b32_e32 v9, s9
	v_add_co_u32_e32 v2, vcc, s8, v1
	v_ldexp_f64 v[10:11], v[10:11], 32
	v_cvt_f64_u32_e32 v[4:5], v5
	v_addc_co_u32_e32 v3, vcc, v9, v3, vcc
	v_add_f64 v[4:5], v[10:11], v[4:5]
	global_store_dwordx2 v[2:3], v[4:5], off
	s_branch .LBB62_7
.LBB62_14:                              ;   in Loop: Header=BB62_8 Depth=1
	v_cmp_lt_i32_e32 vcc, 2, v18
	s_and_saveexec_b64 s[10:11], vcc
	s_xor_b64 s[10:11], exec, s[10:11]
; %bb.15:                               ;   in Loop: Header=BB62_8 Depth=1
	v_mov_b32_e32 v10, v5
	v_mov_b32_e32 v11, v6
	v_pk_mov_b32 v[2:3], v[10:11], v[10:11] op_sel:[0,1]
	v_pk_mov_b32 v[4:5], v[12:13], v[12:13] op_sel:[0,1]
                                        ; implicit-def: $vgpr12_vgpr13
; %bb.16:                               ;   in Loop: Header=BB62_8 Depth=1
	s_andn2_saveexec_b64 s[10:11], s[10:11]
; %bb.17:                               ;   in Loop: Header=BB62_8 Depth=1
	v_mov_b32_e32 v2, v4
	v_mov_b32_e32 v3, v5
	;; [unrolled: 1-line block ×4, first 2 shown]
; %bb.18:                               ;   in Loop: Header=BB62_8 Depth=1
	s_or_b64 exec, exec, s[10:11]
	s_andn2_saveexec_b64 s[6:7], s[6:7]
	s_cbranch_execz .LBB62_10
.LBB62_19:                              ;   in Loop: Header=BB62_8 Depth=1
	v_cmp_eq_u32_e32 vcc, 1, v18
	s_and_saveexec_b64 s[10:11], vcc
; %bb.20:                               ;   in Loop: Header=BB62_8 Depth=1
	v_mov_b32_e32 v2, v3
	v_mov_b32_e32 v3, v4
	;; [unrolled: 1-line block ×4, first 2 shown]
; %bb.21:                               ;   in Loop: Header=BB62_8 Depth=1
	s_or_b64 exec, exec, s[10:11]
	s_or_b64 exec, exec, s[6:7]
	v_cmp_gt_i64_e32 vcc, s[0:1], v[16:17]
	s_and_saveexec_b64 s[6:7], vcc
	s_cbranch_execnz .LBB62_11
	s_branch .LBB62_12
.LBB62_22:
	s_endpgm
.LBB62_23:
                                        ; implicit-def: $sgpr8_sgpr9
	s_andn2_b64 vcc, exec, s[2:3]
	s_cbranch_vccz .LBB62_4
	s_branch .LBB62_5
	.section	.rodata,"a",@progbits
	.p2align	6, 0x0
	.amdhsa_kernel _ZN2at6native12_GLOBAL__N_143distribution_elementwise_grid_stride_kernelImLi2EZZZNS0_9templates4cuda32random_full_64_bits_range_kernelIPNS_17CUDAGeneratorImplEEEvRNS_18TensorIteratorBaseET_ENKUlvE_clEvENKUlvE4_clEvEUlP25hiprandStatePhilox4_32_10E_ZNS1_27distribution_nullary_kernelIdm15HIP_vector_typeIyLj2EES7_SF_ZZZNS5_IS7_EEvS9_SA_ENKSB_clEvENKSC_clEvEUlmE_EEvS9_T2_RKT3_T4_EUlimE_EEvlNS_15PhiloxCudaStateET1_SK_
		.amdhsa_group_segment_fixed_size 0
		.amdhsa_private_segment_fixed_size 0
		.amdhsa_kernarg_size 320
		.amdhsa_user_sgpr_count 6
		.amdhsa_user_sgpr_private_segment_buffer 1
		.amdhsa_user_sgpr_dispatch_ptr 0
		.amdhsa_user_sgpr_queue_ptr 0
		.amdhsa_user_sgpr_kernarg_segment_ptr 1
		.amdhsa_user_sgpr_dispatch_id 0
		.amdhsa_user_sgpr_flat_scratch_init 0
		.amdhsa_user_sgpr_kernarg_preload_length 0
		.amdhsa_user_sgpr_kernarg_preload_offset 0
		.amdhsa_user_sgpr_private_segment_size 0
		.amdhsa_uses_dynamic_stack 0
		.amdhsa_system_sgpr_private_segment_wavefront_offset 0
		.amdhsa_system_sgpr_workgroup_id_x 1
		.amdhsa_system_sgpr_workgroup_id_y 0
		.amdhsa_system_sgpr_workgroup_id_z 0
		.amdhsa_system_sgpr_workgroup_info 0
		.amdhsa_system_vgpr_workitem_id 0
		.amdhsa_next_free_vgpr 46
		.amdhsa_next_free_sgpr 24
		.amdhsa_accum_offset 48
		.amdhsa_reserve_vcc 1
		.amdhsa_reserve_flat_scratch 0
		.amdhsa_float_round_mode_32 0
		.amdhsa_float_round_mode_16_64 0
		.amdhsa_float_denorm_mode_32 3
		.amdhsa_float_denorm_mode_16_64 3
		.amdhsa_dx10_clamp 1
		.amdhsa_ieee_mode 1
		.amdhsa_fp16_overflow 0
		.amdhsa_tg_split 0
		.amdhsa_exception_fp_ieee_invalid_op 0
		.amdhsa_exception_fp_denorm_src 0
		.amdhsa_exception_fp_ieee_div_zero 0
		.amdhsa_exception_fp_ieee_overflow 0
		.amdhsa_exception_fp_ieee_underflow 0
		.amdhsa_exception_fp_ieee_inexact 0
		.amdhsa_exception_int_div_zero 0
	.end_amdhsa_kernel
	.section	.text._ZN2at6native12_GLOBAL__N_143distribution_elementwise_grid_stride_kernelImLi2EZZZNS0_9templates4cuda32random_full_64_bits_range_kernelIPNS_17CUDAGeneratorImplEEEvRNS_18TensorIteratorBaseET_ENKUlvE_clEvENKUlvE4_clEvEUlP25hiprandStatePhilox4_32_10E_ZNS1_27distribution_nullary_kernelIdm15HIP_vector_typeIyLj2EES7_SF_ZZZNS5_IS7_EEvS9_SA_ENKSB_clEvENKSC_clEvEUlmE_EEvS9_T2_RKT3_T4_EUlimE_EEvlNS_15PhiloxCudaStateET1_SK_,"axG",@progbits,_ZN2at6native12_GLOBAL__N_143distribution_elementwise_grid_stride_kernelImLi2EZZZNS0_9templates4cuda32random_full_64_bits_range_kernelIPNS_17CUDAGeneratorImplEEEvRNS_18TensorIteratorBaseET_ENKUlvE_clEvENKUlvE4_clEvEUlP25hiprandStatePhilox4_32_10E_ZNS1_27distribution_nullary_kernelIdm15HIP_vector_typeIyLj2EES7_SF_ZZZNS5_IS7_EEvS9_SA_ENKSB_clEvENKSC_clEvEUlmE_EEvS9_T2_RKT3_T4_EUlimE_EEvlNS_15PhiloxCudaStateET1_SK_,comdat
.Lfunc_end62:
	.size	_ZN2at6native12_GLOBAL__N_143distribution_elementwise_grid_stride_kernelImLi2EZZZNS0_9templates4cuda32random_full_64_bits_range_kernelIPNS_17CUDAGeneratorImplEEEvRNS_18TensorIteratorBaseET_ENKUlvE_clEvENKUlvE4_clEvEUlP25hiprandStatePhilox4_32_10E_ZNS1_27distribution_nullary_kernelIdm15HIP_vector_typeIyLj2EES7_SF_ZZZNS5_IS7_EEvS9_SA_ENKSB_clEvENKSC_clEvEUlmE_EEvS9_T2_RKT3_T4_EUlimE_EEvlNS_15PhiloxCudaStateET1_SK_, .Lfunc_end62-_ZN2at6native12_GLOBAL__N_143distribution_elementwise_grid_stride_kernelImLi2EZZZNS0_9templates4cuda32random_full_64_bits_range_kernelIPNS_17CUDAGeneratorImplEEEvRNS_18TensorIteratorBaseET_ENKUlvE_clEvENKUlvE4_clEvEUlP25hiprandStatePhilox4_32_10E_ZNS1_27distribution_nullary_kernelIdm15HIP_vector_typeIyLj2EES7_SF_ZZZNS5_IS7_EEvS9_SA_ENKSB_clEvENKSC_clEvEUlmE_EEvS9_T2_RKT3_T4_EUlimE_EEvlNS_15PhiloxCudaStateET1_SK_
                                        ; -- End function
	.section	.AMDGPU.csdata,"",@progbits
; Kernel info:
; codeLenInByte = 2208
; NumSgprs: 28
; NumVgprs: 46
; NumAgprs: 0
; TotalNumVgprs: 46
; ScratchSize: 0
; MemoryBound: 0
; FloatMode: 240
; IeeeMode: 1
; LDSByteSize: 0 bytes/workgroup (compile time only)
; SGPRBlocks: 3
; VGPRBlocks: 5
; NumSGPRsForWavesPerEU: 28
; NumVGPRsForWavesPerEU: 46
; AccumOffset: 48
; Occupancy: 8
; WaveLimiterHint : 0
; COMPUTE_PGM_RSRC2:SCRATCH_EN: 0
; COMPUTE_PGM_RSRC2:USER_SGPR: 6
; COMPUTE_PGM_RSRC2:TRAP_HANDLER: 0
; COMPUTE_PGM_RSRC2:TGID_X_EN: 1
; COMPUTE_PGM_RSRC2:TGID_Y_EN: 0
; COMPUTE_PGM_RSRC2:TGID_Z_EN: 0
; COMPUTE_PGM_RSRC2:TIDIG_COMP_CNT: 0
; COMPUTE_PGM_RSRC3_GFX90A:ACCUM_OFFSET: 11
; COMPUTE_PGM_RSRC3_GFX90A:TG_SPLIT: 0
	.section	.text._ZN2at6native12_GLOBAL__N_143distribution_elementwise_grid_stride_kernelImLi2EZZZNS0_9templates4cuda32random_full_64_bits_range_kernelIPNS_17CUDAGeneratorImplEEEvRNS_18TensorIteratorBaseET_ENKUlvE_clEvENKUlvE4_clEvEUlP25hiprandStatePhilox4_32_10E_ZNS1_27distribution_nullary_kernelIdm15HIP_vector_typeIyLj2EES7_SF_ZZZNS5_IS7_EEvS9_SA_ENKSB_clEvENKSC_clEvEUlmE_EEvS9_T2_RKT3_T4_EUlimE0_EEvlNS_15PhiloxCudaStateET1_SK_,"axG",@progbits,_ZN2at6native12_GLOBAL__N_143distribution_elementwise_grid_stride_kernelImLi2EZZZNS0_9templates4cuda32random_full_64_bits_range_kernelIPNS_17CUDAGeneratorImplEEEvRNS_18TensorIteratorBaseET_ENKUlvE_clEvENKUlvE4_clEvEUlP25hiprandStatePhilox4_32_10E_ZNS1_27distribution_nullary_kernelIdm15HIP_vector_typeIyLj2EES7_SF_ZZZNS5_IS7_EEvS9_SA_ENKSB_clEvENKSC_clEvEUlmE_EEvS9_T2_RKT3_T4_EUlimE0_EEvlNS_15PhiloxCudaStateET1_SK_,comdat
	.globl	_ZN2at6native12_GLOBAL__N_143distribution_elementwise_grid_stride_kernelImLi2EZZZNS0_9templates4cuda32random_full_64_bits_range_kernelIPNS_17CUDAGeneratorImplEEEvRNS_18TensorIteratorBaseET_ENKUlvE_clEvENKUlvE4_clEvEUlP25hiprandStatePhilox4_32_10E_ZNS1_27distribution_nullary_kernelIdm15HIP_vector_typeIyLj2EES7_SF_ZZZNS5_IS7_EEvS9_SA_ENKSB_clEvENKSC_clEvEUlmE_EEvS9_T2_RKT3_T4_EUlimE0_EEvlNS_15PhiloxCudaStateET1_SK_ ; -- Begin function _ZN2at6native12_GLOBAL__N_143distribution_elementwise_grid_stride_kernelImLi2EZZZNS0_9templates4cuda32random_full_64_bits_range_kernelIPNS_17CUDAGeneratorImplEEEvRNS_18TensorIteratorBaseET_ENKUlvE_clEvENKUlvE4_clEvEUlP25hiprandStatePhilox4_32_10E_ZNS1_27distribution_nullary_kernelIdm15HIP_vector_typeIyLj2EES7_SF_ZZZNS5_IS7_EEvS9_SA_ENKSB_clEvENKSC_clEvEUlmE_EEvS9_T2_RKT3_T4_EUlimE0_EEvlNS_15PhiloxCudaStateET1_SK_
	.p2align	8
	.type	_ZN2at6native12_GLOBAL__N_143distribution_elementwise_grid_stride_kernelImLi2EZZZNS0_9templates4cuda32random_full_64_bits_range_kernelIPNS_17CUDAGeneratorImplEEEvRNS_18TensorIteratorBaseET_ENKUlvE_clEvENKUlvE4_clEvEUlP25hiprandStatePhilox4_32_10E_ZNS1_27distribution_nullary_kernelIdm15HIP_vector_typeIyLj2EES7_SF_ZZZNS5_IS7_EEvS9_SA_ENKSB_clEvENKSC_clEvEUlmE_EEvS9_T2_RKT3_T4_EUlimE0_EEvlNS_15PhiloxCudaStateET1_SK_,@function
_ZN2at6native12_GLOBAL__N_143distribution_elementwise_grid_stride_kernelImLi2EZZZNS0_9templates4cuda32random_full_64_bits_range_kernelIPNS_17CUDAGeneratorImplEEEvRNS_18TensorIteratorBaseET_ENKUlvE_clEvENKUlvE4_clEvEUlP25hiprandStatePhilox4_32_10E_ZNS1_27distribution_nullary_kernelIdm15HIP_vector_typeIyLj2EES7_SF_ZZZNS5_IS7_EEvS9_SA_ENKSB_clEvENKSC_clEvEUlmE_EEvS9_T2_RKT3_T4_EUlimE0_EEvlNS_15PhiloxCudaStateET1_SK_: ; @_ZN2at6native12_GLOBAL__N_143distribution_elementwise_grid_stride_kernelImLi2EZZZNS0_9templates4cuda32random_full_64_bits_range_kernelIPNS_17CUDAGeneratorImplEEEvRNS_18TensorIteratorBaseET_ENKUlvE_clEvENKUlvE4_clEvEUlP25hiprandStatePhilox4_32_10E_ZNS1_27distribution_nullary_kernelIdm15HIP_vector_typeIyLj2EES7_SF_ZZZNS5_IS7_EEvS9_SA_ENKSB_clEvENKSC_clEvEUlmE_EEvS9_T2_RKT3_T4_EUlimE0_EEvlNS_15PhiloxCudaStateET1_SK_
; %bb.0:
	s_load_dword s2, s[4:5], 0x20
	s_load_dwordx2 s[0:1], s[4:5], 0x10
	s_load_dwordx4 s[24:27], s[4:5], 0x0
	s_waitcnt lgkmcnt(0)
	s_bitcmp0_b32 s2, 0
	s_mov_b32 s2, 0
	v_pk_mov_b32 v[2:3], s[0:1], s[0:1] op_sel:[0,1]
	v_pk_mov_b32 v[12:13], s[26:27], s[26:27] op_sel:[0,1]
	s_cbranch_scc1 .LBB63_2
; %bb.1:
	v_pk_mov_b32 v[2:3], s[0:1], s[0:1] op_sel:[0,1]
	flat_load_dwordx2 v[2:3], v[2:3]
	v_pk_mov_b32 v[4:5], s[26:27], s[26:27] op_sel:[0,1]
	flat_load_dwordx2 v[12:13], v[4:5]
	s_load_dwordx2 s[0:1], s[4:5], 0x18
	s_waitcnt lgkmcnt(0)
	v_mov_b32_e32 v1, s1
	s_waitcnt vmcnt(0)
	v_add_co_u32_e32 v2, vcc, s0, v2
	v_addc_co_u32_e32 v3, vcc, v3, v1, vcc
.LBB63_2:
	s_load_dword s0, s[4:5], 0x154
	s_load_dword s7, s[4:5], 0x148
	s_waitcnt lgkmcnt(0)
	s_and_b32 s8, s0, 0xffff
	s_add_u32 s9, s24, -1
	s_mul_i32 s33, s7, s8
	s_addc_u32 s3, s25, -1
	s_lshl_b32 s58, s33, 1
	s_cmp_lg_u64 s[2:3], 0
	s_mov_b64 s[0:1], -1
	s_cbranch_scc0 .LBB63_51
; %bb.3:
	v_cvt_f32_u32_e32 v1, s58
	v_cvt_f32_ubyte0_e32 v4, 0
	s_sub_u32 s2, 0, s58
	s_subb_u32 s10, 0, 0
	v_madmk_f32 v1, v4, 0x4f800000, v1
	v_rcp_f32_e32 v1, v1
	v_mul_f32_e32 v1, 0x5f7ffffc, v1
	v_mul_f32_e32 v4, 0x2f800000, v1
	v_trunc_f32_e32 v4, v4
	v_madmk_f32 v1, v4, 0xcf800000, v1
	v_cvt_u32_f32_e32 v4, v4
	v_cvt_u32_f32_e32 v1, v1
	v_readfirstlane_b32 s11, v4
	v_readfirstlane_b32 s12, v1
	s_mul_i32 s13, s2, s11
	s_mul_hi_u32 s15, s2, s12
	s_mul_i32 s14, s10, s12
	s_add_i32 s13, s15, s13
	s_add_i32 s13, s13, s14
	s_mul_i32 s16, s2, s12
	s_mul_hi_u32 s14, s12, s13
	s_mul_i32 s15, s12, s13
	s_mul_hi_u32 s12, s12, s16
	s_add_u32 s12, s12, s15
	s_addc_u32 s14, 0, s14
	s_mul_hi_u32 s17, s11, s16
	s_mul_i32 s16, s11, s16
	s_add_u32 s12, s12, s16
	s_mul_hi_u32 s15, s11, s13
	s_addc_u32 s12, s14, s17
	s_addc_u32 s14, s15, 0
	s_mul_i32 s13, s11, s13
	s_add_u32 s12, s12, s13
	s_addc_u32 s13, 0, s14
	v_add_co_u32_e32 v1, vcc, s12, v1
	s_cmp_lg_u64 vcc, 0
	s_addc_u32 s11, s11, s13
	v_readfirstlane_b32 s13, v1
	s_mul_i32 s12, s2, s11
	s_mul_hi_u32 s14, s2, s13
	s_add_i32 s12, s14, s12
	s_mul_i32 s10, s10, s13
	s_add_i32 s12, s12, s10
	s_mul_i32 s2, s2, s13
	s_mul_hi_u32 s14, s11, s2
	s_mul_i32 s15, s11, s2
	s_mul_i32 s17, s13, s12
	s_mul_hi_u32 s2, s13, s2
	s_mul_hi_u32 s16, s13, s12
	s_add_u32 s2, s2, s17
	s_addc_u32 s13, 0, s16
	s_add_u32 s2, s2, s15
	s_mul_hi_u32 s10, s11, s12
	s_addc_u32 s2, s13, s14
	s_addc_u32 s10, s10, 0
	s_mul_i32 s12, s11, s12
	s_add_u32 s2, s2, s12
	s_addc_u32 s10, 0, s10
	v_add_co_u32_e32 v1, vcc, s2, v1
	s_cmp_lg_u64 vcc, 0
	s_addc_u32 s12, s11, s10
	s_ashr_i32 s10, s3, 31
	s_add_u32 s2, s9, s10
	s_mov_b32 s11, s10
	s_addc_u32 s3, s3, s10
	s_xor_b64 s[2:3], s[2:3], s[10:11]
	v_readfirstlane_b32 s15, v1
	s_mul_i32 s14, s2, s12
	s_mul_hi_u32 s16, s2, s15
	s_mul_hi_u32 s13, s2, s12
	s_add_u32 s14, s16, s14
	s_addc_u32 s13, 0, s13
	s_mul_hi_u32 s17, s3, s15
	s_mul_i32 s15, s3, s15
	s_add_u32 s14, s14, s15
	s_mul_hi_u32 s16, s3, s12
	s_addc_u32 s13, s13, s17
	s_addc_u32 s14, s16, 0
	s_mul_i32 s12, s3, s12
	s_add_u32 s12, s13, s12
	s_addc_u32 s13, 0, s14
	s_add_u32 s14, s12, 1
	s_addc_u32 s15, s13, 0
	s_add_u32 s16, s12, 2
	s_mul_i32 s18, s58, s13
	s_mul_hi_u32 s19, s58, s12
	s_addc_u32 s17, s13, 0
	s_add_i32 s19, s19, s18
	s_mul_i32 s18, s58, s12
	v_mov_b32_e32 v1, s18
	v_sub_co_u32_e32 v1, vcc, s2, v1
	s_cmp_lg_u64 vcc, 0
	s_subb_u32 s2, s3, s19
	v_subrev_co_u32_e32 v4, vcc, s58, v1
	s_cmp_lg_u64 vcc, 0
	s_subb_u32 s3, s2, 0
	v_readfirstlane_b32 s18, v4
	s_cmp_ge_u32 s18, s58
	s_cselect_b32 s18, -1, 0
	s_cmp_eq_u32 s3, 0
	s_cselect_b32 s3, s18, -1
	s_cmp_lg_u32 s3, 0
	s_cselect_b32 s3, s17, s15
	v_readfirstlane_b32 s15, v1
	s_cselect_b32 s14, s16, s14
	s_cmp_ge_u32 s15, s58
	s_cselect_b32 s15, -1, 0
	s_cmp_eq_u32 s2, 0
	s_cselect_b32 s2, s15, -1
	s_cmp_lg_u32 s2, 0
	s_cselect_b32 s3, s3, s13
	s_cselect_b32 s2, s14, s12
	s_xor_b64 s[2:3], s[2:3], s[10:11]
	s_sub_u32 s2, s2, s10
	s_subb_u32 s3, s3, s10
	s_cbranch_execnz .LBB63_5
.LBB63_4:
	v_cvt_f32_u32_e32 v1, s58
	s_sub_i32 s0, 0, s58
	s_mov_b32 s3, 0
	v_rcp_iflag_f32_e32 v1, v1
	v_mul_f32_e32 v1, 0x4f7ffffe, v1
	v_cvt_u32_f32_e32 v1, v1
	v_readfirstlane_b32 s1, v1
	s_mul_i32 s0, s0, s1
	s_mul_hi_u32 s0, s1, s0
	s_add_i32 s1, s1, s0
	s_mul_hi_u32 s0, s9, s1
	s_mul_i32 s2, s0, s58
	s_sub_i32 s2, s9, s2
	s_add_i32 s1, s0, 1
	s_sub_i32 s9, s2, s58
	s_cmp_ge_u32 s2, s58
	s_cselect_b32 s0, s1, s0
	s_cselect_b32 s2, s9, s2
	s_add_i32 s1, s0, 1
	s_cmp_ge_u32 s2, s58
	s_cselect_b32 s2, s1, s0
.LBB63_5:
	v_mov_b32_e32 v1, 0
	v_mov_b32_e32 v4, s6
	v_mad_u64_u32 v[14:15], s[0:1], s8, v4, v[0:1]
	s_add_u32 s0, s2, 1
	s_addc_u32 s1, s3, 0
	s_mul_hi_u32 s2, s7, s8
	s_mul_i32 s1, s33, s1
	s_mul_hi_u32 s3, s33, s0
	s_add_i32 s1, s3, s1
	s_mul_i32 s2, s2, s0
	s_add_i32 s1, s1, s2
	s_mul_i32 s0, s33, s0
	s_lshl_b64 s[26:27], s[0:1], 1
	v_cmp_gt_i64_e32 vcc, s[26:27], v[14:15]
	s_and_saveexec_b64 s[0:1], vcc
	s_cbranch_execz .LBB63_50
; %bb.6:
	s_mov_b32 s0, 0x5384540f
	v_mov_b32_e32 v0, v13
	v_add_co_u32_e32 v22, vcc, s0, v12
	s_mov_b32 s0, 0x646e171e
	v_add_co_u32_e32 v23, vcc, s0, v0
	s_mov_b32 s0, 0x1715609d
	;; [unrolled: 2-line block ×6, first 2 shown]
	v_alignbit_b32 v29, v3, v2, 2
	s_mov_b32 s60, 0xd2511f53
	v_add_co_u32_e32 v28, vcc, s0, v12
	v_mad_u64_u32 v[4:5], s[0:1], v29, s60, 0
	v_xor_b32_e32 v1, v5, v13
	v_xor_b32_e32 v1, v1, v15
	s_mov_b32 s61, 0xcd9e8d57
	v_mad_u64_u32 v[6:7], s[0:1], v1, s61, 0
	v_xor_b32_e32 v1, v28, v7
	v_mad_u64_u32 v[8:9], s[0:1], v14, s61, 0
	v_and_b32_e32 v18, 3, v2
	v_xor_b32_e32 v1, v1, v8
	v_xor_b32_e32 v2, v12, v9
	v_lshrrev_b32_e32 v30, 2, v3
	v_mad_u64_u32 v[10:11], s[0:1], v1, s60, 0
	v_xor_b32_e32 v2, v2, v30
	v_xor_b32_e32 v1, v27, v11
	v_mad_u64_u32 v[2:3], s[0:1], v2, s60, 0
	v_xor_b32_e32 v1, v1, v2
	v_mad_u64_u32 v[8:9], s[0:1], v1, s61, 0
	s_mov_b32 s0, 0xbb67ae85
	v_add_co_u32_e32 v31, vcc, s0, v0
	v_xor_b32_e32 v2, v31, v3
	v_xor_b32_e32 v2, v2, v4
	v_xor_b32_e32 v1, v26, v9
	v_mad_u64_u32 v[2:3], s[0:1], v2, s61, 0
	v_xor_b32_e32 v1, v1, v2
	v_mad_u64_u32 v[4:5], s[0:1], v1, s60, 0
	s_mov_b32 s0, 0x3c6ef372
	v_add_co_u32_e32 v32, vcc, s0, v12
	v_xor_b32_e32 v2, v32, v3
	;; [unrolled: 8-line block ×6, first 2 shown]
	v_add_co_u32_e32 v21, vcc, 0xdb3d7428, v0
	v_xor_b32_e32 v2, v2, v6
	v_xor_b32_e32 v1, v21, v5
	v_mad_u64_u32 v[2:3], s[0:1], v2, s60, 0
	v_xor_b32_e32 v1, v1, v2
	v_mad_u64_u32 v[6:7], s[0:1], v1, s61, 0
	s_mov_b32 s0, 0x1fd5c5a3
	v_add_co_u32_e32 v37, vcc, s0, v0
	v_xor_b32_e32 v0, v37, v3
	v_xor_b32_e32 v0, v0, v10
	v_mad_u64_u32 v[0:1], s[0:1], v0, s61, 0
	s_mov_b32 s0, 0xf1bbcdc8
	s_load_dwordx8 s[8:15], s[4:5], 0x30
	v_add_co_u32_e32 v38, vcc, s0, v12
	v_xor_b32_e32 v1, v38, v1
	v_xor_b32_e32 v1, v1, v8
	s_add_u32 s34, s4, 48
	v_mad_u64_u32 v[8:9], s[0:1], v1, s60, 0
	s_addc_u32 s35, s5, 0
	s_waitcnt lgkmcnt(0)
	s_add_i32 s0, s8, -1
	s_cmp_gt_u32 s0, 1
	s_cselect_b64 s[36:37], -1, 0
	s_cmp_lg_u32 s8, 0
	s_cselect_b64 s[38:39], -1, 0
	s_add_u32 s40, s4, 0xf4
	s_addc_u32 s41, s5, 0
	s_min_u32 s1, s0, 15
	s_cmp_gt_u32 s8, 1
	s_cselect_b64 s[42:43], -1, 0
	s_add_i32 s1, s1, 1
	s_mov_b32 s8, s13
	s_load_dwordx2 s[44:45], s[4:5], 0xf4
	s_load_dwordx2 s[46:47], s[4:5], 0x138
	s_and_b32 s13, s1, 3
	s_cmp_lg_u32 s0, 2
	s_cselect_b64 s[48:49], -1, 0
	s_and_b32 s15, s1, 28
	v_add_u32_e32 v19, 0x8ff34781, v12
	v_add_u32_e32 v20, 0x96a522ad, v13
	v_xor_b32_e32 v0, v7, v0
	v_xor_b32_e32 v1, v9, v4
	s_cmp_lg_u32 s13, 0
	s_mov_b32 s59, 0
	v_xor_b32_e32 v0, v19, v0
	v_xor_b32_e32 v2, v20, v1
	v_mov_b32_e32 v1, v6
	v_mov_b32_e32 v3, v8
	s_mov_b64 s[50:51], 0
	s_cselect_b64 s[52:53], -1, 0
	v_mov_b32_e32 v39, v14
	v_mov_b32_e32 v40, v15
	s_branch .LBB63_9
.LBB63_7:                               ;   in Loop: Header=BB63_9 Depth=1
	v_cvt_f64_i32_e32 v[0:1], v2
	v_ldexp_f64 v[0:1], v[0:1], 32
	v_cvt_f64_u32_e32 v[2:3], v3
	v_add_f64 v[0:1], v[0:1], v[2:3]
	s_waitcnt lgkmcnt(0)
	global_store_dwordx2 v8, v[0:1], s[46:47]
.LBB63_8:                               ;   in Loop: Header=BB63_9 Depth=1
	s_or_b64 exec, exec, s[28:29]
	v_add_co_u32_e32 v14, vcc, s58, v14
	v_addc_co_u32_e32 v15, vcc, 0, v15, vcc
	v_mov_b32_e32 v7, v16
	v_cmp_le_i64_e32 vcc, s[26:27], v[14:15]
	v_pk_mov_b32 v[0:1], v[4:5], v[4:5] op_sel:[0,1]
	s_or_b64 s[50:51], vcc, s[50:51]
	v_pk_mov_b32 v[2:3], v[6:7], v[6:7] op_sel:[0,1]
	s_waitcnt lgkmcnt(0)
	s_barrier
	s_andn2_b64 exec, exec, s[50:51]
	s_cbranch_execz .LBB63_50
.LBB63_9:                               ; =>This Loop Header: Depth=1
                                        ;     Child Loop BB63_24 Depth 2
                                        ;     Child Loop BB63_30 Depth 2
	;; [unrolled: 1-line block ×4, first 2 shown]
	v_add_co_u32_e32 v29, vcc, 1, v29
	v_cndmask_b32_e64 v4, 0, 1, vcc
	v_addc_co_u32_e32 v30, vcc, 0, v30, vcc
	v_cmp_eq_u32_e32 vcc, 0, v30
	v_cndmask_b32_e32 v4, 0, v4, vcc
	v_add_u32_e32 v39, v4, v39
	v_cmp_eq_u32_e32 vcc, 0, v39
	v_cndmask_b32_e32 v4, 0, v4, vcc
	v_add_u32_e32 v40, v4, v40
	v_mad_u64_u32 v[4:5], s[0:1], v29, s60, 0
	v_mad_u64_u32 v[6:7], s[0:1], v39, s61, 0
	v_xor_b32_e32 v5, v5, v13
	v_xor_b32_e32 v7, v7, v12
	v_xor_b32_e32 v5, v40, v5
	v_xor_b32_e32 v7, v30, v7
	v_mad_u64_u32 v[10:11], s[0:1], v5, s61, 0
	v_mad_u64_u32 v[8:9], s[0:1], v7, s60, 0
	v_xor_b32_e32 v5, v28, v11
	v_xor_b32_e32 v5, v5, v6
	v_xor_b32_e32 v6, v31, v9
	v_xor_b32_e32 v6, v6, v4
	;; [unrolled: 6-line block ×10, first 2 shown]
	v_mov_b32_e32 v5, v10
	v_mov_b32_e32 v6, v11
	v_cmp_lt_i32_e32 vcc, 1, v18
	s_and_saveexec_b64 s[0:1], vcc
	s_xor_b64 s[0:1], exec, s[0:1]
	s_cbranch_execz .LBB63_15
; %bb.10:                               ;   in Loop: Header=BB63_9 Depth=1
	v_cmp_lt_i32_e32 vcc, 2, v18
	s_and_saveexec_b64 s[2:3], vcc
	s_xor_b64 s[2:3], exec, s[2:3]
; %bb.11:                               ;   in Loop: Header=BB63_9 Depth=1
	v_mov_b32_e32 v8, v3
	v_mov_b32_e32 v9, v4
	v_pk_mov_b32 v[0:1], v[8:9], v[8:9] op_sel:[0,1]
	v_pk_mov_b32 v[2:3], v[10:11], v[10:11] op_sel:[0,1]
                                        ; implicit-def: $vgpr10_vgpr11
; %bb.12:                               ;   in Loop: Header=BB63_9 Depth=1
	s_andn2_saveexec_b64 s[2:3], s[2:3]
; %bb.13:                               ;   in Loop: Header=BB63_9 Depth=1
	v_mov_b32_e32 v0, v2
	v_mov_b32_e32 v1, v3
	;; [unrolled: 1-line block ×4, first 2 shown]
; %bb.14:                               ;   in Loop: Header=BB63_9 Depth=1
	s_or_b64 exec, exec, s[2:3]
.LBB63_15:                              ;   in Loop: Header=BB63_9 Depth=1
	s_andn2_saveexec_b64 s[0:1], s[0:1]
	s_cbranch_execz .LBB63_19
; %bb.16:                               ;   in Loop: Header=BB63_9 Depth=1
	v_cmp_eq_u32_e32 vcc, 1, v18
	s_and_saveexec_b64 s[2:3], vcc
; %bb.17:                               ;   in Loop: Header=BB63_9 Depth=1
	v_mov_b32_e32 v0, v1
	v_mov_b32_e32 v1, v2
	v_mov_b32_e32 v2, v3
	v_mov_b32_e32 v3, v4
; %bb.18:                               ;   in Loop: Header=BB63_9 Depth=1
	s_or_b64 exec, exec, s[2:3]
.LBB63_19:                              ;   in Loop: Header=BB63_9 Depth=1
	s_or_b64 exec, exec, s[0:1]
	v_cndmask_b32_e64 v7, 0, 1, s[36:37]
	v_cmp_gt_i64_e32 vcc, s[24:25], v[14:15]
	v_cmp_ne_u32_e64 s[0:1], 1, v7
	s_and_saveexec_b64 s[2:3], vcc
	s_cbranch_execz .LBB63_35
; %bb.20:                               ;   in Loop: Header=BB63_9 Depth=1
	s_and_b64 vcc, exec, s[0:1]
	s_cbranch_vccnz .LBB63_26
; %bb.21:                               ;   in Loop: Header=BB63_9 Depth=1
	s_andn2_b64 vcc, exec, s[38:39]
	s_cbranch_vccnz .LBB63_27
; %bb.22:                               ;   in Loop: Header=BB63_9 Depth=1
	s_mov_b32 s6, 0
	s_andn2_b64 vcc, exec, s[48:49]
	v_mov_b32_e32 v8, 0
	s_cbranch_vccnz .LBB63_28
; %bb.23:                               ;   in Loop: Header=BB63_9 Depth=1
	s_mov_b32 s62, 0
	v_mov_b32_e32 v8, 0
	s_mov_b64 s[54:55], s[34:35]
	s_mov_b64 s[56:57], s[40:41]
	v_mov_b32_e32 v7, v14
.LBB63_24:                              ;   Parent Loop BB63_9 Depth=1
                                        ; =>  This Inner Loop Header: Depth=2
	s_load_dwordx8 s[16:23], s[54:55], 0x4
	s_load_dwordx4 s[4:7], s[54:55], 0x24
	s_load_dwordx4 s[28:31], s[56:57], 0x0
	s_add_u32 s54, s54, 48
	s_addc_u32 s55, s55, 0
	s_waitcnt lgkmcnt(0)
	v_mul_hi_u32 v9, s17, v7
	v_add_u32_e32 v9, v7, v9
	v_lshrrev_b32_e32 v9, s18, v9
	v_mul_lo_u32 v10, v9, s16
	v_mul_hi_u32 v11, s20, v9
	v_sub_u32_e32 v7, v7, v10
	v_add_u32_e32 v10, v9, v11
	v_lshrrev_b32_e32 v10, s21, v10
	v_mul_lo_u32 v11, v10, s19
	v_mul_hi_u32 v17, s23, v10
	v_sub_u32_e32 v9, v9, v11
	v_add_u32_e32 v11, v10, v17
	v_mul_lo_u32 v7, v7, s28
	v_mul_lo_u32 v9, v9, s29
	v_lshrrev_b32_e32 v11, s4, v11
	v_add3_u32 v8, v7, v8, v9
	v_mul_lo_u32 v7, v11, s22
	v_mul_hi_u32 v9, s6, v11
	v_sub_u32_e32 v7, v10, v7
	v_add_u32_e32 v9, v11, v9
	v_mul_lo_u32 v10, v7, s30
	v_lshrrev_b32_e32 v7, s7, v9
	s_add_i32 s62, s62, 4
	v_mul_lo_u32 v9, v7, s5
	s_add_u32 s56, s56, 16
	v_sub_u32_e32 v9, v11, v9
	s_addc_u32 s57, s57, 0
	v_mul_lo_u32 v9, v9, s31
	s_cmp_lg_u32 s15, s62
	v_add3_u32 v8, v10, v8, v9
	s_cbranch_scc1 .LBB63_24
; %bb.25:                               ;   in Loop: Header=BB63_9 Depth=1
	s_mov_b32 s6, s15
	s_andn2_b64 vcc, exec, s[52:53]
	s_cbranch_vccz .LBB63_29
	s_branch .LBB63_31
.LBB63_26:                              ;   in Loop: Header=BB63_9 Depth=1
                                        ; implicit-def: $vgpr8
	s_branch .LBB63_32
.LBB63_27:                              ;   in Loop: Header=BB63_9 Depth=1
	v_mov_b32_e32 v8, 0
	s_branch .LBB63_31
.LBB63_28:                              ;   in Loop: Header=BB63_9 Depth=1
	v_mov_b32_e32 v7, v14
	s_andn2_b64 vcc, exec, s[52:53]
	s_cbranch_vccnz .LBB63_31
.LBB63_29:                              ;   in Loop: Header=BB63_9 Depth=1
	s_lshl_b32 s4, s6, 2
	s_add_u32 s4, s40, s4
	s_addc_u32 s5, s41, 0
	s_mul_i32 s6, s6, 12
	s_add_u32 s6, s34, s6
	s_addc_u32 s7, s35, 0
	s_mov_b32 s16, s13
.LBB63_30:                              ;   Parent Loop BB63_9 Depth=1
                                        ; =>  This Inner Loop Header: Depth=2
	s_load_dwordx2 s[18:19], s[6:7], 0x4
	s_load_dword s17, s[6:7], 0xc
	s_load_dword s20, s[4:5], 0x0
	s_add_u32 s6, s6, 12
	s_addc_u32 s7, s7, 0
	s_waitcnt lgkmcnt(0)
	v_mul_hi_u32 v9, s19, v7
	v_add_u32_e32 v9, v7, v9
	v_lshrrev_b32_e32 v9, s17, v9
	s_add_u32 s4, s4, 4
	v_mul_lo_u32 v10, v9, s18
	s_addc_u32 s5, s5, 0
	s_add_i32 s16, s16, -1
	v_sub_u32_e32 v10, v7, v10
	s_cmp_lg_u32 s16, 0
	v_mov_b32_e32 v7, v9
	v_mad_u64_u32 v[8:9], s[18:19], v10, s20, v[8:9]
	s_cbranch_scc1 .LBB63_30
.LBB63_31:                              ;   in Loop: Header=BB63_9 Depth=1
	s_cbranch_execnz .LBB63_34
.LBB63_32:                              ;   in Loop: Header=BB63_9 Depth=1
	v_mul_hi_u32 v7, v14, s10
	v_add_u32_e32 v7, v7, v14
	v_lshrrev_b32_e32 v7, s11, v7
	v_mul_lo_u32 v8, v7, s9
	v_sub_u32_e32 v8, v14, v8
	s_andn2_b64 vcc, exec, s[42:43]
	s_waitcnt lgkmcnt(0)
	v_mul_lo_u32 v8, v8, s44
	s_cbranch_vccnz .LBB63_34
; %bb.33:                               ;   in Loop: Header=BB63_9 Depth=1
	v_mul_hi_u32 v9, s8, v7
	v_add_u32_e32 v9, v7, v9
	v_lshrrev_b32_e32 v9, s14, v9
	v_mul_lo_u32 v9, v9, s12
	v_sub_u32_e32 v7, v7, v9
	v_mad_u64_u32 v[8:9], s[4:5], v7, s45, v[8:9]
.LBB63_34:                              ;   in Loop: Header=BB63_9 Depth=1
	v_cvt_f64_i32_e32 v[10:11], v0
	v_ldexp_f64 v[10:11], v[10:11], 32
	v_cvt_f64_u32_e32 v[0:1], v1
	v_add_f64 v[0:1], v[10:11], v[0:1]
	s_waitcnt lgkmcnt(0)
	global_store_dwordx2 v8, v[0:1], s[46:47]
.LBB63_35:                              ;   in Loop: Header=BB63_9 Depth=1
	s_or_b64 exec, exec, s[2:3]
	v_mov_b32_e32 v1, s59
	v_add_co_u32_e32 v0, vcc, s33, v14
	v_addc_co_u32_e32 v1, vcc, v15, v1, vcc
	v_cmp_gt_i64_e32 vcc, s[24:25], v[0:1]
	s_and_saveexec_b64 s[28:29], vcc
	s_cbranch_execz .LBB63_8
; %bb.36:                               ;   in Loop: Header=BB63_9 Depth=1
	s_and_b64 vcc, exec, s[0:1]
	s_cbranch_vccnz .LBB63_42
; %bb.37:                               ;   in Loop: Header=BB63_9 Depth=1
	s_andn2_b64 vcc, exec, s[38:39]
	s_cbranch_vccnz .LBB63_43
; %bb.38:                               ;   in Loop: Header=BB63_9 Depth=1
	s_mov_b32 s2, 0
	s_andn2_b64 vcc, exec, s[48:49]
	v_mov_b32_e32 v8, 0
	s_cbranch_vccnz .LBB63_44
; %bb.39:                               ;   in Loop: Header=BB63_9 Depth=1
	s_mov_b32 s56, 0
	v_mov_b32_e32 v8, 0
	s_mov_b64 s[30:31], s[34:35]
	s_mov_b64 s[54:55], s[40:41]
	v_mov_b32_e32 v1, v0
.LBB63_40:                              ;   Parent Loop BB63_9 Depth=1
                                        ; =>  This Inner Loop Header: Depth=2
	s_load_dwordx8 s[0:7], s[30:31], 0x4
	s_load_dwordx4 s[16:19], s[30:31], 0x24
	s_load_dwordx4 s[20:23], s[54:55], 0x0
	s_add_u32 s30, s30, 48
	s_addc_u32 s31, s31, 0
	s_waitcnt lgkmcnt(0)
	v_mul_hi_u32 v7, s1, v1
	v_add_u32_e32 v7, v1, v7
	v_lshrrev_b32_e32 v7, s2, v7
	v_mul_lo_u32 v9, v7, s0
	v_mul_hi_u32 v10, s4, v7
	v_sub_u32_e32 v1, v1, v9
	v_add_u32_e32 v9, v7, v10
	v_lshrrev_b32_e32 v9, s5, v9
	v_mul_lo_u32 v10, v9, s3
	v_mul_hi_u32 v11, s7, v9
	v_sub_u32_e32 v7, v7, v10
	v_add_u32_e32 v10, v9, v11
	v_mul_lo_u32 v1, v1, s20
	v_mul_lo_u32 v7, v7, s21
	v_lshrrev_b32_e32 v10, s16, v10
	v_add3_u32 v7, v1, v8, v7
	v_mul_lo_u32 v1, v10, s6
	v_mul_hi_u32 v8, s18, v10
	v_sub_u32_e32 v1, v9, v1
	v_add_u32_e32 v8, v10, v8
	v_mul_lo_u32 v9, v1, s22
	v_lshrrev_b32_e32 v1, s19, v8
	s_add_i32 s56, s56, 4
	v_mul_lo_u32 v8, v1, s17
	s_add_u32 s54, s54, 16
	v_sub_u32_e32 v8, v10, v8
	s_addc_u32 s55, s55, 0
	v_mul_lo_u32 v8, v8, s23
	s_cmp_eq_u32 s15, s56
	v_add3_u32 v8, v9, v7, v8
	s_cbranch_scc0 .LBB63_40
; %bb.41:                               ;   in Loop: Header=BB63_9 Depth=1
	s_mov_b32 s2, s15
	s_andn2_b64 vcc, exec, s[52:53]
	s_cbranch_vccz .LBB63_45
	s_branch .LBB63_47
.LBB63_42:                              ;   in Loop: Header=BB63_9 Depth=1
                                        ; implicit-def: $vgpr8
	s_branch .LBB63_48
.LBB63_43:                              ;   in Loop: Header=BB63_9 Depth=1
	v_mov_b32_e32 v8, 0
	s_branch .LBB63_47
.LBB63_44:                              ;   in Loop: Header=BB63_9 Depth=1
	v_mov_b32_e32 v1, v0
	s_andn2_b64 vcc, exec, s[52:53]
	s_cbranch_vccnz .LBB63_47
.LBB63_45:                              ;   in Loop: Header=BB63_9 Depth=1
	s_lshl_b32 s0, s2, 2
	s_add_u32 s0, s40, s0
	s_addc_u32 s1, s41, 0
	s_mul_i32 s2, s2, 12
	s_add_u32 s2, s34, s2
	s_addc_u32 s3, s35, 0
	s_mov_b32 s4, s13
.LBB63_46:                              ;   Parent Loop BB63_9 Depth=1
                                        ; =>  This Inner Loop Header: Depth=2
	s_load_dwordx2 s[6:7], s[2:3], 0x4
	s_load_dword s5, s[2:3], 0xc
	s_load_dword s16, s[0:1], 0x0
	s_add_u32 s2, s2, 12
	s_addc_u32 s3, s3, 0
	s_waitcnt lgkmcnt(0)
	v_mul_hi_u32 v7, s7, v1
	v_add_u32_e32 v7, v1, v7
	v_lshrrev_b32_e32 v7, s5, v7
	s_add_u32 s0, s0, 4
	v_mul_lo_u32 v9, v7, s6
	s_addc_u32 s1, s1, 0
	s_add_i32 s4, s4, -1
	v_sub_u32_e32 v9, v1, v9
	s_cmp_lg_u32 s4, 0
	v_mov_b32_e32 v1, v7
	v_mad_u64_u32 v[8:9], s[6:7], v9, s16, v[8:9]
	s_cbranch_scc1 .LBB63_46
.LBB63_47:                              ;   in Loop: Header=BB63_9 Depth=1
	s_cbranch_execnz .LBB63_7
.LBB63_48:                              ;   in Loop: Header=BB63_9 Depth=1
	v_mul_hi_u32 v1, v0, s10
	v_add_u32_e32 v1, v1, v0
	v_lshrrev_b32_e32 v1, s11, v1
	v_mul_lo_u32 v7, v1, s9
	v_sub_u32_e32 v0, v0, v7
	s_andn2_b64 vcc, exec, s[42:43]
	s_waitcnt lgkmcnt(0)
	v_mul_lo_u32 v8, v0, s44
	s_cbranch_vccnz .LBB63_7
; %bb.49:                               ;   in Loop: Header=BB63_9 Depth=1
	v_mul_hi_u32 v0, s8, v1
	v_add_u32_e32 v0, v1, v0
	v_lshrrev_b32_e32 v0, s14, v0
	v_mul_lo_u32 v0, v0, s12
	v_sub_u32_e32 v0, v1, v0
	v_mad_u64_u32 v[8:9], s[0:1], v0, s45, v[8:9]
	s_branch .LBB63_7
.LBB63_50:
	s_endpgm
.LBB63_51:
                                        ; implicit-def: $sgpr2_sgpr3
	s_andn2_b64 vcc, exec, s[0:1]
	s_cbranch_vccz .LBB63_4
	s_branch .LBB63_5
	.section	.rodata,"a",@progbits
	.p2align	6, 0x0
	.amdhsa_kernel _ZN2at6native12_GLOBAL__N_143distribution_elementwise_grid_stride_kernelImLi2EZZZNS0_9templates4cuda32random_full_64_bits_range_kernelIPNS_17CUDAGeneratorImplEEEvRNS_18TensorIteratorBaseET_ENKUlvE_clEvENKUlvE4_clEvEUlP25hiprandStatePhilox4_32_10E_ZNS1_27distribution_nullary_kernelIdm15HIP_vector_typeIyLj2EES7_SF_ZZZNS5_IS7_EEvS9_SA_ENKSB_clEvENKSC_clEvEUlmE_EEvS9_T2_RKT3_T4_EUlimE0_EEvlNS_15PhiloxCudaStateET1_SK_
		.amdhsa_group_segment_fixed_size 0
		.amdhsa_private_segment_fixed_size 0
		.amdhsa_kernarg_size 584
		.amdhsa_user_sgpr_count 6
		.amdhsa_user_sgpr_private_segment_buffer 1
		.amdhsa_user_sgpr_dispatch_ptr 0
		.amdhsa_user_sgpr_queue_ptr 0
		.amdhsa_user_sgpr_kernarg_segment_ptr 1
		.amdhsa_user_sgpr_dispatch_id 0
		.amdhsa_user_sgpr_flat_scratch_init 0
		.amdhsa_user_sgpr_kernarg_preload_length 0
		.amdhsa_user_sgpr_kernarg_preload_offset 0
		.amdhsa_user_sgpr_private_segment_size 0
		.amdhsa_uses_dynamic_stack 0
		.amdhsa_system_sgpr_private_segment_wavefront_offset 0
		.amdhsa_system_sgpr_workgroup_id_x 1
		.amdhsa_system_sgpr_workgroup_id_y 0
		.amdhsa_system_sgpr_workgroup_id_z 0
		.amdhsa_system_sgpr_workgroup_info 0
		.amdhsa_system_vgpr_workitem_id 0
		.amdhsa_next_free_vgpr 41
		.amdhsa_next_free_sgpr 63
		.amdhsa_accum_offset 44
		.amdhsa_reserve_vcc 1
		.amdhsa_reserve_flat_scratch 0
		.amdhsa_float_round_mode_32 0
		.amdhsa_float_round_mode_16_64 0
		.amdhsa_float_denorm_mode_32 3
		.amdhsa_float_denorm_mode_16_64 3
		.amdhsa_dx10_clamp 1
		.amdhsa_ieee_mode 1
		.amdhsa_fp16_overflow 0
		.amdhsa_tg_split 0
		.amdhsa_exception_fp_ieee_invalid_op 0
		.amdhsa_exception_fp_denorm_src 0
		.amdhsa_exception_fp_ieee_div_zero 0
		.amdhsa_exception_fp_ieee_overflow 0
		.amdhsa_exception_fp_ieee_underflow 0
		.amdhsa_exception_fp_ieee_inexact 0
		.amdhsa_exception_int_div_zero 0
	.end_amdhsa_kernel
	.section	.text._ZN2at6native12_GLOBAL__N_143distribution_elementwise_grid_stride_kernelImLi2EZZZNS0_9templates4cuda32random_full_64_bits_range_kernelIPNS_17CUDAGeneratorImplEEEvRNS_18TensorIteratorBaseET_ENKUlvE_clEvENKUlvE4_clEvEUlP25hiprandStatePhilox4_32_10E_ZNS1_27distribution_nullary_kernelIdm15HIP_vector_typeIyLj2EES7_SF_ZZZNS5_IS7_EEvS9_SA_ENKSB_clEvENKSC_clEvEUlmE_EEvS9_T2_RKT3_T4_EUlimE0_EEvlNS_15PhiloxCudaStateET1_SK_,"axG",@progbits,_ZN2at6native12_GLOBAL__N_143distribution_elementwise_grid_stride_kernelImLi2EZZZNS0_9templates4cuda32random_full_64_bits_range_kernelIPNS_17CUDAGeneratorImplEEEvRNS_18TensorIteratorBaseET_ENKUlvE_clEvENKUlvE4_clEvEUlP25hiprandStatePhilox4_32_10E_ZNS1_27distribution_nullary_kernelIdm15HIP_vector_typeIyLj2EES7_SF_ZZZNS5_IS7_EEvS9_SA_ENKSB_clEvENKSC_clEvEUlmE_EEvS9_T2_RKT3_T4_EUlimE0_EEvlNS_15PhiloxCudaStateET1_SK_,comdat
.Lfunc_end63:
	.size	_ZN2at6native12_GLOBAL__N_143distribution_elementwise_grid_stride_kernelImLi2EZZZNS0_9templates4cuda32random_full_64_bits_range_kernelIPNS_17CUDAGeneratorImplEEEvRNS_18TensorIteratorBaseET_ENKUlvE_clEvENKUlvE4_clEvEUlP25hiprandStatePhilox4_32_10E_ZNS1_27distribution_nullary_kernelIdm15HIP_vector_typeIyLj2EES7_SF_ZZZNS5_IS7_EEvS9_SA_ENKSB_clEvENKSC_clEvEUlmE_EEvS9_T2_RKT3_T4_EUlimE0_EEvlNS_15PhiloxCudaStateET1_SK_, .Lfunc_end63-_ZN2at6native12_GLOBAL__N_143distribution_elementwise_grid_stride_kernelImLi2EZZZNS0_9templates4cuda32random_full_64_bits_range_kernelIPNS_17CUDAGeneratorImplEEEvRNS_18TensorIteratorBaseET_ENKUlvE_clEvENKUlvE4_clEvEUlP25hiprandStatePhilox4_32_10E_ZNS1_27distribution_nullary_kernelIdm15HIP_vector_typeIyLj2EES7_SF_ZZZNS5_IS7_EEvS9_SA_ENKSB_clEvENKSC_clEvEUlmE_EEvS9_T2_RKT3_T4_EUlimE0_EEvlNS_15PhiloxCudaStateET1_SK_
                                        ; -- End function
	.section	.AMDGPU.csdata,"",@progbits
; Kernel info:
; codeLenInByte = 3244
; NumSgprs: 67
; NumVgprs: 41
; NumAgprs: 0
; TotalNumVgprs: 41
; ScratchSize: 0
; MemoryBound: 0
; FloatMode: 240
; IeeeMode: 1
; LDSByteSize: 0 bytes/workgroup (compile time only)
; SGPRBlocks: 8
; VGPRBlocks: 5
; NumSGPRsForWavesPerEU: 67
; NumVGPRsForWavesPerEU: 41
; AccumOffset: 44
; Occupancy: 8
; WaveLimiterHint : 1
; COMPUTE_PGM_RSRC2:SCRATCH_EN: 0
; COMPUTE_PGM_RSRC2:USER_SGPR: 6
; COMPUTE_PGM_RSRC2:TRAP_HANDLER: 0
; COMPUTE_PGM_RSRC2:TGID_X_EN: 1
; COMPUTE_PGM_RSRC2:TGID_Y_EN: 0
; COMPUTE_PGM_RSRC2:TGID_Z_EN: 0
; COMPUTE_PGM_RSRC2:TIDIG_COMP_CNT: 0
; COMPUTE_PGM_RSRC3_GFX90A:ACCUM_OFFSET: 10
; COMPUTE_PGM_RSRC3_GFX90A:TG_SPLIT: 0
	.section	.text._ZN2at6native12_GLOBAL__N_143distribution_elementwise_grid_stride_kernelImLi2EZZZNS0_9templates4cuda32random_full_64_bits_range_kernelIPNS_17CUDAGeneratorImplEEEvRNS_18TensorIteratorBaseET_ENKUlvE_clEvENKUlvE5_clEvEUlP25hiprandStatePhilox4_32_10E_ZNS1_27distribution_nullary_kernelIfm15HIP_vector_typeIyLj2EES7_SF_ZZZNS5_IS7_EEvS9_SA_ENKSB_clEvENKSC_clEvEUlmE_EEvS9_T2_RKT3_T4_EUlimE_EEvlNS_15PhiloxCudaStateET1_SK_,"axG",@progbits,_ZN2at6native12_GLOBAL__N_143distribution_elementwise_grid_stride_kernelImLi2EZZZNS0_9templates4cuda32random_full_64_bits_range_kernelIPNS_17CUDAGeneratorImplEEEvRNS_18TensorIteratorBaseET_ENKUlvE_clEvENKUlvE5_clEvEUlP25hiprandStatePhilox4_32_10E_ZNS1_27distribution_nullary_kernelIfm15HIP_vector_typeIyLj2EES7_SF_ZZZNS5_IS7_EEvS9_SA_ENKSB_clEvENKSC_clEvEUlmE_EEvS9_T2_RKT3_T4_EUlimE_EEvlNS_15PhiloxCudaStateET1_SK_,comdat
	.globl	_ZN2at6native12_GLOBAL__N_143distribution_elementwise_grid_stride_kernelImLi2EZZZNS0_9templates4cuda32random_full_64_bits_range_kernelIPNS_17CUDAGeneratorImplEEEvRNS_18TensorIteratorBaseET_ENKUlvE_clEvENKUlvE5_clEvEUlP25hiprandStatePhilox4_32_10E_ZNS1_27distribution_nullary_kernelIfm15HIP_vector_typeIyLj2EES7_SF_ZZZNS5_IS7_EEvS9_SA_ENKSB_clEvENKSC_clEvEUlmE_EEvS9_T2_RKT3_T4_EUlimE_EEvlNS_15PhiloxCudaStateET1_SK_ ; -- Begin function _ZN2at6native12_GLOBAL__N_143distribution_elementwise_grid_stride_kernelImLi2EZZZNS0_9templates4cuda32random_full_64_bits_range_kernelIPNS_17CUDAGeneratorImplEEEvRNS_18TensorIteratorBaseET_ENKUlvE_clEvENKUlvE5_clEvEUlP25hiprandStatePhilox4_32_10E_ZNS1_27distribution_nullary_kernelIfm15HIP_vector_typeIyLj2EES7_SF_ZZZNS5_IS7_EEvS9_SA_ENKSB_clEvENKSC_clEvEUlmE_EEvS9_T2_RKT3_T4_EUlimE_EEvlNS_15PhiloxCudaStateET1_SK_
	.p2align	8
	.type	_ZN2at6native12_GLOBAL__N_143distribution_elementwise_grid_stride_kernelImLi2EZZZNS0_9templates4cuda32random_full_64_bits_range_kernelIPNS_17CUDAGeneratorImplEEEvRNS_18TensorIteratorBaseET_ENKUlvE_clEvENKUlvE5_clEvEUlP25hiprandStatePhilox4_32_10E_ZNS1_27distribution_nullary_kernelIfm15HIP_vector_typeIyLj2EES7_SF_ZZZNS5_IS7_EEvS9_SA_ENKSB_clEvENKSC_clEvEUlmE_EEvS9_T2_RKT3_T4_EUlimE_EEvlNS_15PhiloxCudaStateET1_SK_,@function
_ZN2at6native12_GLOBAL__N_143distribution_elementwise_grid_stride_kernelImLi2EZZZNS0_9templates4cuda32random_full_64_bits_range_kernelIPNS_17CUDAGeneratorImplEEEvRNS_18TensorIteratorBaseET_ENKUlvE_clEvENKUlvE5_clEvEUlP25hiprandStatePhilox4_32_10E_ZNS1_27distribution_nullary_kernelIfm15HIP_vector_typeIyLj2EES7_SF_ZZZNS5_IS7_EEvS9_SA_ENKSB_clEvENKSC_clEvEUlmE_EEvS9_T2_RKT3_T4_EUlimE_EEvlNS_15PhiloxCudaStateET1_SK_: ; @_ZN2at6native12_GLOBAL__N_143distribution_elementwise_grid_stride_kernelImLi2EZZZNS0_9templates4cuda32random_full_64_bits_range_kernelIPNS_17CUDAGeneratorImplEEEvRNS_18TensorIteratorBaseET_ENKUlvE_clEvENKUlvE5_clEvEUlP25hiprandStatePhilox4_32_10E_ZNS1_27distribution_nullary_kernelIfm15HIP_vector_typeIyLj2EES7_SF_ZZZNS5_IS7_EEvS9_SA_ENKSB_clEvENKSC_clEvEUlmE_EEvS9_T2_RKT3_T4_EUlimE_EEvlNS_15PhiloxCudaStateET1_SK_
; %bb.0:
	s_load_dword s7, s[4:5], 0x20
	s_load_dwordx2 s[10:11], s[4:5], 0x10
	s_load_dwordx4 s[0:3], s[4:5], 0x0
	s_mov_b32 s8, 0
	s_waitcnt lgkmcnt(0)
	s_bitcmp0_b32 s7, 0
	v_pk_mov_b32 v[2:3], s[10:11], s[10:11] op_sel:[0,1]
	v_pk_mov_b32 v[14:15], s[2:3], s[2:3] op_sel:[0,1]
	s_cbranch_scc1 .LBB64_2
; %bb.1:
	v_pk_mov_b32 v[2:3], s[10:11], s[10:11] op_sel:[0,1]
	flat_load_dwordx2 v[2:3], v[2:3]
	v_pk_mov_b32 v[4:5], s[2:3], s[2:3] op_sel:[0,1]
	flat_load_dwordx2 v[14:15], v[4:5]
	s_load_dwordx2 s[2:3], s[4:5], 0x18
	s_waitcnt lgkmcnt(0)
	v_mov_b32_e32 v1, s3
	s_waitcnt vmcnt(0)
	v_add_co_u32_e32 v2, vcc, s2, v2
	v_addc_co_u32_e32 v3, vcc, v3, v1, vcc
.LBB64_2:
	s_load_dword s2, s[4:5], 0x4c
	s_load_dword s10, s[4:5], 0x40
	s_waitcnt lgkmcnt(0)
	s_and_b32 s7, s2, 0xffff
	s_add_u32 s11, s0, -1
	s_mul_i32 s12, s10, s7
	s_addc_u32 s9, s1, -1
	s_lshl_b32 s13, s12, 1
	s_cmp_lg_u64 s[8:9], 0
	s_mov_b64 s[2:3], -1
	s_cbranch_scc0 .LBB64_23
; %bb.3:
	v_cvt_f32_u32_e32 v1, s13
	v_cvt_f32_ubyte0_e32 v4, 0
	s_sub_u32 s8, 0, s13
	s_subb_u32 s14, 0, 0
	v_madmk_f32 v1, v4, 0x4f800000, v1
	v_rcp_f32_e32 v1, v1
	v_mul_f32_e32 v1, 0x5f7ffffc, v1
	v_mul_f32_e32 v4, 0x2f800000, v1
	v_trunc_f32_e32 v4, v4
	v_madmk_f32 v1, v4, 0xcf800000, v1
	v_cvt_u32_f32_e32 v4, v4
	v_cvt_u32_f32_e32 v1, v1
	v_readfirstlane_b32 s15, v4
	v_readfirstlane_b32 s16, v1
	s_mul_i32 s17, s8, s15
	s_mul_hi_u32 s19, s8, s16
	s_mul_i32 s18, s14, s16
	s_add_i32 s17, s19, s17
	s_add_i32 s17, s17, s18
	s_mul_i32 s20, s8, s16
	s_mul_hi_u32 s18, s16, s17
	s_mul_i32 s19, s16, s17
	s_mul_hi_u32 s16, s16, s20
	s_add_u32 s16, s16, s19
	s_addc_u32 s18, 0, s18
	s_mul_hi_u32 s21, s15, s20
	s_mul_i32 s20, s15, s20
	s_add_u32 s16, s16, s20
	s_mul_hi_u32 s19, s15, s17
	s_addc_u32 s16, s18, s21
	s_addc_u32 s18, s19, 0
	s_mul_i32 s17, s15, s17
	s_add_u32 s16, s16, s17
	s_addc_u32 s17, 0, s18
	v_add_co_u32_e32 v1, vcc, s16, v1
	s_cmp_lg_u64 vcc, 0
	s_addc_u32 s15, s15, s17
	v_readfirstlane_b32 s17, v1
	s_mul_i32 s16, s8, s15
	s_mul_hi_u32 s18, s8, s17
	s_add_i32 s16, s18, s16
	s_mul_i32 s14, s14, s17
	s_add_i32 s16, s16, s14
	s_mul_i32 s8, s8, s17
	s_mul_hi_u32 s18, s15, s8
	s_mul_i32 s19, s15, s8
	s_mul_i32 s21, s17, s16
	s_mul_hi_u32 s8, s17, s8
	s_mul_hi_u32 s20, s17, s16
	s_add_u32 s8, s8, s21
	s_addc_u32 s17, 0, s20
	s_add_u32 s8, s8, s19
	s_mul_hi_u32 s14, s15, s16
	s_addc_u32 s8, s17, s18
	s_addc_u32 s14, s14, 0
	s_mul_i32 s16, s15, s16
	s_add_u32 s8, s8, s16
	s_addc_u32 s14, 0, s14
	v_add_co_u32_e32 v1, vcc, s8, v1
	s_cmp_lg_u64 vcc, 0
	s_addc_u32 s16, s15, s14
	s_ashr_i32 s14, s9, 31
	s_add_u32 s8, s11, s14
	s_mov_b32 s15, s14
	s_addc_u32 s9, s9, s14
	s_xor_b64 s[8:9], s[8:9], s[14:15]
	v_readfirstlane_b32 s19, v1
	s_mul_i32 s18, s8, s16
	s_mul_hi_u32 s20, s8, s19
	s_mul_hi_u32 s17, s8, s16
	s_add_u32 s18, s20, s18
	s_addc_u32 s17, 0, s17
	s_mul_hi_u32 s21, s9, s19
	s_mul_i32 s19, s9, s19
	s_add_u32 s18, s18, s19
	s_mul_hi_u32 s20, s9, s16
	s_addc_u32 s17, s17, s21
	s_addc_u32 s18, s20, 0
	s_mul_i32 s16, s9, s16
	s_add_u32 s16, s17, s16
	s_addc_u32 s17, 0, s18
	s_add_u32 s18, s16, 1
	s_addc_u32 s19, s17, 0
	s_add_u32 s20, s16, 2
	s_mul_i32 s22, s13, s17
	s_mul_hi_u32 s23, s13, s16
	s_addc_u32 s21, s17, 0
	s_add_i32 s23, s23, s22
	s_mul_i32 s22, s13, s16
	v_mov_b32_e32 v1, s22
	v_sub_co_u32_e32 v1, vcc, s8, v1
	s_cmp_lg_u64 vcc, 0
	s_subb_u32 s8, s9, s23
	v_subrev_co_u32_e32 v4, vcc, s13, v1
	s_cmp_lg_u64 vcc, 0
	s_subb_u32 s9, s8, 0
	v_readfirstlane_b32 s22, v4
	s_cmp_ge_u32 s22, s13
	s_cselect_b32 s22, -1, 0
	s_cmp_eq_u32 s9, 0
	s_cselect_b32 s9, s22, -1
	s_cmp_lg_u32 s9, 0
	s_cselect_b32 s9, s21, s19
	v_readfirstlane_b32 s19, v1
	s_cselect_b32 s18, s20, s18
	s_cmp_ge_u32 s19, s13
	s_cselect_b32 s19, -1, 0
	s_cmp_eq_u32 s8, 0
	s_cselect_b32 s8, s19, -1
	s_cmp_lg_u32 s8, 0
	s_cselect_b32 s9, s9, s17
	s_cselect_b32 s8, s18, s16
	s_xor_b64 s[8:9], s[8:9], s[14:15]
	s_sub_u32 s8, s8, s14
	s_subb_u32 s9, s9, s14
	s_cbranch_execnz .LBB64_5
.LBB64_4:
	v_cvt_f32_u32_e32 v1, s13
	s_sub_i32 s2, 0, s13
	s_mov_b32 s9, 0
	v_rcp_iflag_f32_e32 v1, v1
	v_mul_f32_e32 v1, 0x4f7ffffe, v1
	v_cvt_u32_f32_e32 v1, v1
	v_readfirstlane_b32 s3, v1
	s_mul_i32 s2, s2, s3
	s_mul_hi_u32 s2, s3, s2
	s_add_i32 s3, s3, s2
	s_mul_hi_u32 s2, s11, s3
	s_mul_i32 s8, s2, s13
	s_sub_i32 s8, s11, s8
	s_add_i32 s3, s2, 1
	s_sub_i32 s11, s8, s13
	s_cmp_ge_u32 s8, s13
	s_cselect_b32 s2, s3, s2
	s_cselect_b32 s8, s11, s8
	s_add_i32 s3, s2, 1
	s_cmp_ge_u32 s8, s13
	s_cselect_b32 s8, s3, s2
.LBB64_5:
	v_mov_b32_e32 v1, 0
	v_mov_b32_e32 v4, s6
	v_mad_u64_u32 v[16:17], s[2:3], s7, v4, v[0:1]
	s_add_u32 s2, s8, 1
	s_addc_u32 s3, s9, 0
	s_mul_hi_u32 s8, s10, s7
	s_mul_i32 s3, s12, s3
	s_mul_hi_u32 s9, s12, s2
	s_add_i32 s3, s9, s3
	s_mul_i32 s8, s8, s2
	s_add_i32 s3, s3, s8
	s_mul_i32 s2, s12, s2
	s_lshl_b64 s[2:3], s[2:3], 1
	v_cmp_gt_i64_e32 vcc, s[2:3], v[16:17]
	s_and_saveexec_b64 s[8:9], vcc
	s_cbranch_execz .LBB64_22
; %bb.6:
	s_load_dwordx2 s[8:9], s[4:5], 0x30
	s_load_dword s11, s[4:5], 0x38
	s_mov_b32 s4, 0x5384540f
	v_mov_b32_e32 v4, v15
	v_add_co_u32_e32 v22, vcc, s4, v14
	s_mov_b32 s4, 0x646e171e
	v_add_co_u32_e32 v23, vcc, s4, v4
	s_mov_b32 s4, 0x1715609d
	;; [unrolled: 2-line block ×6, first 2 shown]
	v_alignbit_b32 v29, v3, v2, 2
	s_mov_b32 s15, 0xd2511f53
	v_add_co_u32_e32 v28, vcc, s4, v14
	v_mad_u64_u32 v[6:7], s[4:5], v29, s15, 0
	v_xor_b32_e32 v1, v7, v15
	v_xor_b32_e32 v1, v1, v17
	s_mov_b32 s16, 0xcd9e8d57
	v_mad_u64_u32 v[8:9], s[4:5], v1, s16, 0
	v_xor_b32_e32 v1, v28, v9
	v_mad_u64_u32 v[10:11], s[4:5], v16, s16, 0
	v_and_b32_e32 v18, 3, v2
	v_xor_b32_e32 v1, v1, v10
	v_xor_b32_e32 v2, v14, v11
	v_lshrrev_b32_e32 v30, 2, v3
	v_mad_u64_u32 v[12:13], s[4:5], v1, s15, 0
	v_xor_b32_e32 v2, v2, v30
	v_xor_b32_e32 v1, v27, v13
	v_mad_u64_u32 v[2:3], s[4:5], v2, s15, 0
	v_xor_b32_e32 v1, v1, v2
	v_mad_u64_u32 v[10:11], s[4:5], v1, s16, 0
	s_mov_b32 s4, 0xbb67ae85
	v_add_co_u32_e32 v31, vcc, s4, v4
	v_xor_b32_e32 v2, v31, v3
	v_xor_b32_e32 v2, v2, v6
	v_xor_b32_e32 v1, v26, v11
	v_mad_u64_u32 v[2:3], s[4:5], v2, s16, 0
	v_xor_b32_e32 v1, v1, v2
	v_mad_u64_u32 v[6:7], s[4:5], v1, s15, 0
	s_mov_b32 s4, 0x3c6ef372
	v_add_co_u32_e32 v32, vcc, s4, v14
	v_xor_b32_e32 v2, v32, v3
	;; [unrolled: 8-line block ×6, first 2 shown]
	v_add_co_u32_e32 v21, vcc, 0xdb3d7428, v4
	v_xor_b32_e32 v2, v2, v8
	v_xor_b32_e32 v1, v21, v7
	v_mad_u64_u32 v[2:3], s[4:5], v2, s15, 0
	v_xor_b32_e32 v1, v1, v2
	v_mad_u64_u32 v[8:9], s[4:5], v1, s16, 0
	s_mov_b32 s4, 0x1fd5c5a3
	v_add_co_u32_e32 v37, vcc, s4, v4
	v_xor_b32_e32 v1, v37, v3
	v_xor_b32_e32 v1, v1, v12
	v_mad_u64_u32 v[2:3], s[4:5], v1, s16, 0
	s_mov_b32 s4, 0xf1bbcdc8
	v_add_u32_e32 v19, 0x8ff34781, v14
	v_xor_b32_e32 v1, v9, v2
	v_add_co_u32_e32 v38, vcc, s4, v14
	v_xor_b32_e32 v2, v19, v1
	v_xor_b32_e32 v1, v38, v3
	;; [unrolled: 1-line block ×3, first 2 shown]
	v_mad_u64_u32 v[10:11], s[4:5], v1, s15, 0
	v_add_u32_e32 v20, 0x96a522ad, v15
	v_xor_b32_e32 v1, v11, v6
	s_mul_i32 s4, s6, s7
	v_xor_b32_e32 v4, v20, v1
	v_add_u32_e32 v1, s4, v0
	s_waitcnt lgkmcnt(0)
	s_mul_i32 s4, s10, s11
	s_mul_i32 s4, s4, s7
	s_lshl_b32 s17, s4, 1
	s_add_i32 s4, s6, s10
	s_mul_i32 s4, s4, s7
	s_mov_b32 s14, 0
	v_add_u32_e32 v0, s4, v0
	v_mov_b32_e32 v3, v8
	v_mov_b32_e32 v5, v10
	v_mul_lo_u32 v39, s11, v1
	v_mul_lo_u32 v40, s11, v0
	s_mov_b64 s[4:5], 0
	s_mov_b32 s18, s14
	v_mov_b32_e32 v41, v16
	v_mov_b32_e32 v42, v17
	s_branch .LBB64_8
.LBB64_7:                               ;   in Loop: Header=BB64_8 Depth=1
	s_or_b64 exec, exec, s[6:7]
	v_add_co_u32_e32 v16, vcc, s13, v16
	v_addc_co_u32_e32 v17, vcc, 0, v17, vcc
	v_mov_b32_e32 v9, v0
	s_add_i32 s18, s18, s17
	v_cmp_le_i64_e32 vcc, s[2:3], v[16:17]
	v_pk_mov_b32 v[2:3], v[6:7], v[6:7] op_sel:[0,1]
	s_or_b64 s[4:5], vcc, s[4:5]
	v_pk_mov_b32 v[4:5], v[8:9], v[8:9] op_sel:[0,1]
	s_barrier
	s_andn2_b64 exec, exec, s[4:5]
	s_cbranch_execz .LBB64_22
.LBB64_8:                               ; =>This Inner Loop Header: Depth=1
	v_add_co_u32_e32 v29, vcc, 1, v29
	v_cndmask_b32_e64 v0, 0, 1, vcc
	v_addc_co_u32_e32 v30, vcc, 0, v30, vcc
	v_cmp_eq_u32_e32 vcc, 0, v30
	v_cndmask_b32_e32 v0, 0, v0, vcc
	v_add_u32_e32 v41, v0, v41
	v_cmp_eq_u32_e32 vcc, 0, v41
	v_cndmask_b32_e32 v0, 0, v0, vcc
	v_add_u32_e32 v42, v0, v42
	v_mad_u64_u32 v[0:1], s[6:7], v29, s15, 0
	v_mad_u64_u32 v[6:7], s[6:7], v41, s16, 0
	v_xor_b32_e32 v1, v1, v15
	v_xor_b32_e32 v7, v7, v14
	v_xor_b32_e32 v1, v42, v1
	v_xor_b32_e32 v7, v30, v7
	v_mad_u64_u32 v[10:11], s[6:7], v1, s16, 0
	v_mad_u64_u32 v[8:9], s[6:7], v7, s15, 0
	v_xor_b32_e32 v1, v28, v11
	v_xor_b32_e32 v1, v1, v6
	v_xor_b32_e32 v6, v31, v9
	v_xor_b32_e32 v6, v6, v0
	;; [unrolled: 6-line block ×10, first 2 shown]
	v_mov_b32_e32 v7, v12
	v_mov_b32_e32 v8, v13
	v_cmp_lt_i32_e32 vcc, 1, v18
	s_and_saveexec_b64 s[6:7], vcc
	s_xor_b64 s[6:7], exec, s[6:7]
	s_cbranch_execnz .LBB64_14
; %bb.9:                                ;   in Loop: Header=BB64_8 Depth=1
	s_andn2_saveexec_b64 s[6:7], s[6:7]
	s_cbranch_execnz .LBB64_19
.LBB64_10:                              ;   in Loop: Header=BB64_8 Depth=1
	s_or_b64 exec, exec, s[6:7]
	v_cmp_gt_i64_e32 vcc, s[0:1], v[16:17]
	s_and_saveexec_b64 s[6:7], vcc
	s_cbranch_execz .LBB64_12
.LBB64_11:                              ;   in Loop: Header=BB64_8 Depth=1
	v_mov_b32_e32 v11, v2
	v_ffbh_i32_e32 v13, v2
	v_xor_b32_e32 v2, v3, v2
	v_ashrrev_i32_e32 v2, 31, v2
	v_add_u32_e32 v13, -1, v13
	v_add_u32_e32 v2, 32, v2
	v_mov_b32_e32 v10, v3
	v_min_u32_e32 v13, v13, v2
	v_lshlrev_b64 v[2:3], v13, v[10:11]
	v_min_u32_e32 v2, 1, v2
	v_or_b32_e32 v2, v3, v2
	v_cvt_f32_i32_e32 v10, v2
	v_add_u32_e32 v1, s18, v39
	v_ashrrev_i32_e32 v9, 31, v1
	v_mov_b32_e32 v12, s9
	v_add_co_u32_e32 v2, vcc, s8, v1
	v_sub_u32_e32 v1, 32, v13
	v_addc_co_u32_e32 v3, vcc, v12, v9, vcc
	v_ldexp_f32 v1, v10, v1
	global_store_dword v[2:3], v1, off
.LBB64_12:                              ;   in Loop: Header=BB64_8 Depth=1
	s_or_b64 exec, exec, s[6:7]
	v_mov_b32_e32 v1, s14
	v_add_co_u32_e32 v2, vcc, s12, v16
	v_addc_co_u32_e32 v3, vcc, v1, v17, vcc
	v_cmp_gt_i64_e32 vcc, s[0:1], v[2:3]
	s_and_saveexec_b64 s[6:7], vcc
	s_cbranch_execz .LBB64_7
; %bb.13:                               ;   in Loop: Header=BB64_8 Depth=1
	v_mov_b32_e32 v3, v4
	v_ffbh_i32_e32 v11, v4
	v_xor_b32_e32 v4, v5, v4
	v_ashrrev_i32_e32 v4, 31, v4
	v_add_u32_e32 v11, -1, v11
	v_add_u32_e32 v4, 32, v4
	v_mov_b32_e32 v2, v5
	v_min_u32_e32 v4, v11, v4
	v_lshlrev_b64 v[2:3], v4, v[2:3]
	v_min_u32_e32 v2, 1, v2
	v_or_b32_e32 v2, v3, v2
	v_cvt_f32_i32_e32 v5, v2
	v_add_u32_e32 v1, s18, v40
	v_ashrrev_i32_e32 v9, 31, v1
	v_mov_b32_e32 v10, s9
	v_add_co_u32_e32 v2, vcc, s8, v1
	v_sub_u32_e32 v1, 32, v4
	v_addc_co_u32_e32 v3, vcc, v10, v9, vcc
	v_ldexp_f32 v1, v5, v1
	global_store_dword v[2:3], v1, off
	s_branch .LBB64_7
.LBB64_14:                              ;   in Loop: Header=BB64_8 Depth=1
	v_cmp_lt_i32_e32 vcc, 2, v18
	s_and_saveexec_b64 s[10:11], vcc
	s_xor_b64 s[10:11], exec, s[10:11]
; %bb.15:                               ;   in Loop: Header=BB64_8 Depth=1
	v_mov_b32_e32 v10, v5
	v_mov_b32_e32 v11, v6
	v_pk_mov_b32 v[2:3], v[10:11], v[10:11] op_sel:[0,1]
	v_pk_mov_b32 v[4:5], v[12:13], v[12:13] op_sel:[0,1]
                                        ; implicit-def: $vgpr12_vgpr13
; %bb.16:                               ;   in Loop: Header=BB64_8 Depth=1
	s_andn2_saveexec_b64 s[10:11], s[10:11]
; %bb.17:                               ;   in Loop: Header=BB64_8 Depth=1
	v_mov_b32_e32 v2, v4
	v_mov_b32_e32 v3, v5
	;; [unrolled: 1-line block ×4, first 2 shown]
; %bb.18:                               ;   in Loop: Header=BB64_8 Depth=1
	s_or_b64 exec, exec, s[10:11]
	s_andn2_saveexec_b64 s[6:7], s[6:7]
	s_cbranch_execz .LBB64_10
.LBB64_19:                              ;   in Loop: Header=BB64_8 Depth=1
	v_cmp_eq_u32_e32 vcc, 1, v18
	s_and_saveexec_b64 s[10:11], vcc
; %bb.20:                               ;   in Loop: Header=BB64_8 Depth=1
	v_mov_b32_e32 v2, v3
	v_mov_b32_e32 v3, v4
	;; [unrolled: 1-line block ×4, first 2 shown]
; %bb.21:                               ;   in Loop: Header=BB64_8 Depth=1
	s_or_b64 exec, exec, s[10:11]
	s_or_b64 exec, exec, s[6:7]
	v_cmp_gt_i64_e32 vcc, s[0:1], v[16:17]
	s_and_saveexec_b64 s[6:7], vcc
	s_cbranch_execnz .LBB64_11
	s_branch .LBB64_12
.LBB64_22:
	s_endpgm
.LBB64_23:
                                        ; implicit-def: $sgpr8_sgpr9
	s_andn2_b64 vcc, exec, s[2:3]
	s_cbranch_vccz .LBB64_4
	s_branch .LBB64_5
	.section	.rodata,"a",@progbits
	.p2align	6, 0x0
	.amdhsa_kernel _ZN2at6native12_GLOBAL__N_143distribution_elementwise_grid_stride_kernelImLi2EZZZNS0_9templates4cuda32random_full_64_bits_range_kernelIPNS_17CUDAGeneratorImplEEEvRNS_18TensorIteratorBaseET_ENKUlvE_clEvENKUlvE5_clEvEUlP25hiprandStatePhilox4_32_10E_ZNS1_27distribution_nullary_kernelIfm15HIP_vector_typeIyLj2EES7_SF_ZZZNS5_IS7_EEvS9_SA_ENKSB_clEvENKSC_clEvEUlmE_EEvS9_T2_RKT3_T4_EUlimE_EEvlNS_15PhiloxCudaStateET1_SK_
		.amdhsa_group_segment_fixed_size 0
		.amdhsa_private_segment_fixed_size 0
		.amdhsa_kernarg_size 320
		.amdhsa_user_sgpr_count 6
		.amdhsa_user_sgpr_private_segment_buffer 1
		.amdhsa_user_sgpr_dispatch_ptr 0
		.amdhsa_user_sgpr_queue_ptr 0
		.amdhsa_user_sgpr_kernarg_segment_ptr 1
		.amdhsa_user_sgpr_dispatch_id 0
		.amdhsa_user_sgpr_flat_scratch_init 0
		.amdhsa_user_sgpr_kernarg_preload_length 0
		.amdhsa_user_sgpr_kernarg_preload_offset 0
		.amdhsa_user_sgpr_private_segment_size 0
		.amdhsa_uses_dynamic_stack 0
		.amdhsa_system_sgpr_private_segment_wavefront_offset 0
		.amdhsa_system_sgpr_workgroup_id_x 1
		.amdhsa_system_sgpr_workgroup_id_y 0
		.amdhsa_system_sgpr_workgroup_id_z 0
		.amdhsa_system_sgpr_workgroup_info 0
		.amdhsa_system_vgpr_workitem_id 0
		.amdhsa_next_free_vgpr 46
		.amdhsa_next_free_sgpr 24
		.amdhsa_accum_offset 48
		.amdhsa_reserve_vcc 1
		.amdhsa_reserve_flat_scratch 0
		.amdhsa_float_round_mode_32 0
		.amdhsa_float_round_mode_16_64 0
		.amdhsa_float_denorm_mode_32 3
		.amdhsa_float_denorm_mode_16_64 3
		.amdhsa_dx10_clamp 1
		.amdhsa_ieee_mode 1
		.amdhsa_fp16_overflow 0
		.amdhsa_tg_split 0
		.amdhsa_exception_fp_ieee_invalid_op 0
		.amdhsa_exception_fp_denorm_src 0
		.amdhsa_exception_fp_ieee_div_zero 0
		.amdhsa_exception_fp_ieee_overflow 0
		.amdhsa_exception_fp_ieee_underflow 0
		.amdhsa_exception_fp_ieee_inexact 0
		.amdhsa_exception_int_div_zero 0
	.end_amdhsa_kernel
	.section	.text._ZN2at6native12_GLOBAL__N_143distribution_elementwise_grid_stride_kernelImLi2EZZZNS0_9templates4cuda32random_full_64_bits_range_kernelIPNS_17CUDAGeneratorImplEEEvRNS_18TensorIteratorBaseET_ENKUlvE_clEvENKUlvE5_clEvEUlP25hiprandStatePhilox4_32_10E_ZNS1_27distribution_nullary_kernelIfm15HIP_vector_typeIyLj2EES7_SF_ZZZNS5_IS7_EEvS9_SA_ENKSB_clEvENKSC_clEvEUlmE_EEvS9_T2_RKT3_T4_EUlimE_EEvlNS_15PhiloxCudaStateET1_SK_,"axG",@progbits,_ZN2at6native12_GLOBAL__N_143distribution_elementwise_grid_stride_kernelImLi2EZZZNS0_9templates4cuda32random_full_64_bits_range_kernelIPNS_17CUDAGeneratorImplEEEvRNS_18TensorIteratorBaseET_ENKUlvE_clEvENKUlvE5_clEvEUlP25hiprandStatePhilox4_32_10E_ZNS1_27distribution_nullary_kernelIfm15HIP_vector_typeIyLj2EES7_SF_ZZZNS5_IS7_EEvS9_SA_ENKSB_clEvENKSC_clEvEUlmE_EEvS9_T2_RKT3_T4_EUlimE_EEvlNS_15PhiloxCudaStateET1_SK_,comdat
.Lfunc_end64:
	.size	_ZN2at6native12_GLOBAL__N_143distribution_elementwise_grid_stride_kernelImLi2EZZZNS0_9templates4cuda32random_full_64_bits_range_kernelIPNS_17CUDAGeneratorImplEEEvRNS_18TensorIteratorBaseET_ENKUlvE_clEvENKUlvE5_clEvEUlP25hiprandStatePhilox4_32_10E_ZNS1_27distribution_nullary_kernelIfm15HIP_vector_typeIyLj2EES7_SF_ZZZNS5_IS7_EEvS9_SA_ENKSB_clEvENKSC_clEvEUlmE_EEvS9_T2_RKT3_T4_EUlimE_EEvlNS_15PhiloxCudaStateET1_SK_, .Lfunc_end64-_ZN2at6native12_GLOBAL__N_143distribution_elementwise_grid_stride_kernelImLi2EZZZNS0_9templates4cuda32random_full_64_bits_range_kernelIPNS_17CUDAGeneratorImplEEEvRNS_18TensorIteratorBaseET_ENKUlvE_clEvENKUlvE5_clEvEUlP25hiprandStatePhilox4_32_10E_ZNS1_27distribution_nullary_kernelIfm15HIP_vector_typeIyLj2EES7_SF_ZZZNS5_IS7_EEvS9_SA_ENKSB_clEvENKSC_clEvEUlmE_EEvS9_T2_RKT3_T4_EUlimE_EEvlNS_15PhiloxCudaStateET1_SK_
                                        ; -- End function
	.section	.AMDGPU.csdata,"",@progbits
; Kernel info:
; codeLenInByte = 2288
; NumSgprs: 28
; NumVgprs: 46
; NumAgprs: 0
; TotalNumVgprs: 46
; ScratchSize: 0
; MemoryBound: 0
; FloatMode: 240
; IeeeMode: 1
; LDSByteSize: 0 bytes/workgroup (compile time only)
; SGPRBlocks: 3
; VGPRBlocks: 5
; NumSGPRsForWavesPerEU: 28
; NumVGPRsForWavesPerEU: 46
; AccumOffset: 48
; Occupancy: 8
; WaveLimiterHint : 0
; COMPUTE_PGM_RSRC2:SCRATCH_EN: 0
; COMPUTE_PGM_RSRC2:USER_SGPR: 6
; COMPUTE_PGM_RSRC2:TRAP_HANDLER: 0
; COMPUTE_PGM_RSRC2:TGID_X_EN: 1
; COMPUTE_PGM_RSRC2:TGID_Y_EN: 0
; COMPUTE_PGM_RSRC2:TGID_Z_EN: 0
; COMPUTE_PGM_RSRC2:TIDIG_COMP_CNT: 0
; COMPUTE_PGM_RSRC3_GFX90A:ACCUM_OFFSET: 11
; COMPUTE_PGM_RSRC3_GFX90A:TG_SPLIT: 0
	.section	.text._ZN2at6native12_GLOBAL__N_143distribution_elementwise_grid_stride_kernelImLi2EZZZNS0_9templates4cuda32random_full_64_bits_range_kernelIPNS_17CUDAGeneratorImplEEEvRNS_18TensorIteratorBaseET_ENKUlvE_clEvENKUlvE5_clEvEUlP25hiprandStatePhilox4_32_10E_ZNS1_27distribution_nullary_kernelIfm15HIP_vector_typeIyLj2EES7_SF_ZZZNS5_IS7_EEvS9_SA_ENKSB_clEvENKSC_clEvEUlmE_EEvS9_T2_RKT3_T4_EUlimE0_EEvlNS_15PhiloxCudaStateET1_SK_,"axG",@progbits,_ZN2at6native12_GLOBAL__N_143distribution_elementwise_grid_stride_kernelImLi2EZZZNS0_9templates4cuda32random_full_64_bits_range_kernelIPNS_17CUDAGeneratorImplEEEvRNS_18TensorIteratorBaseET_ENKUlvE_clEvENKUlvE5_clEvEUlP25hiprandStatePhilox4_32_10E_ZNS1_27distribution_nullary_kernelIfm15HIP_vector_typeIyLj2EES7_SF_ZZZNS5_IS7_EEvS9_SA_ENKSB_clEvENKSC_clEvEUlmE_EEvS9_T2_RKT3_T4_EUlimE0_EEvlNS_15PhiloxCudaStateET1_SK_,comdat
	.globl	_ZN2at6native12_GLOBAL__N_143distribution_elementwise_grid_stride_kernelImLi2EZZZNS0_9templates4cuda32random_full_64_bits_range_kernelIPNS_17CUDAGeneratorImplEEEvRNS_18TensorIteratorBaseET_ENKUlvE_clEvENKUlvE5_clEvEUlP25hiprandStatePhilox4_32_10E_ZNS1_27distribution_nullary_kernelIfm15HIP_vector_typeIyLj2EES7_SF_ZZZNS5_IS7_EEvS9_SA_ENKSB_clEvENKSC_clEvEUlmE_EEvS9_T2_RKT3_T4_EUlimE0_EEvlNS_15PhiloxCudaStateET1_SK_ ; -- Begin function _ZN2at6native12_GLOBAL__N_143distribution_elementwise_grid_stride_kernelImLi2EZZZNS0_9templates4cuda32random_full_64_bits_range_kernelIPNS_17CUDAGeneratorImplEEEvRNS_18TensorIteratorBaseET_ENKUlvE_clEvENKUlvE5_clEvEUlP25hiprandStatePhilox4_32_10E_ZNS1_27distribution_nullary_kernelIfm15HIP_vector_typeIyLj2EES7_SF_ZZZNS5_IS7_EEvS9_SA_ENKSB_clEvENKSC_clEvEUlmE_EEvS9_T2_RKT3_T4_EUlimE0_EEvlNS_15PhiloxCudaStateET1_SK_
	.p2align	8
	.type	_ZN2at6native12_GLOBAL__N_143distribution_elementwise_grid_stride_kernelImLi2EZZZNS0_9templates4cuda32random_full_64_bits_range_kernelIPNS_17CUDAGeneratorImplEEEvRNS_18TensorIteratorBaseET_ENKUlvE_clEvENKUlvE5_clEvEUlP25hiprandStatePhilox4_32_10E_ZNS1_27distribution_nullary_kernelIfm15HIP_vector_typeIyLj2EES7_SF_ZZZNS5_IS7_EEvS9_SA_ENKSB_clEvENKSC_clEvEUlmE_EEvS9_T2_RKT3_T4_EUlimE0_EEvlNS_15PhiloxCudaStateET1_SK_,@function
_ZN2at6native12_GLOBAL__N_143distribution_elementwise_grid_stride_kernelImLi2EZZZNS0_9templates4cuda32random_full_64_bits_range_kernelIPNS_17CUDAGeneratorImplEEEvRNS_18TensorIteratorBaseET_ENKUlvE_clEvENKUlvE5_clEvEUlP25hiprandStatePhilox4_32_10E_ZNS1_27distribution_nullary_kernelIfm15HIP_vector_typeIyLj2EES7_SF_ZZZNS5_IS7_EEvS9_SA_ENKSB_clEvENKSC_clEvEUlmE_EEvS9_T2_RKT3_T4_EUlimE0_EEvlNS_15PhiloxCudaStateET1_SK_: ; @_ZN2at6native12_GLOBAL__N_143distribution_elementwise_grid_stride_kernelImLi2EZZZNS0_9templates4cuda32random_full_64_bits_range_kernelIPNS_17CUDAGeneratorImplEEEvRNS_18TensorIteratorBaseET_ENKUlvE_clEvENKUlvE5_clEvEUlP25hiprandStatePhilox4_32_10E_ZNS1_27distribution_nullary_kernelIfm15HIP_vector_typeIyLj2EES7_SF_ZZZNS5_IS7_EEvS9_SA_ENKSB_clEvENKSC_clEvEUlmE_EEvS9_T2_RKT3_T4_EUlimE0_EEvlNS_15PhiloxCudaStateET1_SK_
; %bb.0:
	s_load_dword s2, s[4:5], 0x20
	s_load_dwordx2 s[0:1], s[4:5], 0x10
	s_load_dwordx4 s[24:27], s[4:5], 0x0
	s_waitcnt lgkmcnt(0)
	s_bitcmp0_b32 s2, 0
	s_mov_b32 s2, 0
	v_pk_mov_b32 v[2:3], s[0:1], s[0:1] op_sel:[0,1]
	v_pk_mov_b32 v[12:13], s[26:27], s[26:27] op_sel:[0,1]
	s_cbranch_scc1 .LBB65_2
; %bb.1:
	v_pk_mov_b32 v[2:3], s[0:1], s[0:1] op_sel:[0,1]
	flat_load_dwordx2 v[2:3], v[2:3]
	v_pk_mov_b32 v[4:5], s[26:27], s[26:27] op_sel:[0,1]
	flat_load_dwordx2 v[12:13], v[4:5]
	s_load_dwordx2 s[0:1], s[4:5], 0x18
	s_waitcnt lgkmcnt(0)
	v_mov_b32_e32 v1, s1
	s_waitcnt vmcnt(0)
	v_add_co_u32_e32 v2, vcc, s0, v2
	v_addc_co_u32_e32 v3, vcc, v3, v1, vcc
.LBB65_2:
	s_load_dword s0, s[4:5], 0x154
	s_load_dword s7, s[4:5], 0x148
	s_waitcnt lgkmcnt(0)
	s_and_b32 s8, s0, 0xffff
	s_add_u32 s9, s24, -1
	s_mul_i32 s33, s7, s8
	s_addc_u32 s3, s25, -1
	s_lshl_b32 s58, s33, 1
	s_cmp_lg_u64 s[2:3], 0
	s_mov_b64 s[0:1], -1
	s_cbranch_scc0 .LBB65_51
; %bb.3:
	v_cvt_f32_u32_e32 v1, s58
	v_cvt_f32_ubyte0_e32 v4, 0
	s_sub_u32 s2, 0, s58
	s_subb_u32 s10, 0, 0
	v_madmk_f32 v1, v4, 0x4f800000, v1
	v_rcp_f32_e32 v1, v1
	v_mul_f32_e32 v1, 0x5f7ffffc, v1
	v_mul_f32_e32 v4, 0x2f800000, v1
	v_trunc_f32_e32 v4, v4
	v_madmk_f32 v1, v4, 0xcf800000, v1
	v_cvt_u32_f32_e32 v4, v4
	v_cvt_u32_f32_e32 v1, v1
	v_readfirstlane_b32 s11, v4
	v_readfirstlane_b32 s12, v1
	s_mul_i32 s13, s2, s11
	s_mul_hi_u32 s15, s2, s12
	s_mul_i32 s14, s10, s12
	s_add_i32 s13, s15, s13
	s_add_i32 s13, s13, s14
	s_mul_i32 s16, s2, s12
	s_mul_hi_u32 s14, s12, s13
	s_mul_i32 s15, s12, s13
	s_mul_hi_u32 s12, s12, s16
	s_add_u32 s12, s12, s15
	s_addc_u32 s14, 0, s14
	s_mul_hi_u32 s17, s11, s16
	s_mul_i32 s16, s11, s16
	s_add_u32 s12, s12, s16
	s_mul_hi_u32 s15, s11, s13
	s_addc_u32 s12, s14, s17
	s_addc_u32 s14, s15, 0
	s_mul_i32 s13, s11, s13
	s_add_u32 s12, s12, s13
	s_addc_u32 s13, 0, s14
	v_add_co_u32_e32 v1, vcc, s12, v1
	s_cmp_lg_u64 vcc, 0
	s_addc_u32 s11, s11, s13
	v_readfirstlane_b32 s13, v1
	s_mul_i32 s12, s2, s11
	s_mul_hi_u32 s14, s2, s13
	s_add_i32 s12, s14, s12
	s_mul_i32 s10, s10, s13
	s_add_i32 s12, s12, s10
	s_mul_i32 s2, s2, s13
	s_mul_hi_u32 s14, s11, s2
	s_mul_i32 s15, s11, s2
	s_mul_i32 s17, s13, s12
	s_mul_hi_u32 s2, s13, s2
	s_mul_hi_u32 s16, s13, s12
	s_add_u32 s2, s2, s17
	s_addc_u32 s13, 0, s16
	s_add_u32 s2, s2, s15
	s_mul_hi_u32 s10, s11, s12
	s_addc_u32 s2, s13, s14
	s_addc_u32 s10, s10, 0
	s_mul_i32 s12, s11, s12
	s_add_u32 s2, s2, s12
	s_addc_u32 s10, 0, s10
	v_add_co_u32_e32 v1, vcc, s2, v1
	s_cmp_lg_u64 vcc, 0
	s_addc_u32 s12, s11, s10
	s_ashr_i32 s10, s3, 31
	s_add_u32 s2, s9, s10
	s_mov_b32 s11, s10
	s_addc_u32 s3, s3, s10
	s_xor_b64 s[2:3], s[2:3], s[10:11]
	v_readfirstlane_b32 s15, v1
	s_mul_i32 s14, s2, s12
	s_mul_hi_u32 s16, s2, s15
	s_mul_hi_u32 s13, s2, s12
	s_add_u32 s14, s16, s14
	s_addc_u32 s13, 0, s13
	s_mul_hi_u32 s17, s3, s15
	s_mul_i32 s15, s3, s15
	s_add_u32 s14, s14, s15
	s_mul_hi_u32 s16, s3, s12
	s_addc_u32 s13, s13, s17
	s_addc_u32 s14, s16, 0
	s_mul_i32 s12, s3, s12
	s_add_u32 s12, s13, s12
	s_addc_u32 s13, 0, s14
	s_add_u32 s14, s12, 1
	s_addc_u32 s15, s13, 0
	s_add_u32 s16, s12, 2
	s_mul_i32 s18, s58, s13
	s_mul_hi_u32 s19, s58, s12
	s_addc_u32 s17, s13, 0
	s_add_i32 s19, s19, s18
	s_mul_i32 s18, s58, s12
	v_mov_b32_e32 v1, s18
	v_sub_co_u32_e32 v1, vcc, s2, v1
	s_cmp_lg_u64 vcc, 0
	s_subb_u32 s2, s3, s19
	v_subrev_co_u32_e32 v4, vcc, s58, v1
	s_cmp_lg_u64 vcc, 0
	s_subb_u32 s3, s2, 0
	v_readfirstlane_b32 s18, v4
	s_cmp_ge_u32 s18, s58
	s_cselect_b32 s18, -1, 0
	s_cmp_eq_u32 s3, 0
	s_cselect_b32 s3, s18, -1
	s_cmp_lg_u32 s3, 0
	s_cselect_b32 s3, s17, s15
	v_readfirstlane_b32 s15, v1
	s_cselect_b32 s14, s16, s14
	s_cmp_ge_u32 s15, s58
	s_cselect_b32 s15, -1, 0
	s_cmp_eq_u32 s2, 0
	s_cselect_b32 s2, s15, -1
	s_cmp_lg_u32 s2, 0
	s_cselect_b32 s3, s3, s13
	s_cselect_b32 s2, s14, s12
	s_xor_b64 s[2:3], s[2:3], s[10:11]
	s_sub_u32 s2, s2, s10
	s_subb_u32 s3, s3, s10
	s_cbranch_execnz .LBB65_5
.LBB65_4:
	v_cvt_f32_u32_e32 v1, s58
	s_sub_i32 s0, 0, s58
	s_mov_b32 s3, 0
	v_rcp_iflag_f32_e32 v1, v1
	v_mul_f32_e32 v1, 0x4f7ffffe, v1
	v_cvt_u32_f32_e32 v1, v1
	v_readfirstlane_b32 s1, v1
	s_mul_i32 s0, s0, s1
	s_mul_hi_u32 s0, s1, s0
	s_add_i32 s1, s1, s0
	s_mul_hi_u32 s0, s9, s1
	s_mul_i32 s2, s0, s58
	s_sub_i32 s2, s9, s2
	s_add_i32 s1, s0, 1
	s_sub_i32 s9, s2, s58
	s_cmp_ge_u32 s2, s58
	s_cselect_b32 s0, s1, s0
	s_cselect_b32 s2, s9, s2
	s_add_i32 s1, s0, 1
	s_cmp_ge_u32 s2, s58
	s_cselect_b32 s2, s1, s0
.LBB65_5:
	v_mov_b32_e32 v1, 0
	v_mov_b32_e32 v4, s6
	v_mad_u64_u32 v[14:15], s[0:1], s8, v4, v[0:1]
	s_add_u32 s0, s2, 1
	s_addc_u32 s1, s3, 0
	s_mul_hi_u32 s2, s7, s8
	s_mul_i32 s1, s33, s1
	s_mul_hi_u32 s3, s33, s0
	s_add_i32 s1, s3, s1
	s_mul_i32 s2, s2, s0
	s_add_i32 s1, s1, s2
	s_mul_i32 s0, s33, s0
	s_lshl_b64 s[26:27], s[0:1], 1
	v_cmp_gt_i64_e32 vcc, s[26:27], v[14:15]
	s_and_saveexec_b64 s[0:1], vcc
	s_cbranch_execz .LBB65_50
; %bb.6:
	s_mov_b32 s0, 0x5384540f
	v_mov_b32_e32 v0, v13
	v_add_co_u32_e32 v22, vcc, s0, v12
	s_mov_b32 s0, 0x646e171e
	v_add_co_u32_e32 v23, vcc, s0, v0
	s_mov_b32 s0, 0x1715609d
	;; [unrolled: 2-line block ×6, first 2 shown]
	v_alignbit_b32 v29, v3, v2, 2
	s_mov_b32 s60, 0xd2511f53
	v_add_co_u32_e32 v28, vcc, s0, v12
	v_mad_u64_u32 v[4:5], s[0:1], v29, s60, 0
	v_xor_b32_e32 v1, v5, v13
	v_xor_b32_e32 v1, v1, v15
	s_mov_b32 s61, 0xcd9e8d57
	v_mad_u64_u32 v[6:7], s[0:1], v1, s61, 0
	v_xor_b32_e32 v1, v28, v7
	v_mad_u64_u32 v[8:9], s[0:1], v14, s61, 0
	v_and_b32_e32 v18, 3, v2
	v_xor_b32_e32 v1, v1, v8
	v_xor_b32_e32 v2, v12, v9
	v_lshrrev_b32_e32 v30, 2, v3
	v_mad_u64_u32 v[10:11], s[0:1], v1, s60, 0
	v_xor_b32_e32 v2, v2, v30
	v_xor_b32_e32 v1, v27, v11
	v_mad_u64_u32 v[2:3], s[0:1], v2, s60, 0
	v_xor_b32_e32 v1, v1, v2
	v_mad_u64_u32 v[8:9], s[0:1], v1, s61, 0
	s_mov_b32 s0, 0xbb67ae85
	v_add_co_u32_e32 v31, vcc, s0, v0
	v_xor_b32_e32 v2, v31, v3
	v_xor_b32_e32 v2, v2, v4
	v_xor_b32_e32 v1, v26, v9
	v_mad_u64_u32 v[2:3], s[0:1], v2, s61, 0
	v_xor_b32_e32 v1, v1, v2
	v_mad_u64_u32 v[4:5], s[0:1], v1, s60, 0
	s_mov_b32 s0, 0x3c6ef372
	v_add_co_u32_e32 v32, vcc, s0, v12
	v_xor_b32_e32 v2, v32, v3
	;; [unrolled: 8-line block ×6, first 2 shown]
	v_add_co_u32_e32 v21, vcc, 0xdb3d7428, v0
	v_xor_b32_e32 v2, v2, v6
	v_xor_b32_e32 v1, v21, v5
	v_mad_u64_u32 v[2:3], s[0:1], v2, s60, 0
	v_xor_b32_e32 v1, v1, v2
	v_mad_u64_u32 v[6:7], s[0:1], v1, s61, 0
	s_mov_b32 s0, 0x1fd5c5a3
	v_add_co_u32_e32 v37, vcc, s0, v0
	v_xor_b32_e32 v0, v37, v3
	v_xor_b32_e32 v0, v0, v10
	v_mad_u64_u32 v[0:1], s[0:1], v0, s61, 0
	s_mov_b32 s0, 0xf1bbcdc8
	s_load_dwordx8 s[8:15], s[4:5], 0x30
	v_add_co_u32_e32 v38, vcc, s0, v12
	v_xor_b32_e32 v1, v38, v1
	v_xor_b32_e32 v1, v1, v8
	s_add_u32 s34, s4, 48
	v_mad_u64_u32 v[8:9], s[0:1], v1, s60, 0
	s_addc_u32 s35, s5, 0
	s_waitcnt lgkmcnt(0)
	s_add_i32 s0, s8, -1
	s_cmp_gt_u32 s0, 1
	s_cselect_b64 s[36:37], -1, 0
	s_cmp_lg_u32 s8, 0
	s_cselect_b64 s[38:39], -1, 0
	s_add_u32 s40, s4, 0xf4
	s_addc_u32 s41, s5, 0
	s_min_u32 s1, s0, 15
	s_cmp_gt_u32 s8, 1
	s_cselect_b64 s[42:43], -1, 0
	s_add_i32 s1, s1, 1
	s_mov_b32 s8, s13
	s_load_dwordx2 s[44:45], s[4:5], 0xf4
	s_load_dwordx2 s[46:47], s[4:5], 0x138
	s_and_b32 s13, s1, 3
	s_cmp_lg_u32 s0, 2
	s_cselect_b64 s[48:49], -1, 0
	s_and_b32 s15, s1, 28
	v_add_u32_e32 v19, 0x8ff34781, v12
	v_add_u32_e32 v20, 0x96a522ad, v13
	v_xor_b32_e32 v0, v7, v0
	v_xor_b32_e32 v1, v9, v4
	s_cmp_lg_u32 s13, 0
	s_mov_b32 s59, 0
	v_xor_b32_e32 v0, v19, v0
	v_xor_b32_e32 v2, v20, v1
	v_mov_b32_e32 v1, v6
	v_mov_b32_e32 v3, v8
	s_mov_b64 s[50:51], 0
	s_cselect_b64 s[52:53], -1, 0
	v_mov_b32_e32 v39, v14
	v_mov_b32_e32 v40, v15
	s_branch .LBB65_9
.LBB65_7:                               ;   in Loop: Header=BB65_9 Depth=1
	v_mov_b32_e32 v1, v2
	v_ffbh_i32_e32 v7, v2
	v_xor_b32_e32 v2, v3, v2
	v_ashrrev_i32_e32 v2, 31, v2
	v_add_u32_e32 v7, -1, v7
	v_add_u32_e32 v2, 32, v2
	v_mov_b32_e32 v0, v3
	v_min_u32_e32 v2, v7, v2
	v_lshlrev_b64 v[0:1], v2, v[0:1]
	v_min_u32_e32 v0, 1, v0
	v_or_b32_e32 v0, v1, v0
	v_cvt_f32_i32_e32 v0, v0
	v_sub_u32_e32 v1, 32, v2
	v_ldexp_f32 v0, v0, v1
	s_waitcnt lgkmcnt(0)
	global_store_dword v8, v0, s[46:47]
.LBB65_8:                               ;   in Loop: Header=BB65_9 Depth=1
	s_or_b64 exec, exec, s[28:29]
	v_add_co_u32_e32 v14, vcc, s58, v14
	v_addc_co_u32_e32 v15, vcc, 0, v15, vcc
	v_mov_b32_e32 v7, v16
	v_cmp_le_i64_e32 vcc, s[26:27], v[14:15]
	v_pk_mov_b32 v[0:1], v[4:5], v[4:5] op_sel:[0,1]
	s_or_b64 s[50:51], vcc, s[50:51]
	v_pk_mov_b32 v[2:3], v[6:7], v[6:7] op_sel:[0,1]
	s_waitcnt lgkmcnt(0)
	s_barrier
	s_andn2_b64 exec, exec, s[50:51]
	s_cbranch_execz .LBB65_50
.LBB65_9:                               ; =>This Loop Header: Depth=1
                                        ;     Child Loop BB65_24 Depth 2
                                        ;     Child Loop BB65_30 Depth 2
	;; [unrolled: 1-line block ×4, first 2 shown]
	v_add_co_u32_e32 v29, vcc, 1, v29
	v_cndmask_b32_e64 v4, 0, 1, vcc
	v_addc_co_u32_e32 v30, vcc, 0, v30, vcc
	v_cmp_eq_u32_e32 vcc, 0, v30
	v_cndmask_b32_e32 v4, 0, v4, vcc
	v_add_u32_e32 v39, v4, v39
	v_cmp_eq_u32_e32 vcc, 0, v39
	v_cndmask_b32_e32 v4, 0, v4, vcc
	v_add_u32_e32 v40, v4, v40
	v_mad_u64_u32 v[4:5], s[0:1], v29, s60, 0
	v_mad_u64_u32 v[6:7], s[0:1], v39, s61, 0
	v_xor_b32_e32 v5, v5, v13
	v_xor_b32_e32 v7, v7, v12
	v_xor_b32_e32 v5, v40, v5
	v_xor_b32_e32 v7, v30, v7
	v_mad_u64_u32 v[10:11], s[0:1], v5, s61, 0
	v_mad_u64_u32 v[8:9], s[0:1], v7, s60, 0
	v_xor_b32_e32 v5, v28, v11
	v_xor_b32_e32 v5, v5, v6
	v_xor_b32_e32 v6, v31, v9
	v_xor_b32_e32 v6, v6, v4
	;; [unrolled: 6-line block ×10, first 2 shown]
	v_mov_b32_e32 v5, v10
	v_mov_b32_e32 v6, v11
	v_cmp_lt_i32_e32 vcc, 1, v18
	s_and_saveexec_b64 s[0:1], vcc
	s_xor_b64 s[0:1], exec, s[0:1]
	s_cbranch_execz .LBB65_15
; %bb.10:                               ;   in Loop: Header=BB65_9 Depth=1
	v_cmp_lt_i32_e32 vcc, 2, v18
	s_and_saveexec_b64 s[2:3], vcc
	s_xor_b64 s[2:3], exec, s[2:3]
; %bb.11:                               ;   in Loop: Header=BB65_9 Depth=1
	v_mov_b32_e32 v8, v3
	v_mov_b32_e32 v9, v4
	v_pk_mov_b32 v[0:1], v[8:9], v[8:9] op_sel:[0,1]
	v_pk_mov_b32 v[2:3], v[10:11], v[10:11] op_sel:[0,1]
                                        ; implicit-def: $vgpr10_vgpr11
; %bb.12:                               ;   in Loop: Header=BB65_9 Depth=1
	s_andn2_saveexec_b64 s[2:3], s[2:3]
; %bb.13:                               ;   in Loop: Header=BB65_9 Depth=1
	v_mov_b32_e32 v0, v2
	v_mov_b32_e32 v1, v3
	;; [unrolled: 1-line block ×4, first 2 shown]
; %bb.14:                               ;   in Loop: Header=BB65_9 Depth=1
	s_or_b64 exec, exec, s[2:3]
.LBB65_15:                              ;   in Loop: Header=BB65_9 Depth=1
	s_andn2_saveexec_b64 s[0:1], s[0:1]
	s_cbranch_execz .LBB65_19
; %bb.16:                               ;   in Loop: Header=BB65_9 Depth=1
	v_cmp_eq_u32_e32 vcc, 1, v18
	s_and_saveexec_b64 s[2:3], vcc
; %bb.17:                               ;   in Loop: Header=BB65_9 Depth=1
	v_mov_b32_e32 v0, v1
	v_mov_b32_e32 v1, v2
	;; [unrolled: 1-line block ×4, first 2 shown]
; %bb.18:                               ;   in Loop: Header=BB65_9 Depth=1
	s_or_b64 exec, exec, s[2:3]
.LBB65_19:                              ;   in Loop: Header=BB65_9 Depth=1
	s_or_b64 exec, exec, s[0:1]
	v_cndmask_b32_e64 v7, 0, 1, s[36:37]
	v_cmp_gt_i64_e32 vcc, s[24:25], v[14:15]
	v_cmp_ne_u32_e64 s[0:1], 1, v7
	s_and_saveexec_b64 s[2:3], vcc
	s_cbranch_execz .LBB65_35
; %bb.20:                               ;   in Loop: Header=BB65_9 Depth=1
	s_and_b64 vcc, exec, s[0:1]
	s_cbranch_vccnz .LBB65_26
; %bb.21:                               ;   in Loop: Header=BB65_9 Depth=1
	s_andn2_b64 vcc, exec, s[38:39]
	s_cbranch_vccnz .LBB65_27
; %bb.22:                               ;   in Loop: Header=BB65_9 Depth=1
	s_mov_b32 s6, 0
	s_andn2_b64 vcc, exec, s[48:49]
	v_mov_b32_e32 v8, 0
	s_cbranch_vccnz .LBB65_28
; %bb.23:                               ;   in Loop: Header=BB65_9 Depth=1
	s_mov_b32 s62, 0
	v_mov_b32_e32 v8, 0
	s_mov_b64 s[54:55], s[34:35]
	s_mov_b64 s[56:57], s[40:41]
	v_mov_b32_e32 v7, v14
.LBB65_24:                              ;   Parent Loop BB65_9 Depth=1
                                        ; =>  This Inner Loop Header: Depth=2
	s_load_dwordx8 s[16:23], s[54:55], 0x4
	s_load_dwordx4 s[4:7], s[54:55], 0x24
	s_load_dwordx4 s[28:31], s[56:57], 0x0
	s_add_u32 s54, s54, 48
	s_addc_u32 s55, s55, 0
	s_waitcnt lgkmcnt(0)
	v_mul_hi_u32 v9, s17, v7
	v_add_u32_e32 v9, v7, v9
	v_lshrrev_b32_e32 v9, s18, v9
	v_mul_lo_u32 v10, v9, s16
	v_mul_hi_u32 v11, s20, v9
	v_sub_u32_e32 v7, v7, v10
	v_add_u32_e32 v10, v9, v11
	v_lshrrev_b32_e32 v10, s21, v10
	v_mul_lo_u32 v11, v10, s19
	v_mul_hi_u32 v17, s23, v10
	v_sub_u32_e32 v9, v9, v11
	v_add_u32_e32 v11, v10, v17
	v_mul_lo_u32 v7, v7, s28
	v_mul_lo_u32 v9, v9, s29
	v_lshrrev_b32_e32 v11, s4, v11
	v_add3_u32 v8, v7, v8, v9
	v_mul_lo_u32 v7, v11, s22
	v_mul_hi_u32 v9, s6, v11
	v_sub_u32_e32 v7, v10, v7
	v_add_u32_e32 v9, v11, v9
	v_mul_lo_u32 v10, v7, s30
	v_lshrrev_b32_e32 v7, s7, v9
	s_add_i32 s62, s62, 4
	v_mul_lo_u32 v9, v7, s5
	s_add_u32 s56, s56, 16
	v_sub_u32_e32 v9, v11, v9
	s_addc_u32 s57, s57, 0
	v_mul_lo_u32 v9, v9, s31
	s_cmp_lg_u32 s15, s62
	v_add3_u32 v8, v10, v8, v9
	s_cbranch_scc1 .LBB65_24
; %bb.25:                               ;   in Loop: Header=BB65_9 Depth=1
	s_mov_b32 s6, s15
	s_andn2_b64 vcc, exec, s[52:53]
	s_cbranch_vccz .LBB65_29
	s_branch .LBB65_31
.LBB65_26:                              ;   in Loop: Header=BB65_9 Depth=1
                                        ; implicit-def: $vgpr8
	s_branch .LBB65_32
.LBB65_27:                              ;   in Loop: Header=BB65_9 Depth=1
	v_mov_b32_e32 v8, 0
	s_branch .LBB65_31
.LBB65_28:                              ;   in Loop: Header=BB65_9 Depth=1
	v_mov_b32_e32 v7, v14
	s_andn2_b64 vcc, exec, s[52:53]
	s_cbranch_vccnz .LBB65_31
.LBB65_29:                              ;   in Loop: Header=BB65_9 Depth=1
	s_lshl_b32 s4, s6, 2
	s_add_u32 s4, s40, s4
	s_addc_u32 s5, s41, 0
	s_mul_i32 s6, s6, 12
	s_add_u32 s6, s34, s6
	s_addc_u32 s7, s35, 0
	s_mov_b32 s16, s13
.LBB65_30:                              ;   Parent Loop BB65_9 Depth=1
                                        ; =>  This Inner Loop Header: Depth=2
	s_load_dwordx2 s[18:19], s[6:7], 0x4
	s_load_dword s17, s[6:7], 0xc
	s_load_dword s20, s[4:5], 0x0
	s_add_u32 s6, s6, 12
	s_addc_u32 s7, s7, 0
	s_waitcnt lgkmcnt(0)
	v_mul_hi_u32 v9, s19, v7
	v_add_u32_e32 v9, v7, v9
	v_lshrrev_b32_e32 v9, s17, v9
	s_add_u32 s4, s4, 4
	v_mul_lo_u32 v10, v9, s18
	s_addc_u32 s5, s5, 0
	s_add_i32 s16, s16, -1
	v_sub_u32_e32 v10, v7, v10
	s_cmp_lg_u32 s16, 0
	v_mov_b32_e32 v7, v9
	v_mad_u64_u32 v[8:9], s[18:19], v10, s20, v[8:9]
	s_cbranch_scc1 .LBB65_30
.LBB65_31:                              ;   in Loop: Header=BB65_9 Depth=1
	s_cbranch_execnz .LBB65_34
.LBB65_32:                              ;   in Loop: Header=BB65_9 Depth=1
	v_mul_hi_u32 v7, v14, s10
	v_add_u32_e32 v7, v7, v14
	v_lshrrev_b32_e32 v7, s11, v7
	v_mul_lo_u32 v8, v7, s9
	v_sub_u32_e32 v8, v14, v8
	s_andn2_b64 vcc, exec, s[42:43]
	s_waitcnt lgkmcnt(0)
	v_mul_lo_u32 v8, v8, s44
	s_cbranch_vccnz .LBB65_34
; %bb.33:                               ;   in Loop: Header=BB65_9 Depth=1
	v_mul_hi_u32 v9, s8, v7
	v_add_u32_e32 v9, v7, v9
	v_lshrrev_b32_e32 v9, s14, v9
	v_mul_lo_u32 v9, v9, s12
	v_sub_u32_e32 v7, v7, v9
	v_mad_u64_u32 v[8:9], s[4:5], v7, s45, v[8:9]
.LBB65_34:                              ;   in Loop: Header=BB65_9 Depth=1
	v_mov_b32_e32 v11, v0
	v_ffbh_i32_e32 v7, v0
	v_xor_b32_e32 v0, v1, v0
	v_ashrrev_i32_e32 v0, 31, v0
	v_add_u32_e32 v7, -1, v7
	v_add_u32_e32 v0, 32, v0
	v_mov_b32_e32 v10, v1
	v_min_u32_e32 v7, v7, v0
	v_lshlrev_b64 v[0:1], v7, v[10:11]
	v_min_u32_e32 v0, 1, v0
	v_or_b32_e32 v0, v1, v0
	v_cvt_f32_i32_e32 v0, v0
	v_sub_u32_e32 v1, 32, v7
	v_ldexp_f32 v0, v0, v1
	s_waitcnt lgkmcnt(0)
	global_store_dword v8, v0, s[46:47]
.LBB65_35:                              ;   in Loop: Header=BB65_9 Depth=1
	s_or_b64 exec, exec, s[2:3]
	v_mov_b32_e32 v1, s59
	v_add_co_u32_e32 v0, vcc, s33, v14
	v_addc_co_u32_e32 v1, vcc, v15, v1, vcc
	v_cmp_gt_i64_e32 vcc, s[24:25], v[0:1]
	s_and_saveexec_b64 s[28:29], vcc
	s_cbranch_execz .LBB65_8
; %bb.36:                               ;   in Loop: Header=BB65_9 Depth=1
	s_and_b64 vcc, exec, s[0:1]
	s_cbranch_vccnz .LBB65_42
; %bb.37:                               ;   in Loop: Header=BB65_9 Depth=1
	s_andn2_b64 vcc, exec, s[38:39]
	s_cbranch_vccnz .LBB65_43
; %bb.38:                               ;   in Loop: Header=BB65_9 Depth=1
	s_mov_b32 s2, 0
	s_andn2_b64 vcc, exec, s[48:49]
	v_mov_b32_e32 v8, 0
	s_cbranch_vccnz .LBB65_44
; %bb.39:                               ;   in Loop: Header=BB65_9 Depth=1
	s_mov_b32 s56, 0
	v_mov_b32_e32 v8, 0
	s_mov_b64 s[30:31], s[34:35]
	s_mov_b64 s[54:55], s[40:41]
	v_mov_b32_e32 v1, v0
.LBB65_40:                              ;   Parent Loop BB65_9 Depth=1
                                        ; =>  This Inner Loop Header: Depth=2
	s_load_dwordx8 s[0:7], s[30:31], 0x4
	s_load_dwordx4 s[16:19], s[30:31], 0x24
	s_load_dwordx4 s[20:23], s[54:55], 0x0
	s_add_u32 s30, s30, 48
	s_addc_u32 s31, s31, 0
	s_waitcnt lgkmcnt(0)
	v_mul_hi_u32 v7, s1, v1
	v_add_u32_e32 v7, v1, v7
	v_lshrrev_b32_e32 v7, s2, v7
	v_mul_lo_u32 v9, v7, s0
	v_mul_hi_u32 v10, s4, v7
	v_sub_u32_e32 v1, v1, v9
	v_add_u32_e32 v9, v7, v10
	v_lshrrev_b32_e32 v9, s5, v9
	v_mul_lo_u32 v10, v9, s3
	v_mul_hi_u32 v11, s7, v9
	v_sub_u32_e32 v7, v7, v10
	v_add_u32_e32 v10, v9, v11
	v_mul_lo_u32 v1, v1, s20
	v_mul_lo_u32 v7, v7, s21
	v_lshrrev_b32_e32 v10, s16, v10
	v_add3_u32 v7, v1, v8, v7
	v_mul_lo_u32 v1, v10, s6
	v_mul_hi_u32 v8, s18, v10
	v_sub_u32_e32 v1, v9, v1
	v_add_u32_e32 v8, v10, v8
	v_mul_lo_u32 v9, v1, s22
	v_lshrrev_b32_e32 v1, s19, v8
	s_add_i32 s56, s56, 4
	v_mul_lo_u32 v8, v1, s17
	s_add_u32 s54, s54, 16
	v_sub_u32_e32 v8, v10, v8
	s_addc_u32 s55, s55, 0
	v_mul_lo_u32 v8, v8, s23
	s_cmp_eq_u32 s15, s56
	v_add3_u32 v8, v9, v7, v8
	s_cbranch_scc0 .LBB65_40
; %bb.41:                               ;   in Loop: Header=BB65_9 Depth=1
	s_mov_b32 s2, s15
	s_andn2_b64 vcc, exec, s[52:53]
	s_cbranch_vccz .LBB65_45
	s_branch .LBB65_47
.LBB65_42:                              ;   in Loop: Header=BB65_9 Depth=1
                                        ; implicit-def: $vgpr8
	s_branch .LBB65_48
.LBB65_43:                              ;   in Loop: Header=BB65_9 Depth=1
	v_mov_b32_e32 v8, 0
	s_branch .LBB65_47
.LBB65_44:                              ;   in Loop: Header=BB65_9 Depth=1
	v_mov_b32_e32 v1, v0
	s_andn2_b64 vcc, exec, s[52:53]
	s_cbranch_vccnz .LBB65_47
.LBB65_45:                              ;   in Loop: Header=BB65_9 Depth=1
	s_lshl_b32 s0, s2, 2
	s_add_u32 s0, s40, s0
	s_addc_u32 s1, s41, 0
	s_mul_i32 s2, s2, 12
	s_add_u32 s2, s34, s2
	s_addc_u32 s3, s35, 0
	s_mov_b32 s4, s13
.LBB65_46:                              ;   Parent Loop BB65_9 Depth=1
                                        ; =>  This Inner Loop Header: Depth=2
	s_load_dwordx2 s[6:7], s[2:3], 0x4
	s_load_dword s5, s[2:3], 0xc
	s_load_dword s16, s[0:1], 0x0
	s_add_u32 s2, s2, 12
	s_addc_u32 s3, s3, 0
	s_waitcnt lgkmcnt(0)
	v_mul_hi_u32 v7, s7, v1
	v_add_u32_e32 v7, v1, v7
	v_lshrrev_b32_e32 v7, s5, v7
	s_add_u32 s0, s0, 4
	v_mul_lo_u32 v9, v7, s6
	s_addc_u32 s1, s1, 0
	s_add_i32 s4, s4, -1
	v_sub_u32_e32 v9, v1, v9
	s_cmp_lg_u32 s4, 0
	v_mov_b32_e32 v1, v7
	v_mad_u64_u32 v[8:9], s[6:7], v9, s16, v[8:9]
	s_cbranch_scc1 .LBB65_46
.LBB65_47:                              ;   in Loop: Header=BB65_9 Depth=1
	s_cbranch_execnz .LBB65_7
.LBB65_48:                              ;   in Loop: Header=BB65_9 Depth=1
	v_mul_hi_u32 v1, v0, s10
	v_add_u32_e32 v1, v1, v0
	v_lshrrev_b32_e32 v1, s11, v1
	v_mul_lo_u32 v7, v1, s9
	v_sub_u32_e32 v0, v0, v7
	s_andn2_b64 vcc, exec, s[42:43]
	s_waitcnt lgkmcnt(0)
	v_mul_lo_u32 v8, v0, s44
	s_cbranch_vccnz .LBB65_7
; %bb.49:                               ;   in Loop: Header=BB65_9 Depth=1
	v_mul_hi_u32 v0, s8, v1
	v_add_u32_e32 v0, v1, v0
	v_lshrrev_b32_e32 v0, s14, v0
	v_mul_lo_u32 v0, v0, s12
	v_sub_u32_e32 v0, v1, v0
	v_mad_u64_u32 v[8:9], s[0:1], v0, s45, v[8:9]
	s_branch .LBB65_7
.LBB65_50:
	s_endpgm
.LBB65_51:
                                        ; implicit-def: $sgpr2_sgpr3
	s_andn2_b64 vcc, exec, s[0:1]
	s_cbranch_vccz .LBB65_4
	s_branch .LBB65_5
	.section	.rodata,"a",@progbits
	.p2align	6, 0x0
	.amdhsa_kernel _ZN2at6native12_GLOBAL__N_143distribution_elementwise_grid_stride_kernelImLi2EZZZNS0_9templates4cuda32random_full_64_bits_range_kernelIPNS_17CUDAGeneratorImplEEEvRNS_18TensorIteratorBaseET_ENKUlvE_clEvENKUlvE5_clEvEUlP25hiprandStatePhilox4_32_10E_ZNS1_27distribution_nullary_kernelIfm15HIP_vector_typeIyLj2EES7_SF_ZZZNS5_IS7_EEvS9_SA_ENKSB_clEvENKSC_clEvEUlmE_EEvS9_T2_RKT3_T4_EUlimE0_EEvlNS_15PhiloxCudaStateET1_SK_
		.amdhsa_group_segment_fixed_size 0
		.amdhsa_private_segment_fixed_size 0
		.amdhsa_kernarg_size 584
		.amdhsa_user_sgpr_count 6
		.amdhsa_user_sgpr_private_segment_buffer 1
		.amdhsa_user_sgpr_dispatch_ptr 0
		.amdhsa_user_sgpr_queue_ptr 0
		.amdhsa_user_sgpr_kernarg_segment_ptr 1
		.amdhsa_user_sgpr_dispatch_id 0
		.amdhsa_user_sgpr_flat_scratch_init 0
		.amdhsa_user_sgpr_kernarg_preload_length 0
		.amdhsa_user_sgpr_kernarg_preload_offset 0
		.amdhsa_user_sgpr_private_segment_size 0
		.amdhsa_uses_dynamic_stack 0
		.amdhsa_system_sgpr_private_segment_wavefront_offset 0
		.amdhsa_system_sgpr_workgroup_id_x 1
		.amdhsa_system_sgpr_workgroup_id_y 0
		.amdhsa_system_sgpr_workgroup_id_z 0
		.amdhsa_system_sgpr_workgroup_info 0
		.amdhsa_system_vgpr_workitem_id 0
		.amdhsa_next_free_vgpr 41
		.amdhsa_next_free_sgpr 63
		.amdhsa_accum_offset 44
		.amdhsa_reserve_vcc 1
		.amdhsa_reserve_flat_scratch 0
		.amdhsa_float_round_mode_32 0
		.amdhsa_float_round_mode_16_64 0
		.amdhsa_float_denorm_mode_32 3
		.amdhsa_float_denorm_mode_16_64 3
		.amdhsa_dx10_clamp 1
		.amdhsa_ieee_mode 1
		.amdhsa_fp16_overflow 0
		.amdhsa_tg_split 0
		.amdhsa_exception_fp_ieee_invalid_op 0
		.amdhsa_exception_fp_denorm_src 0
		.amdhsa_exception_fp_ieee_div_zero 0
		.amdhsa_exception_fp_ieee_overflow 0
		.amdhsa_exception_fp_ieee_underflow 0
		.amdhsa_exception_fp_ieee_inexact 0
		.amdhsa_exception_int_div_zero 0
	.end_amdhsa_kernel
	.section	.text._ZN2at6native12_GLOBAL__N_143distribution_elementwise_grid_stride_kernelImLi2EZZZNS0_9templates4cuda32random_full_64_bits_range_kernelIPNS_17CUDAGeneratorImplEEEvRNS_18TensorIteratorBaseET_ENKUlvE_clEvENKUlvE5_clEvEUlP25hiprandStatePhilox4_32_10E_ZNS1_27distribution_nullary_kernelIfm15HIP_vector_typeIyLj2EES7_SF_ZZZNS5_IS7_EEvS9_SA_ENKSB_clEvENKSC_clEvEUlmE_EEvS9_T2_RKT3_T4_EUlimE0_EEvlNS_15PhiloxCudaStateET1_SK_,"axG",@progbits,_ZN2at6native12_GLOBAL__N_143distribution_elementwise_grid_stride_kernelImLi2EZZZNS0_9templates4cuda32random_full_64_bits_range_kernelIPNS_17CUDAGeneratorImplEEEvRNS_18TensorIteratorBaseET_ENKUlvE_clEvENKUlvE5_clEvEUlP25hiprandStatePhilox4_32_10E_ZNS1_27distribution_nullary_kernelIfm15HIP_vector_typeIyLj2EES7_SF_ZZZNS5_IS7_EEvS9_SA_ENKSB_clEvENKSC_clEvEUlmE_EEvS9_T2_RKT3_T4_EUlimE0_EEvlNS_15PhiloxCudaStateET1_SK_,comdat
.Lfunc_end65:
	.size	_ZN2at6native12_GLOBAL__N_143distribution_elementwise_grid_stride_kernelImLi2EZZZNS0_9templates4cuda32random_full_64_bits_range_kernelIPNS_17CUDAGeneratorImplEEEvRNS_18TensorIteratorBaseET_ENKUlvE_clEvENKUlvE5_clEvEUlP25hiprandStatePhilox4_32_10E_ZNS1_27distribution_nullary_kernelIfm15HIP_vector_typeIyLj2EES7_SF_ZZZNS5_IS7_EEvS9_SA_ENKSB_clEvENKSC_clEvEUlmE_EEvS9_T2_RKT3_T4_EUlimE0_EEvlNS_15PhiloxCudaStateET1_SK_, .Lfunc_end65-_ZN2at6native12_GLOBAL__N_143distribution_elementwise_grid_stride_kernelImLi2EZZZNS0_9templates4cuda32random_full_64_bits_range_kernelIPNS_17CUDAGeneratorImplEEEvRNS_18TensorIteratorBaseET_ENKUlvE_clEvENKUlvE5_clEvEUlP25hiprandStatePhilox4_32_10E_ZNS1_27distribution_nullary_kernelIfm15HIP_vector_typeIyLj2EES7_SF_ZZZNS5_IS7_EEvS9_SA_ENKSB_clEvENKSC_clEvEUlmE_EEvS9_T2_RKT3_T4_EUlimE0_EEvlNS_15PhiloxCudaStateET1_SK_
                                        ; -- End function
	.section	.AMDGPU.csdata,"",@progbits
; Kernel info:
; codeLenInByte = 3324
; NumSgprs: 67
; NumVgprs: 41
; NumAgprs: 0
; TotalNumVgprs: 41
; ScratchSize: 0
; MemoryBound: 0
; FloatMode: 240
; IeeeMode: 1
; LDSByteSize: 0 bytes/workgroup (compile time only)
; SGPRBlocks: 8
; VGPRBlocks: 5
; NumSGPRsForWavesPerEU: 67
; NumVGPRsForWavesPerEU: 41
; AccumOffset: 44
; Occupancy: 8
; WaveLimiterHint : 1
; COMPUTE_PGM_RSRC2:SCRATCH_EN: 0
; COMPUTE_PGM_RSRC2:USER_SGPR: 6
; COMPUTE_PGM_RSRC2:TRAP_HANDLER: 0
; COMPUTE_PGM_RSRC2:TGID_X_EN: 1
; COMPUTE_PGM_RSRC2:TGID_Y_EN: 0
; COMPUTE_PGM_RSRC2:TGID_Z_EN: 0
; COMPUTE_PGM_RSRC2:TIDIG_COMP_CNT: 0
; COMPUTE_PGM_RSRC3_GFX90A:ACCUM_OFFSET: 10
; COMPUTE_PGM_RSRC3_GFX90A:TG_SPLIT: 0
	.section	.text._ZN2at6native12_GLOBAL__N_143distribution_elementwise_grid_stride_kernelImLi2EZZZNS0_9templates4cuda32random_full_64_bits_range_kernelIPNS_17CUDAGeneratorImplEEEvRNS_18TensorIteratorBaseET_ENKUlvE_clEvENKUlvE6_clEvEUlP25hiprandStatePhilox4_32_10E_ZNS1_27distribution_nullary_kernelIN3c108BFloat16Em15HIP_vector_typeIyLj2EES7_SF_ZZZNS5_IS7_EEvS9_SA_ENKSB_clEvENKSC_clEvEUlmE_EEvS9_T2_RKT3_T4_EUlimE_EEvlNS_15PhiloxCudaStateET1_SM_,"axG",@progbits,_ZN2at6native12_GLOBAL__N_143distribution_elementwise_grid_stride_kernelImLi2EZZZNS0_9templates4cuda32random_full_64_bits_range_kernelIPNS_17CUDAGeneratorImplEEEvRNS_18TensorIteratorBaseET_ENKUlvE_clEvENKUlvE6_clEvEUlP25hiprandStatePhilox4_32_10E_ZNS1_27distribution_nullary_kernelIN3c108BFloat16Em15HIP_vector_typeIyLj2EES7_SF_ZZZNS5_IS7_EEvS9_SA_ENKSB_clEvENKSC_clEvEUlmE_EEvS9_T2_RKT3_T4_EUlimE_EEvlNS_15PhiloxCudaStateET1_SM_,comdat
	.globl	_ZN2at6native12_GLOBAL__N_143distribution_elementwise_grid_stride_kernelImLi2EZZZNS0_9templates4cuda32random_full_64_bits_range_kernelIPNS_17CUDAGeneratorImplEEEvRNS_18TensorIteratorBaseET_ENKUlvE_clEvENKUlvE6_clEvEUlP25hiprandStatePhilox4_32_10E_ZNS1_27distribution_nullary_kernelIN3c108BFloat16Em15HIP_vector_typeIyLj2EES7_SF_ZZZNS5_IS7_EEvS9_SA_ENKSB_clEvENKSC_clEvEUlmE_EEvS9_T2_RKT3_T4_EUlimE_EEvlNS_15PhiloxCudaStateET1_SM_ ; -- Begin function _ZN2at6native12_GLOBAL__N_143distribution_elementwise_grid_stride_kernelImLi2EZZZNS0_9templates4cuda32random_full_64_bits_range_kernelIPNS_17CUDAGeneratorImplEEEvRNS_18TensorIteratorBaseET_ENKUlvE_clEvENKUlvE6_clEvEUlP25hiprandStatePhilox4_32_10E_ZNS1_27distribution_nullary_kernelIN3c108BFloat16Em15HIP_vector_typeIyLj2EES7_SF_ZZZNS5_IS7_EEvS9_SA_ENKSB_clEvENKSC_clEvEUlmE_EEvS9_T2_RKT3_T4_EUlimE_EEvlNS_15PhiloxCudaStateET1_SM_
	.p2align	8
	.type	_ZN2at6native12_GLOBAL__N_143distribution_elementwise_grid_stride_kernelImLi2EZZZNS0_9templates4cuda32random_full_64_bits_range_kernelIPNS_17CUDAGeneratorImplEEEvRNS_18TensorIteratorBaseET_ENKUlvE_clEvENKUlvE6_clEvEUlP25hiprandStatePhilox4_32_10E_ZNS1_27distribution_nullary_kernelIN3c108BFloat16Em15HIP_vector_typeIyLj2EES7_SF_ZZZNS5_IS7_EEvS9_SA_ENKSB_clEvENKSC_clEvEUlmE_EEvS9_T2_RKT3_T4_EUlimE_EEvlNS_15PhiloxCudaStateET1_SM_,@function
_ZN2at6native12_GLOBAL__N_143distribution_elementwise_grid_stride_kernelImLi2EZZZNS0_9templates4cuda32random_full_64_bits_range_kernelIPNS_17CUDAGeneratorImplEEEvRNS_18TensorIteratorBaseET_ENKUlvE_clEvENKUlvE6_clEvEUlP25hiprandStatePhilox4_32_10E_ZNS1_27distribution_nullary_kernelIN3c108BFloat16Em15HIP_vector_typeIyLj2EES7_SF_ZZZNS5_IS7_EEvS9_SA_ENKSB_clEvENKSC_clEvEUlmE_EEvS9_T2_RKT3_T4_EUlimE_EEvlNS_15PhiloxCudaStateET1_SM_: ; @_ZN2at6native12_GLOBAL__N_143distribution_elementwise_grid_stride_kernelImLi2EZZZNS0_9templates4cuda32random_full_64_bits_range_kernelIPNS_17CUDAGeneratorImplEEEvRNS_18TensorIteratorBaseET_ENKUlvE_clEvENKUlvE6_clEvEUlP25hiprandStatePhilox4_32_10E_ZNS1_27distribution_nullary_kernelIN3c108BFloat16Em15HIP_vector_typeIyLj2EES7_SF_ZZZNS5_IS7_EEvS9_SA_ENKSB_clEvENKSC_clEvEUlmE_EEvS9_T2_RKT3_T4_EUlimE_EEvlNS_15PhiloxCudaStateET1_SM_
; %bb.0:
	s_load_dword s7, s[4:5], 0x20
	s_load_dwordx2 s[10:11], s[4:5], 0x10
	s_load_dwordx4 s[0:3], s[4:5], 0x0
	s_mov_b32 s8, 0
	s_waitcnt lgkmcnt(0)
	s_bitcmp0_b32 s7, 0
	v_pk_mov_b32 v[2:3], s[10:11], s[10:11] op_sel:[0,1]
	v_pk_mov_b32 v[14:15], s[2:3], s[2:3] op_sel:[0,1]
	s_cbranch_scc1 .LBB66_2
; %bb.1:
	v_pk_mov_b32 v[2:3], s[10:11], s[10:11] op_sel:[0,1]
	flat_load_dwordx2 v[2:3], v[2:3]
	v_pk_mov_b32 v[4:5], s[2:3], s[2:3] op_sel:[0,1]
	flat_load_dwordx2 v[14:15], v[4:5]
	s_load_dwordx2 s[2:3], s[4:5], 0x18
	s_waitcnt lgkmcnt(0)
	v_mov_b32_e32 v1, s3
	s_waitcnt vmcnt(0)
	v_add_co_u32_e32 v2, vcc, s2, v2
	v_addc_co_u32_e32 v3, vcc, v3, v1, vcc
.LBB66_2:
	s_load_dword s2, s[4:5], 0x4c
	s_load_dword s10, s[4:5], 0x40
	s_waitcnt lgkmcnt(0)
	s_and_b32 s7, s2, 0xffff
	s_add_u32 s11, s0, -1
	s_mul_i32 s12, s10, s7
	s_addc_u32 s9, s1, -1
	s_lshl_b32 s13, s12, 1
	s_cmp_lg_u64 s[8:9], 0
	s_mov_b64 s[2:3], -1
	s_cbranch_scc0 .LBB66_23
; %bb.3:
	v_cvt_f32_u32_e32 v1, s13
	v_cvt_f32_ubyte0_e32 v4, 0
	s_sub_u32 s8, 0, s13
	s_subb_u32 s14, 0, 0
	v_madmk_f32 v1, v4, 0x4f800000, v1
	v_rcp_f32_e32 v1, v1
	v_mul_f32_e32 v1, 0x5f7ffffc, v1
	v_mul_f32_e32 v4, 0x2f800000, v1
	v_trunc_f32_e32 v4, v4
	v_madmk_f32 v1, v4, 0xcf800000, v1
	v_cvt_u32_f32_e32 v4, v4
	v_cvt_u32_f32_e32 v1, v1
	v_readfirstlane_b32 s15, v4
	v_readfirstlane_b32 s16, v1
	s_mul_i32 s17, s8, s15
	s_mul_hi_u32 s19, s8, s16
	s_mul_i32 s18, s14, s16
	s_add_i32 s17, s19, s17
	s_add_i32 s17, s17, s18
	s_mul_i32 s20, s8, s16
	s_mul_hi_u32 s18, s16, s17
	s_mul_i32 s19, s16, s17
	s_mul_hi_u32 s16, s16, s20
	s_add_u32 s16, s16, s19
	s_addc_u32 s18, 0, s18
	s_mul_hi_u32 s21, s15, s20
	s_mul_i32 s20, s15, s20
	s_add_u32 s16, s16, s20
	s_mul_hi_u32 s19, s15, s17
	s_addc_u32 s16, s18, s21
	s_addc_u32 s18, s19, 0
	s_mul_i32 s17, s15, s17
	s_add_u32 s16, s16, s17
	s_addc_u32 s17, 0, s18
	v_add_co_u32_e32 v1, vcc, s16, v1
	s_cmp_lg_u64 vcc, 0
	s_addc_u32 s15, s15, s17
	v_readfirstlane_b32 s17, v1
	s_mul_i32 s16, s8, s15
	s_mul_hi_u32 s18, s8, s17
	s_add_i32 s16, s18, s16
	s_mul_i32 s14, s14, s17
	s_add_i32 s16, s16, s14
	s_mul_i32 s8, s8, s17
	s_mul_hi_u32 s18, s15, s8
	s_mul_i32 s19, s15, s8
	s_mul_i32 s21, s17, s16
	s_mul_hi_u32 s8, s17, s8
	s_mul_hi_u32 s20, s17, s16
	s_add_u32 s8, s8, s21
	s_addc_u32 s17, 0, s20
	s_add_u32 s8, s8, s19
	s_mul_hi_u32 s14, s15, s16
	s_addc_u32 s8, s17, s18
	s_addc_u32 s14, s14, 0
	s_mul_i32 s16, s15, s16
	s_add_u32 s8, s8, s16
	s_addc_u32 s14, 0, s14
	v_add_co_u32_e32 v1, vcc, s8, v1
	s_cmp_lg_u64 vcc, 0
	s_addc_u32 s16, s15, s14
	s_ashr_i32 s14, s9, 31
	s_add_u32 s8, s11, s14
	s_mov_b32 s15, s14
	s_addc_u32 s9, s9, s14
	s_xor_b64 s[8:9], s[8:9], s[14:15]
	v_readfirstlane_b32 s19, v1
	s_mul_i32 s18, s8, s16
	s_mul_hi_u32 s20, s8, s19
	s_mul_hi_u32 s17, s8, s16
	s_add_u32 s18, s20, s18
	s_addc_u32 s17, 0, s17
	s_mul_hi_u32 s21, s9, s19
	s_mul_i32 s19, s9, s19
	s_add_u32 s18, s18, s19
	s_mul_hi_u32 s20, s9, s16
	s_addc_u32 s17, s17, s21
	s_addc_u32 s18, s20, 0
	s_mul_i32 s16, s9, s16
	s_add_u32 s16, s17, s16
	s_addc_u32 s17, 0, s18
	s_add_u32 s18, s16, 1
	s_addc_u32 s19, s17, 0
	s_add_u32 s20, s16, 2
	s_mul_i32 s22, s13, s17
	s_mul_hi_u32 s23, s13, s16
	s_addc_u32 s21, s17, 0
	s_add_i32 s23, s23, s22
	s_mul_i32 s22, s13, s16
	v_mov_b32_e32 v1, s22
	v_sub_co_u32_e32 v1, vcc, s8, v1
	s_cmp_lg_u64 vcc, 0
	s_subb_u32 s8, s9, s23
	v_subrev_co_u32_e32 v4, vcc, s13, v1
	s_cmp_lg_u64 vcc, 0
	s_subb_u32 s9, s8, 0
	v_readfirstlane_b32 s22, v4
	s_cmp_ge_u32 s22, s13
	s_cselect_b32 s22, -1, 0
	s_cmp_eq_u32 s9, 0
	s_cselect_b32 s9, s22, -1
	s_cmp_lg_u32 s9, 0
	s_cselect_b32 s9, s21, s19
	v_readfirstlane_b32 s19, v1
	s_cselect_b32 s18, s20, s18
	s_cmp_ge_u32 s19, s13
	s_cselect_b32 s19, -1, 0
	s_cmp_eq_u32 s8, 0
	s_cselect_b32 s8, s19, -1
	s_cmp_lg_u32 s8, 0
	s_cselect_b32 s9, s9, s17
	s_cselect_b32 s8, s18, s16
	s_xor_b64 s[8:9], s[8:9], s[14:15]
	s_sub_u32 s8, s8, s14
	s_subb_u32 s9, s9, s14
	s_cbranch_execnz .LBB66_5
.LBB66_4:
	v_cvt_f32_u32_e32 v1, s13
	s_sub_i32 s2, 0, s13
	s_mov_b32 s9, 0
	v_rcp_iflag_f32_e32 v1, v1
	v_mul_f32_e32 v1, 0x4f7ffffe, v1
	v_cvt_u32_f32_e32 v1, v1
	v_readfirstlane_b32 s3, v1
	s_mul_i32 s2, s2, s3
	s_mul_hi_u32 s2, s3, s2
	s_add_i32 s3, s3, s2
	s_mul_hi_u32 s2, s11, s3
	s_mul_i32 s8, s2, s13
	s_sub_i32 s8, s11, s8
	s_add_i32 s3, s2, 1
	s_sub_i32 s11, s8, s13
	s_cmp_ge_u32 s8, s13
	s_cselect_b32 s2, s3, s2
	s_cselect_b32 s8, s11, s8
	s_add_i32 s3, s2, 1
	s_cmp_ge_u32 s8, s13
	s_cselect_b32 s8, s3, s2
.LBB66_5:
	v_mov_b32_e32 v1, 0
	v_mov_b32_e32 v4, s6
	v_mad_u64_u32 v[16:17], s[2:3], s7, v4, v[0:1]
	s_add_u32 s2, s8, 1
	s_addc_u32 s3, s9, 0
	s_mul_hi_u32 s8, s10, s7
	s_mul_i32 s3, s12, s3
	s_mul_hi_u32 s9, s12, s2
	s_add_i32 s3, s9, s3
	s_mul_i32 s8, s8, s2
	s_add_i32 s3, s3, s8
	s_mul_i32 s2, s12, s2
	s_lshl_b64 s[2:3], s[2:3], 1
	v_cmp_gt_i64_e32 vcc, s[2:3], v[16:17]
	s_and_saveexec_b64 s[8:9], vcc
	s_cbranch_execz .LBB66_22
; %bb.6:
	s_load_dwordx2 s[8:9], s[4:5], 0x30
	s_load_dword s11, s[4:5], 0x38
	s_mov_b32 s4, 0x5384540f
	v_mov_b32_e32 v4, v15
	v_add_co_u32_e32 v22, vcc, s4, v14
	s_mov_b32 s4, 0x646e171e
	v_add_co_u32_e32 v23, vcc, s4, v4
	s_mov_b32 s4, 0x1715609d
	;; [unrolled: 2-line block ×6, first 2 shown]
	v_alignbit_b32 v29, v3, v2, 2
	s_mov_b32 s15, 0xd2511f53
	v_add_co_u32_e32 v28, vcc, s4, v14
	v_mad_u64_u32 v[6:7], s[4:5], v29, s15, 0
	v_xor_b32_e32 v1, v7, v15
	v_xor_b32_e32 v1, v1, v17
	s_mov_b32 s16, 0xcd9e8d57
	v_mad_u64_u32 v[8:9], s[4:5], v1, s16, 0
	v_xor_b32_e32 v1, v28, v9
	v_mad_u64_u32 v[10:11], s[4:5], v16, s16, 0
	v_and_b32_e32 v18, 3, v2
	v_xor_b32_e32 v1, v1, v10
	v_xor_b32_e32 v2, v14, v11
	v_lshrrev_b32_e32 v30, 2, v3
	v_mad_u64_u32 v[12:13], s[4:5], v1, s15, 0
	v_xor_b32_e32 v2, v2, v30
	v_xor_b32_e32 v1, v27, v13
	v_mad_u64_u32 v[2:3], s[4:5], v2, s15, 0
	v_xor_b32_e32 v1, v1, v2
	v_mad_u64_u32 v[10:11], s[4:5], v1, s16, 0
	s_mov_b32 s4, 0xbb67ae85
	v_add_co_u32_e32 v31, vcc, s4, v4
	v_xor_b32_e32 v2, v31, v3
	v_xor_b32_e32 v2, v2, v6
	v_xor_b32_e32 v1, v26, v11
	v_mad_u64_u32 v[2:3], s[4:5], v2, s16, 0
	v_xor_b32_e32 v1, v1, v2
	v_mad_u64_u32 v[6:7], s[4:5], v1, s15, 0
	s_mov_b32 s4, 0x3c6ef372
	v_add_co_u32_e32 v32, vcc, s4, v14
	v_xor_b32_e32 v2, v32, v3
	;; [unrolled: 8-line block ×6, first 2 shown]
	v_add_co_u32_e32 v21, vcc, 0xdb3d7428, v4
	v_xor_b32_e32 v2, v2, v8
	v_xor_b32_e32 v1, v21, v7
	v_mad_u64_u32 v[2:3], s[4:5], v2, s15, 0
	v_xor_b32_e32 v1, v1, v2
	v_mad_u64_u32 v[8:9], s[4:5], v1, s16, 0
	s_mov_b32 s4, 0x1fd5c5a3
	v_add_co_u32_e32 v37, vcc, s4, v4
	v_xor_b32_e32 v1, v37, v3
	v_xor_b32_e32 v1, v1, v12
	v_mad_u64_u32 v[2:3], s[4:5], v1, s16, 0
	s_mov_b32 s4, 0xf1bbcdc8
	v_add_u32_e32 v19, 0x8ff34781, v14
	v_xor_b32_e32 v1, v9, v2
	v_add_co_u32_e32 v38, vcc, s4, v14
	v_xor_b32_e32 v2, v19, v1
	v_xor_b32_e32 v1, v38, v3
	;; [unrolled: 1-line block ×3, first 2 shown]
	v_mad_u64_u32 v[10:11], s[4:5], v1, s15, 0
	v_add_u32_e32 v20, 0x96a522ad, v15
	v_xor_b32_e32 v1, v11, v6
	s_mul_i32 s4, s6, s7
	v_xor_b32_e32 v4, v20, v1
	v_add_u32_e32 v1, s4, v0
	s_waitcnt lgkmcnt(0)
	s_mul_i32 s4, s10, s11
	s_mul_i32 s4, s4, s7
	s_lshl_b32 s17, s4, 1
	s_add_i32 s4, s6, s10
	s_mul_i32 s4, s4, s7
	s_mov_b32 s14, 0
	v_add_u32_e32 v0, s4, v0
	v_mov_b32_e32 v3, v8
	v_mov_b32_e32 v5, v10
	v_mul_lo_u32 v39, s11, v1
	v_mul_lo_u32 v40, s11, v0
	s_mov_b64 s[4:5], 0
	s_movk_i32 s18, 0x7fff
	s_mov_b32 s19, s14
	v_mov_b32_e32 v41, v16
	v_mov_b32_e32 v42, v17
	s_branch .LBB66_8
.LBB66_7:                               ;   in Loop: Header=BB66_8 Depth=1
	s_or_b64 exec, exec, s[6:7]
	v_add_co_u32_e32 v16, vcc, s13, v16
	v_addc_co_u32_e32 v17, vcc, 0, v17, vcc
	v_mov_b32_e32 v9, v0
	s_add_i32 s19, s19, s17
	v_cmp_le_i64_e32 vcc, s[2:3], v[16:17]
	v_pk_mov_b32 v[2:3], v[6:7], v[6:7] op_sel:[0,1]
	s_or_b64 s[4:5], vcc, s[4:5]
	v_pk_mov_b32 v[4:5], v[8:9], v[8:9] op_sel:[0,1]
	s_barrier
	s_andn2_b64 exec, exec, s[4:5]
	s_cbranch_execz .LBB66_22
.LBB66_8:                               ; =>This Inner Loop Header: Depth=1
	v_add_co_u32_e32 v29, vcc, 1, v29
	v_cndmask_b32_e64 v0, 0, 1, vcc
	v_addc_co_u32_e32 v30, vcc, 0, v30, vcc
	v_cmp_eq_u32_e32 vcc, 0, v30
	v_cndmask_b32_e32 v0, 0, v0, vcc
	v_add_u32_e32 v41, v0, v41
	v_cmp_eq_u32_e32 vcc, 0, v41
	v_cndmask_b32_e32 v0, 0, v0, vcc
	v_add_u32_e32 v42, v0, v42
	v_mad_u64_u32 v[0:1], s[6:7], v29, s15, 0
	v_mad_u64_u32 v[6:7], s[6:7], v41, s16, 0
	v_xor_b32_e32 v1, v1, v15
	v_xor_b32_e32 v7, v7, v14
	v_xor_b32_e32 v1, v42, v1
	v_xor_b32_e32 v7, v30, v7
	v_mad_u64_u32 v[10:11], s[6:7], v1, s16, 0
	v_mad_u64_u32 v[8:9], s[6:7], v7, s15, 0
	v_xor_b32_e32 v1, v28, v11
	v_xor_b32_e32 v1, v1, v6
	v_xor_b32_e32 v6, v31, v9
	v_xor_b32_e32 v6, v6, v0
	;; [unrolled: 6-line block ×10, first 2 shown]
	v_mov_b32_e32 v7, v12
	v_mov_b32_e32 v8, v13
	v_cmp_lt_i32_e32 vcc, 1, v18
	s_and_saveexec_b64 s[6:7], vcc
	s_xor_b64 s[6:7], exec, s[6:7]
	s_cbranch_execnz .LBB66_14
; %bb.9:                                ;   in Loop: Header=BB66_8 Depth=1
	s_andn2_saveexec_b64 s[6:7], s[6:7]
	s_cbranch_execnz .LBB66_19
.LBB66_10:                              ;   in Loop: Header=BB66_8 Depth=1
	s_or_b64 exec, exec, s[6:7]
	v_cmp_gt_i64_e32 vcc, s[0:1], v[16:17]
	s_and_saveexec_b64 s[6:7], vcc
	s_cbranch_execz .LBB66_12
.LBB66_11:                              ;   in Loop: Header=BB66_8 Depth=1
	v_mov_b32_e32 v11, v2
	v_ffbh_i32_e32 v13, v2
	v_xor_b32_e32 v2, v3, v2
	v_ashrrev_i32_e32 v2, 31, v2
	v_add_u32_e32 v13, -1, v13
	v_add_u32_e32 v2, 32, v2
	v_mov_b32_e32 v10, v3
	v_min_u32_e32 v13, v13, v2
	v_lshlrev_b64 v[2:3], v13, v[10:11]
	v_min_u32_e32 v2, 1, v2
	v_or_b32_e32 v2, v3, v2
	v_cvt_f32_i32_e32 v10, v2
	v_add_u32_e32 v1, s19, v39
	v_ashrrev_i32_e32 v9, 31, v1
	v_add_co_u32_e32 v2, vcc, s8, v1
	v_sub_u32_e32 v1, 32, v13
	v_mov_b32_e32 v12, s9
	v_ldexp_f32 v1, v10, v1
	v_addc_co_u32_e32 v3, vcc, v12, v9, vcc
	v_bfe_u32 v9, v1, 16, 1
	v_add3_u32 v1, v1, v9, s18
	global_store_short_d16_hi v[2:3], v1, off
.LBB66_12:                              ;   in Loop: Header=BB66_8 Depth=1
	s_or_b64 exec, exec, s[6:7]
	v_mov_b32_e32 v1, s14
	v_add_co_u32_e32 v2, vcc, s12, v16
	v_addc_co_u32_e32 v3, vcc, v1, v17, vcc
	v_cmp_gt_i64_e32 vcc, s[0:1], v[2:3]
	s_and_saveexec_b64 s[6:7], vcc
	s_cbranch_execz .LBB66_7
; %bb.13:                               ;   in Loop: Header=BB66_8 Depth=1
	v_mov_b32_e32 v3, v4
	v_ffbh_i32_e32 v11, v4
	v_xor_b32_e32 v4, v5, v4
	v_ashrrev_i32_e32 v4, 31, v4
	v_add_u32_e32 v11, -1, v11
	v_add_u32_e32 v4, 32, v4
	v_mov_b32_e32 v2, v5
	v_min_u32_e32 v4, v11, v4
	v_lshlrev_b64 v[2:3], v4, v[2:3]
	v_min_u32_e32 v2, 1, v2
	v_or_b32_e32 v2, v3, v2
	v_cvt_f32_i32_e32 v5, v2
	v_add_u32_e32 v1, s19, v40
	v_ashrrev_i32_e32 v9, 31, v1
	v_add_co_u32_e32 v2, vcc, s8, v1
	v_sub_u32_e32 v1, 32, v4
	v_ldexp_f32 v1, v5, v1
	v_mov_b32_e32 v10, s9
	v_bfe_u32 v4, v1, 16, 1
	v_addc_co_u32_e32 v3, vcc, v10, v9, vcc
	v_add3_u32 v1, v1, v4, s18
	global_store_short_d16_hi v[2:3], v1, off
	s_branch .LBB66_7
.LBB66_14:                              ;   in Loop: Header=BB66_8 Depth=1
	v_cmp_lt_i32_e32 vcc, 2, v18
	s_and_saveexec_b64 s[10:11], vcc
	s_xor_b64 s[10:11], exec, s[10:11]
; %bb.15:                               ;   in Loop: Header=BB66_8 Depth=1
	v_mov_b32_e32 v10, v5
	v_mov_b32_e32 v11, v6
	v_pk_mov_b32 v[2:3], v[10:11], v[10:11] op_sel:[0,1]
	v_pk_mov_b32 v[4:5], v[12:13], v[12:13] op_sel:[0,1]
                                        ; implicit-def: $vgpr12_vgpr13
; %bb.16:                               ;   in Loop: Header=BB66_8 Depth=1
	s_andn2_saveexec_b64 s[10:11], s[10:11]
; %bb.17:                               ;   in Loop: Header=BB66_8 Depth=1
	v_mov_b32_e32 v2, v4
	v_mov_b32_e32 v3, v5
	;; [unrolled: 1-line block ×4, first 2 shown]
; %bb.18:                               ;   in Loop: Header=BB66_8 Depth=1
	s_or_b64 exec, exec, s[10:11]
	s_andn2_saveexec_b64 s[6:7], s[6:7]
	s_cbranch_execz .LBB66_10
.LBB66_19:                              ;   in Loop: Header=BB66_8 Depth=1
	v_cmp_eq_u32_e32 vcc, 1, v18
	s_and_saveexec_b64 s[10:11], vcc
; %bb.20:                               ;   in Loop: Header=BB66_8 Depth=1
	v_mov_b32_e32 v2, v3
	v_mov_b32_e32 v3, v4
	;; [unrolled: 1-line block ×4, first 2 shown]
; %bb.21:                               ;   in Loop: Header=BB66_8 Depth=1
	s_or_b64 exec, exec, s[10:11]
	s_or_b64 exec, exec, s[6:7]
	v_cmp_gt_i64_e32 vcc, s[0:1], v[16:17]
	s_and_saveexec_b64 s[6:7], vcc
	s_cbranch_execnz .LBB66_11
	s_branch .LBB66_12
.LBB66_22:
	s_endpgm
.LBB66_23:
                                        ; implicit-def: $sgpr8_sgpr9
	s_andn2_b64 vcc, exec, s[2:3]
	s_cbranch_vccz .LBB66_4
	s_branch .LBB66_5
	.section	.rodata,"a",@progbits
	.p2align	6, 0x0
	.amdhsa_kernel _ZN2at6native12_GLOBAL__N_143distribution_elementwise_grid_stride_kernelImLi2EZZZNS0_9templates4cuda32random_full_64_bits_range_kernelIPNS_17CUDAGeneratorImplEEEvRNS_18TensorIteratorBaseET_ENKUlvE_clEvENKUlvE6_clEvEUlP25hiprandStatePhilox4_32_10E_ZNS1_27distribution_nullary_kernelIN3c108BFloat16Em15HIP_vector_typeIyLj2EES7_SF_ZZZNS5_IS7_EEvS9_SA_ENKSB_clEvENKSC_clEvEUlmE_EEvS9_T2_RKT3_T4_EUlimE_EEvlNS_15PhiloxCudaStateET1_SM_
		.amdhsa_group_segment_fixed_size 0
		.amdhsa_private_segment_fixed_size 0
		.amdhsa_kernarg_size 320
		.amdhsa_user_sgpr_count 6
		.amdhsa_user_sgpr_private_segment_buffer 1
		.amdhsa_user_sgpr_dispatch_ptr 0
		.amdhsa_user_sgpr_queue_ptr 0
		.amdhsa_user_sgpr_kernarg_segment_ptr 1
		.amdhsa_user_sgpr_dispatch_id 0
		.amdhsa_user_sgpr_flat_scratch_init 0
		.amdhsa_user_sgpr_kernarg_preload_length 0
		.amdhsa_user_sgpr_kernarg_preload_offset 0
		.amdhsa_user_sgpr_private_segment_size 0
		.amdhsa_uses_dynamic_stack 0
		.amdhsa_system_sgpr_private_segment_wavefront_offset 0
		.amdhsa_system_sgpr_workgroup_id_x 1
		.amdhsa_system_sgpr_workgroup_id_y 0
		.amdhsa_system_sgpr_workgroup_id_z 0
		.amdhsa_system_sgpr_workgroup_info 0
		.amdhsa_system_vgpr_workitem_id 0
		.amdhsa_next_free_vgpr 46
		.amdhsa_next_free_sgpr 24
		.amdhsa_accum_offset 48
		.amdhsa_reserve_vcc 1
		.amdhsa_reserve_flat_scratch 0
		.amdhsa_float_round_mode_32 0
		.amdhsa_float_round_mode_16_64 0
		.amdhsa_float_denorm_mode_32 3
		.amdhsa_float_denorm_mode_16_64 3
		.amdhsa_dx10_clamp 1
		.amdhsa_ieee_mode 1
		.amdhsa_fp16_overflow 0
		.amdhsa_tg_split 0
		.amdhsa_exception_fp_ieee_invalid_op 0
		.amdhsa_exception_fp_denorm_src 0
		.amdhsa_exception_fp_ieee_div_zero 0
		.amdhsa_exception_fp_ieee_overflow 0
		.amdhsa_exception_fp_ieee_underflow 0
		.amdhsa_exception_fp_ieee_inexact 0
		.amdhsa_exception_int_div_zero 0
	.end_amdhsa_kernel
	.section	.text._ZN2at6native12_GLOBAL__N_143distribution_elementwise_grid_stride_kernelImLi2EZZZNS0_9templates4cuda32random_full_64_bits_range_kernelIPNS_17CUDAGeneratorImplEEEvRNS_18TensorIteratorBaseET_ENKUlvE_clEvENKUlvE6_clEvEUlP25hiprandStatePhilox4_32_10E_ZNS1_27distribution_nullary_kernelIN3c108BFloat16Em15HIP_vector_typeIyLj2EES7_SF_ZZZNS5_IS7_EEvS9_SA_ENKSB_clEvENKSC_clEvEUlmE_EEvS9_T2_RKT3_T4_EUlimE_EEvlNS_15PhiloxCudaStateET1_SM_,"axG",@progbits,_ZN2at6native12_GLOBAL__N_143distribution_elementwise_grid_stride_kernelImLi2EZZZNS0_9templates4cuda32random_full_64_bits_range_kernelIPNS_17CUDAGeneratorImplEEEvRNS_18TensorIteratorBaseET_ENKUlvE_clEvENKUlvE6_clEvEUlP25hiprandStatePhilox4_32_10E_ZNS1_27distribution_nullary_kernelIN3c108BFloat16Em15HIP_vector_typeIyLj2EES7_SF_ZZZNS5_IS7_EEvS9_SA_ENKSB_clEvENKSC_clEvEUlmE_EEvS9_T2_RKT3_T4_EUlimE_EEvlNS_15PhiloxCudaStateET1_SM_,comdat
.Lfunc_end66:
	.size	_ZN2at6native12_GLOBAL__N_143distribution_elementwise_grid_stride_kernelImLi2EZZZNS0_9templates4cuda32random_full_64_bits_range_kernelIPNS_17CUDAGeneratorImplEEEvRNS_18TensorIteratorBaseET_ENKUlvE_clEvENKUlvE6_clEvEUlP25hiprandStatePhilox4_32_10E_ZNS1_27distribution_nullary_kernelIN3c108BFloat16Em15HIP_vector_typeIyLj2EES7_SF_ZZZNS5_IS7_EEvS9_SA_ENKSB_clEvENKSC_clEvEUlmE_EEvS9_T2_RKT3_T4_EUlimE_EEvlNS_15PhiloxCudaStateET1_SM_, .Lfunc_end66-_ZN2at6native12_GLOBAL__N_143distribution_elementwise_grid_stride_kernelImLi2EZZZNS0_9templates4cuda32random_full_64_bits_range_kernelIPNS_17CUDAGeneratorImplEEEvRNS_18TensorIteratorBaseET_ENKUlvE_clEvENKUlvE6_clEvEUlP25hiprandStatePhilox4_32_10E_ZNS1_27distribution_nullary_kernelIN3c108BFloat16Em15HIP_vector_typeIyLj2EES7_SF_ZZZNS5_IS7_EEvS9_SA_ENKSB_clEvENKSC_clEvEUlmE_EEvS9_T2_RKT3_T4_EUlimE_EEvlNS_15PhiloxCudaStateET1_SM_
                                        ; -- End function
	.section	.AMDGPU.csdata,"",@progbits
; Kernel info:
; codeLenInByte = 2324
; NumSgprs: 28
; NumVgprs: 46
; NumAgprs: 0
; TotalNumVgprs: 46
; ScratchSize: 0
; MemoryBound: 0
; FloatMode: 240
; IeeeMode: 1
; LDSByteSize: 0 bytes/workgroup (compile time only)
; SGPRBlocks: 3
; VGPRBlocks: 5
; NumSGPRsForWavesPerEU: 28
; NumVGPRsForWavesPerEU: 46
; AccumOffset: 48
; Occupancy: 8
; WaveLimiterHint : 0
; COMPUTE_PGM_RSRC2:SCRATCH_EN: 0
; COMPUTE_PGM_RSRC2:USER_SGPR: 6
; COMPUTE_PGM_RSRC2:TRAP_HANDLER: 0
; COMPUTE_PGM_RSRC2:TGID_X_EN: 1
; COMPUTE_PGM_RSRC2:TGID_Y_EN: 0
; COMPUTE_PGM_RSRC2:TGID_Z_EN: 0
; COMPUTE_PGM_RSRC2:TIDIG_COMP_CNT: 0
; COMPUTE_PGM_RSRC3_GFX90A:ACCUM_OFFSET: 11
; COMPUTE_PGM_RSRC3_GFX90A:TG_SPLIT: 0
	.section	.text._ZN2at6native12_GLOBAL__N_143distribution_elementwise_grid_stride_kernelImLi2EZZZNS0_9templates4cuda32random_full_64_bits_range_kernelIPNS_17CUDAGeneratorImplEEEvRNS_18TensorIteratorBaseET_ENKUlvE_clEvENKUlvE6_clEvEUlP25hiprandStatePhilox4_32_10E_ZNS1_27distribution_nullary_kernelIN3c108BFloat16Em15HIP_vector_typeIyLj2EES7_SF_ZZZNS5_IS7_EEvS9_SA_ENKSB_clEvENKSC_clEvEUlmE_EEvS9_T2_RKT3_T4_EUlimE0_EEvlNS_15PhiloxCudaStateET1_SM_,"axG",@progbits,_ZN2at6native12_GLOBAL__N_143distribution_elementwise_grid_stride_kernelImLi2EZZZNS0_9templates4cuda32random_full_64_bits_range_kernelIPNS_17CUDAGeneratorImplEEEvRNS_18TensorIteratorBaseET_ENKUlvE_clEvENKUlvE6_clEvEUlP25hiprandStatePhilox4_32_10E_ZNS1_27distribution_nullary_kernelIN3c108BFloat16Em15HIP_vector_typeIyLj2EES7_SF_ZZZNS5_IS7_EEvS9_SA_ENKSB_clEvENKSC_clEvEUlmE_EEvS9_T2_RKT3_T4_EUlimE0_EEvlNS_15PhiloxCudaStateET1_SM_,comdat
	.globl	_ZN2at6native12_GLOBAL__N_143distribution_elementwise_grid_stride_kernelImLi2EZZZNS0_9templates4cuda32random_full_64_bits_range_kernelIPNS_17CUDAGeneratorImplEEEvRNS_18TensorIteratorBaseET_ENKUlvE_clEvENKUlvE6_clEvEUlP25hiprandStatePhilox4_32_10E_ZNS1_27distribution_nullary_kernelIN3c108BFloat16Em15HIP_vector_typeIyLj2EES7_SF_ZZZNS5_IS7_EEvS9_SA_ENKSB_clEvENKSC_clEvEUlmE_EEvS9_T2_RKT3_T4_EUlimE0_EEvlNS_15PhiloxCudaStateET1_SM_ ; -- Begin function _ZN2at6native12_GLOBAL__N_143distribution_elementwise_grid_stride_kernelImLi2EZZZNS0_9templates4cuda32random_full_64_bits_range_kernelIPNS_17CUDAGeneratorImplEEEvRNS_18TensorIteratorBaseET_ENKUlvE_clEvENKUlvE6_clEvEUlP25hiprandStatePhilox4_32_10E_ZNS1_27distribution_nullary_kernelIN3c108BFloat16Em15HIP_vector_typeIyLj2EES7_SF_ZZZNS5_IS7_EEvS9_SA_ENKSB_clEvENKSC_clEvEUlmE_EEvS9_T2_RKT3_T4_EUlimE0_EEvlNS_15PhiloxCudaStateET1_SM_
	.p2align	8
	.type	_ZN2at6native12_GLOBAL__N_143distribution_elementwise_grid_stride_kernelImLi2EZZZNS0_9templates4cuda32random_full_64_bits_range_kernelIPNS_17CUDAGeneratorImplEEEvRNS_18TensorIteratorBaseET_ENKUlvE_clEvENKUlvE6_clEvEUlP25hiprandStatePhilox4_32_10E_ZNS1_27distribution_nullary_kernelIN3c108BFloat16Em15HIP_vector_typeIyLj2EES7_SF_ZZZNS5_IS7_EEvS9_SA_ENKSB_clEvENKSC_clEvEUlmE_EEvS9_T2_RKT3_T4_EUlimE0_EEvlNS_15PhiloxCudaStateET1_SM_,@function
_ZN2at6native12_GLOBAL__N_143distribution_elementwise_grid_stride_kernelImLi2EZZZNS0_9templates4cuda32random_full_64_bits_range_kernelIPNS_17CUDAGeneratorImplEEEvRNS_18TensorIteratorBaseET_ENKUlvE_clEvENKUlvE6_clEvEUlP25hiprandStatePhilox4_32_10E_ZNS1_27distribution_nullary_kernelIN3c108BFloat16Em15HIP_vector_typeIyLj2EES7_SF_ZZZNS5_IS7_EEvS9_SA_ENKSB_clEvENKSC_clEvEUlmE_EEvS9_T2_RKT3_T4_EUlimE0_EEvlNS_15PhiloxCudaStateET1_SM_: ; @_ZN2at6native12_GLOBAL__N_143distribution_elementwise_grid_stride_kernelImLi2EZZZNS0_9templates4cuda32random_full_64_bits_range_kernelIPNS_17CUDAGeneratorImplEEEvRNS_18TensorIteratorBaseET_ENKUlvE_clEvENKUlvE6_clEvEUlP25hiprandStatePhilox4_32_10E_ZNS1_27distribution_nullary_kernelIN3c108BFloat16Em15HIP_vector_typeIyLj2EES7_SF_ZZZNS5_IS7_EEvS9_SA_ENKSB_clEvENKSC_clEvEUlmE_EEvS9_T2_RKT3_T4_EUlimE0_EEvlNS_15PhiloxCudaStateET1_SM_
; %bb.0:
	s_load_dword s2, s[4:5], 0x20
	s_load_dwordx2 s[0:1], s[4:5], 0x10
	s_load_dwordx4 s[24:27], s[4:5], 0x0
	s_waitcnt lgkmcnt(0)
	s_bitcmp0_b32 s2, 0
	s_mov_b32 s2, 0
	v_pk_mov_b32 v[2:3], s[0:1], s[0:1] op_sel:[0,1]
	v_pk_mov_b32 v[12:13], s[26:27], s[26:27] op_sel:[0,1]
	s_cbranch_scc1 .LBB67_2
; %bb.1:
	v_pk_mov_b32 v[2:3], s[0:1], s[0:1] op_sel:[0,1]
	flat_load_dwordx2 v[2:3], v[2:3]
	v_pk_mov_b32 v[4:5], s[26:27], s[26:27] op_sel:[0,1]
	flat_load_dwordx2 v[12:13], v[4:5]
	s_load_dwordx2 s[0:1], s[4:5], 0x18
	s_waitcnt lgkmcnt(0)
	v_mov_b32_e32 v1, s1
	s_waitcnt vmcnt(0)
	v_add_co_u32_e32 v2, vcc, s0, v2
	v_addc_co_u32_e32 v3, vcc, v3, v1, vcc
.LBB67_2:
	s_load_dword s0, s[4:5], 0x154
	s_load_dword s7, s[4:5], 0x148
	s_waitcnt lgkmcnt(0)
	s_and_b32 s8, s0, 0xffff
	s_add_u32 s9, s24, -1
	s_mul_i32 s33, s7, s8
	s_addc_u32 s3, s25, -1
	s_lshl_b32 s58, s33, 1
	s_cmp_lg_u64 s[2:3], 0
	s_mov_b64 s[0:1], -1
	s_cbranch_scc0 .LBB67_51
; %bb.3:
	v_cvt_f32_u32_e32 v1, s58
	v_cvt_f32_ubyte0_e32 v4, 0
	s_sub_u32 s2, 0, s58
	s_subb_u32 s10, 0, 0
	v_madmk_f32 v1, v4, 0x4f800000, v1
	v_rcp_f32_e32 v1, v1
	v_mul_f32_e32 v1, 0x5f7ffffc, v1
	v_mul_f32_e32 v4, 0x2f800000, v1
	v_trunc_f32_e32 v4, v4
	v_madmk_f32 v1, v4, 0xcf800000, v1
	v_cvt_u32_f32_e32 v4, v4
	v_cvt_u32_f32_e32 v1, v1
	v_readfirstlane_b32 s11, v4
	v_readfirstlane_b32 s12, v1
	s_mul_i32 s13, s2, s11
	s_mul_hi_u32 s15, s2, s12
	s_mul_i32 s14, s10, s12
	s_add_i32 s13, s15, s13
	s_add_i32 s13, s13, s14
	s_mul_i32 s16, s2, s12
	s_mul_hi_u32 s14, s12, s13
	s_mul_i32 s15, s12, s13
	s_mul_hi_u32 s12, s12, s16
	s_add_u32 s12, s12, s15
	s_addc_u32 s14, 0, s14
	s_mul_hi_u32 s17, s11, s16
	s_mul_i32 s16, s11, s16
	s_add_u32 s12, s12, s16
	s_mul_hi_u32 s15, s11, s13
	s_addc_u32 s12, s14, s17
	s_addc_u32 s14, s15, 0
	s_mul_i32 s13, s11, s13
	s_add_u32 s12, s12, s13
	s_addc_u32 s13, 0, s14
	v_add_co_u32_e32 v1, vcc, s12, v1
	s_cmp_lg_u64 vcc, 0
	s_addc_u32 s11, s11, s13
	v_readfirstlane_b32 s13, v1
	s_mul_i32 s12, s2, s11
	s_mul_hi_u32 s14, s2, s13
	s_add_i32 s12, s14, s12
	s_mul_i32 s10, s10, s13
	s_add_i32 s12, s12, s10
	s_mul_i32 s2, s2, s13
	s_mul_hi_u32 s14, s11, s2
	s_mul_i32 s15, s11, s2
	s_mul_i32 s17, s13, s12
	s_mul_hi_u32 s2, s13, s2
	s_mul_hi_u32 s16, s13, s12
	s_add_u32 s2, s2, s17
	s_addc_u32 s13, 0, s16
	s_add_u32 s2, s2, s15
	s_mul_hi_u32 s10, s11, s12
	s_addc_u32 s2, s13, s14
	s_addc_u32 s10, s10, 0
	s_mul_i32 s12, s11, s12
	s_add_u32 s2, s2, s12
	s_addc_u32 s10, 0, s10
	v_add_co_u32_e32 v1, vcc, s2, v1
	s_cmp_lg_u64 vcc, 0
	s_addc_u32 s12, s11, s10
	s_ashr_i32 s10, s3, 31
	s_add_u32 s2, s9, s10
	s_mov_b32 s11, s10
	s_addc_u32 s3, s3, s10
	s_xor_b64 s[2:3], s[2:3], s[10:11]
	v_readfirstlane_b32 s15, v1
	s_mul_i32 s14, s2, s12
	s_mul_hi_u32 s16, s2, s15
	s_mul_hi_u32 s13, s2, s12
	s_add_u32 s14, s16, s14
	s_addc_u32 s13, 0, s13
	s_mul_hi_u32 s17, s3, s15
	s_mul_i32 s15, s3, s15
	s_add_u32 s14, s14, s15
	s_mul_hi_u32 s16, s3, s12
	s_addc_u32 s13, s13, s17
	s_addc_u32 s14, s16, 0
	s_mul_i32 s12, s3, s12
	s_add_u32 s12, s13, s12
	s_addc_u32 s13, 0, s14
	s_add_u32 s14, s12, 1
	s_addc_u32 s15, s13, 0
	s_add_u32 s16, s12, 2
	s_mul_i32 s18, s58, s13
	s_mul_hi_u32 s19, s58, s12
	s_addc_u32 s17, s13, 0
	s_add_i32 s19, s19, s18
	s_mul_i32 s18, s58, s12
	v_mov_b32_e32 v1, s18
	v_sub_co_u32_e32 v1, vcc, s2, v1
	s_cmp_lg_u64 vcc, 0
	s_subb_u32 s2, s3, s19
	v_subrev_co_u32_e32 v4, vcc, s58, v1
	s_cmp_lg_u64 vcc, 0
	s_subb_u32 s3, s2, 0
	v_readfirstlane_b32 s18, v4
	s_cmp_ge_u32 s18, s58
	s_cselect_b32 s18, -1, 0
	s_cmp_eq_u32 s3, 0
	s_cselect_b32 s3, s18, -1
	s_cmp_lg_u32 s3, 0
	s_cselect_b32 s3, s17, s15
	v_readfirstlane_b32 s15, v1
	s_cselect_b32 s14, s16, s14
	s_cmp_ge_u32 s15, s58
	s_cselect_b32 s15, -1, 0
	s_cmp_eq_u32 s2, 0
	s_cselect_b32 s2, s15, -1
	s_cmp_lg_u32 s2, 0
	s_cselect_b32 s3, s3, s13
	s_cselect_b32 s2, s14, s12
	s_xor_b64 s[2:3], s[2:3], s[10:11]
	s_sub_u32 s2, s2, s10
	s_subb_u32 s3, s3, s10
	s_cbranch_execnz .LBB67_5
.LBB67_4:
	v_cvt_f32_u32_e32 v1, s58
	s_sub_i32 s0, 0, s58
	s_mov_b32 s3, 0
	v_rcp_iflag_f32_e32 v1, v1
	v_mul_f32_e32 v1, 0x4f7ffffe, v1
	v_cvt_u32_f32_e32 v1, v1
	v_readfirstlane_b32 s1, v1
	s_mul_i32 s0, s0, s1
	s_mul_hi_u32 s0, s1, s0
	s_add_i32 s1, s1, s0
	s_mul_hi_u32 s0, s9, s1
	s_mul_i32 s2, s0, s58
	s_sub_i32 s2, s9, s2
	s_add_i32 s1, s0, 1
	s_sub_i32 s9, s2, s58
	s_cmp_ge_u32 s2, s58
	s_cselect_b32 s0, s1, s0
	s_cselect_b32 s2, s9, s2
	s_add_i32 s1, s0, 1
	s_cmp_ge_u32 s2, s58
	s_cselect_b32 s2, s1, s0
.LBB67_5:
	v_mov_b32_e32 v1, 0
	v_mov_b32_e32 v4, s6
	v_mad_u64_u32 v[14:15], s[0:1], s8, v4, v[0:1]
	s_add_u32 s0, s2, 1
	s_addc_u32 s1, s3, 0
	s_mul_hi_u32 s2, s7, s8
	s_mul_i32 s1, s33, s1
	s_mul_hi_u32 s3, s33, s0
	s_add_i32 s1, s3, s1
	s_mul_i32 s2, s2, s0
	s_add_i32 s1, s1, s2
	s_mul_i32 s0, s33, s0
	s_lshl_b64 s[26:27], s[0:1], 1
	v_cmp_gt_i64_e32 vcc, s[26:27], v[14:15]
	s_and_saveexec_b64 s[0:1], vcc
	s_cbranch_execz .LBB67_50
; %bb.6:
	s_mov_b32 s0, 0x5384540f
	v_mov_b32_e32 v0, v13
	v_add_co_u32_e32 v22, vcc, s0, v12
	s_mov_b32 s0, 0x646e171e
	v_add_co_u32_e32 v23, vcc, s0, v0
	s_mov_b32 s0, 0x1715609d
	;; [unrolled: 2-line block ×6, first 2 shown]
	v_alignbit_b32 v29, v3, v2, 2
	s_mov_b32 s60, 0xd2511f53
	v_add_co_u32_e32 v28, vcc, s0, v12
	v_mad_u64_u32 v[4:5], s[0:1], v29, s60, 0
	v_xor_b32_e32 v1, v5, v13
	v_xor_b32_e32 v1, v1, v15
	s_mov_b32 s61, 0xcd9e8d57
	v_mad_u64_u32 v[6:7], s[0:1], v1, s61, 0
	v_xor_b32_e32 v1, v28, v7
	v_mad_u64_u32 v[8:9], s[0:1], v14, s61, 0
	v_and_b32_e32 v18, 3, v2
	v_xor_b32_e32 v1, v1, v8
	v_xor_b32_e32 v2, v12, v9
	v_lshrrev_b32_e32 v30, 2, v3
	v_mad_u64_u32 v[10:11], s[0:1], v1, s60, 0
	v_xor_b32_e32 v2, v2, v30
	v_xor_b32_e32 v1, v27, v11
	v_mad_u64_u32 v[2:3], s[0:1], v2, s60, 0
	v_xor_b32_e32 v1, v1, v2
	v_mad_u64_u32 v[8:9], s[0:1], v1, s61, 0
	s_mov_b32 s0, 0xbb67ae85
	v_add_co_u32_e32 v31, vcc, s0, v0
	v_xor_b32_e32 v2, v31, v3
	v_xor_b32_e32 v2, v2, v4
	v_xor_b32_e32 v1, v26, v9
	v_mad_u64_u32 v[2:3], s[0:1], v2, s61, 0
	v_xor_b32_e32 v1, v1, v2
	v_mad_u64_u32 v[4:5], s[0:1], v1, s60, 0
	s_mov_b32 s0, 0x3c6ef372
	v_add_co_u32_e32 v32, vcc, s0, v12
	v_xor_b32_e32 v2, v32, v3
	;; [unrolled: 8-line block ×6, first 2 shown]
	v_add_co_u32_e32 v21, vcc, 0xdb3d7428, v0
	v_xor_b32_e32 v2, v2, v6
	v_xor_b32_e32 v1, v21, v5
	v_mad_u64_u32 v[2:3], s[0:1], v2, s60, 0
	v_xor_b32_e32 v1, v1, v2
	v_mad_u64_u32 v[6:7], s[0:1], v1, s61, 0
	s_mov_b32 s0, 0x1fd5c5a3
	v_add_co_u32_e32 v37, vcc, s0, v0
	v_xor_b32_e32 v0, v37, v3
	v_xor_b32_e32 v0, v0, v10
	v_mad_u64_u32 v[0:1], s[0:1], v0, s61, 0
	s_mov_b32 s0, 0xf1bbcdc8
	s_load_dwordx8 s[8:15], s[4:5], 0x30
	v_add_co_u32_e32 v38, vcc, s0, v12
	v_xor_b32_e32 v1, v38, v1
	v_xor_b32_e32 v1, v1, v8
	s_add_u32 s34, s4, 48
	v_mad_u64_u32 v[8:9], s[0:1], v1, s60, 0
	s_addc_u32 s35, s5, 0
	s_waitcnt lgkmcnt(0)
	s_add_i32 s0, s8, -1
	s_cmp_gt_u32 s0, 1
	s_cselect_b64 s[36:37], -1, 0
	s_cmp_lg_u32 s8, 0
	s_cselect_b64 s[38:39], -1, 0
	s_add_u32 s40, s4, 0xf4
	s_addc_u32 s41, s5, 0
	s_min_u32 s1, s0, 15
	s_cmp_gt_u32 s8, 1
	s_cselect_b64 s[42:43], -1, 0
	s_add_i32 s1, s1, 1
	s_mov_b32 s8, s13
	s_load_dwordx2 s[44:45], s[4:5], 0xf4
	s_load_dwordx2 s[46:47], s[4:5], 0x138
	s_and_b32 s13, s1, 3
	s_cmp_lg_u32 s0, 2
	s_cselect_b64 s[48:49], -1, 0
	s_and_b32 s15, s1, 28
	v_add_u32_e32 v19, 0x8ff34781, v12
	v_add_u32_e32 v20, 0x96a522ad, v13
	v_xor_b32_e32 v0, v7, v0
	v_xor_b32_e32 v1, v9, v4
	s_cmp_lg_u32 s13, 0
	s_mov_b32 s59, 0
	v_xor_b32_e32 v0, v19, v0
	v_xor_b32_e32 v2, v20, v1
	v_mov_b32_e32 v1, v6
	v_mov_b32_e32 v3, v8
	s_mov_b64 s[50:51], 0
	s_cselect_b64 s[52:53], -1, 0
	s_movk_i32 s62, 0x7fff
	v_mov_b32_e32 v39, v14
	v_mov_b32_e32 v40, v15
	s_branch .LBB67_9
.LBB67_7:                               ;   in Loop: Header=BB67_9 Depth=1
	v_mov_b32_e32 v1, v2
	v_ffbh_i32_e32 v7, v2
	v_xor_b32_e32 v2, v3, v2
	v_ashrrev_i32_e32 v2, 31, v2
	v_add_u32_e32 v7, -1, v7
	v_add_u32_e32 v2, 32, v2
	v_mov_b32_e32 v0, v3
	v_min_u32_e32 v2, v7, v2
	v_lshlrev_b64 v[0:1], v2, v[0:1]
	v_min_u32_e32 v0, 1, v0
	v_or_b32_e32 v0, v1, v0
	v_cvt_f32_i32_e32 v0, v0
	v_sub_u32_e32 v1, 32, v2
	v_ldexp_f32 v0, v0, v1
	v_bfe_u32 v1, v0, 16, 1
	v_add3_u32 v0, v0, v1, s62
	s_waitcnt lgkmcnt(0)
	global_store_short_d16_hi v8, v0, s[46:47]
.LBB67_8:                               ;   in Loop: Header=BB67_9 Depth=1
	s_or_b64 exec, exec, s[28:29]
	v_add_co_u32_e32 v14, vcc, s58, v14
	v_addc_co_u32_e32 v15, vcc, 0, v15, vcc
	v_mov_b32_e32 v7, v16
	v_cmp_le_i64_e32 vcc, s[26:27], v[14:15]
	v_pk_mov_b32 v[0:1], v[4:5], v[4:5] op_sel:[0,1]
	s_or_b64 s[50:51], vcc, s[50:51]
	v_pk_mov_b32 v[2:3], v[6:7], v[6:7] op_sel:[0,1]
	s_waitcnt lgkmcnt(0)
	s_barrier
	s_andn2_b64 exec, exec, s[50:51]
	s_cbranch_execz .LBB67_50
.LBB67_9:                               ; =>This Loop Header: Depth=1
                                        ;     Child Loop BB67_24 Depth 2
                                        ;     Child Loop BB67_30 Depth 2
	;; [unrolled: 1-line block ×4, first 2 shown]
	v_add_co_u32_e32 v29, vcc, 1, v29
	v_cndmask_b32_e64 v4, 0, 1, vcc
	v_addc_co_u32_e32 v30, vcc, 0, v30, vcc
	v_cmp_eq_u32_e32 vcc, 0, v30
	v_cndmask_b32_e32 v4, 0, v4, vcc
	v_add_u32_e32 v39, v4, v39
	v_cmp_eq_u32_e32 vcc, 0, v39
	v_cndmask_b32_e32 v4, 0, v4, vcc
	v_add_u32_e32 v40, v4, v40
	v_mad_u64_u32 v[4:5], s[0:1], v29, s60, 0
	v_mad_u64_u32 v[6:7], s[0:1], v39, s61, 0
	v_xor_b32_e32 v5, v5, v13
	v_xor_b32_e32 v7, v7, v12
	v_xor_b32_e32 v5, v40, v5
	v_xor_b32_e32 v7, v30, v7
	v_mad_u64_u32 v[10:11], s[0:1], v5, s61, 0
	v_mad_u64_u32 v[8:9], s[0:1], v7, s60, 0
	v_xor_b32_e32 v5, v28, v11
	v_xor_b32_e32 v5, v5, v6
	v_xor_b32_e32 v6, v31, v9
	v_xor_b32_e32 v6, v6, v4
	;; [unrolled: 6-line block ×10, first 2 shown]
	v_mov_b32_e32 v5, v10
	v_mov_b32_e32 v6, v11
	v_cmp_lt_i32_e32 vcc, 1, v18
	s_and_saveexec_b64 s[0:1], vcc
	s_xor_b64 s[0:1], exec, s[0:1]
	s_cbranch_execz .LBB67_15
; %bb.10:                               ;   in Loop: Header=BB67_9 Depth=1
	v_cmp_lt_i32_e32 vcc, 2, v18
	s_and_saveexec_b64 s[2:3], vcc
	s_xor_b64 s[2:3], exec, s[2:3]
; %bb.11:                               ;   in Loop: Header=BB67_9 Depth=1
	v_mov_b32_e32 v8, v3
	v_mov_b32_e32 v9, v4
	v_pk_mov_b32 v[0:1], v[8:9], v[8:9] op_sel:[0,1]
	v_pk_mov_b32 v[2:3], v[10:11], v[10:11] op_sel:[0,1]
                                        ; implicit-def: $vgpr10_vgpr11
; %bb.12:                               ;   in Loop: Header=BB67_9 Depth=1
	s_andn2_saveexec_b64 s[2:3], s[2:3]
; %bb.13:                               ;   in Loop: Header=BB67_9 Depth=1
	v_mov_b32_e32 v0, v2
	v_mov_b32_e32 v1, v3
	;; [unrolled: 1-line block ×4, first 2 shown]
; %bb.14:                               ;   in Loop: Header=BB67_9 Depth=1
	s_or_b64 exec, exec, s[2:3]
.LBB67_15:                              ;   in Loop: Header=BB67_9 Depth=1
	s_andn2_saveexec_b64 s[0:1], s[0:1]
	s_cbranch_execz .LBB67_19
; %bb.16:                               ;   in Loop: Header=BB67_9 Depth=1
	v_cmp_eq_u32_e32 vcc, 1, v18
	s_and_saveexec_b64 s[2:3], vcc
; %bb.17:                               ;   in Loop: Header=BB67_9 Depth=1
	v_mov_b32_e32 v0, v1
	v_mov_b32_e32 v1, v2
	;; [unrolled: 1-line block ×4, first 2 shown]
; %bb.18:                               ;   in Loop: Header=BB67_9 Depth=1
	s_or_b64 exec, exec, s[2:3]
.LBB67_19:                              ;   in Loop: Header=BB67_9 Depth=1
	s_or_b64 exec, exec, s[0:1]
	v_cndmask_b32_e64 v7, 0, 1, s[36:37]
	v_cmp_gt_i64_e32 vcc, s[24:25], v[14:15]
	v_cmp_ne_u32_e64 s[0:1], 1, v7
	s_and_saveexec_b64 s[2:3], vcc
	s_cbranch_execz .LBB67_35
; %bb.20:                               ;   in Loop: Header=BB67_9 Depth=1
	s_and_b64 vcc, exec, s[0:1]
	s_cbranch_vccnz .LBB67_26
; %bb.21:                               ;   in Loop: Header=BB67_9 Depth=1
	s_andn2_b64 vcc, exec, s[38:39]
	s_cbranch_vccnz .LBB67_27
; %bb.22:                               ;   in Loop: Header=BB67_9 Depth=1
	s_mov_b32 s6, 0
	s_andn2_b64 vcc, exec, s[48:49]
	v_mov_b32_e32 v8, 0
	s_cbranch_vccnz .LBB67_28
; %bb.23:                               ;   in Loop: Header=BB67_9 Depth=1
	s_mov_b32 s63, 0
	v_mov_b32_e32 v8, 0
	s_mov_b64 s[54:55], s[34:35]
	s_mov_b64 s[56:57], s[40:41]
	v_mov_b32_e32 v7, v14
.LBB67_24:                              ;   Parent Loop BB67_9 Depth=1
                                        ; =>  This Inner Loop Header: Depth=2
	s_load_dwordx8 s[16:23], s[54:55], 0x4
	s_load_dwordx4 s[4:7], s[54:55], 0x24
	s_load_dwordx4 s[28:31], s[56:57], 0x0
	s_add_u32 s54, s54, 48
	s_addc_u32 s55, s55, 0
	s_waitcnt lgkmcnt(0)
	v_mul_hi_u32 v9, s17, v7
	v_add_u32_e32 v9, v7, v9
	v_lshrrev_b32_e32 v9, s18, v9
	v_mul_lo_u32 v10, v9, s16
	v_mul_hi_u32 v11, s20, v9
	v_sub_u32_e32 v7, v7, v10
	v_add_u32_e32 v10, v9, v11
	v_lshrrev_b32_e32 v10, s21, v10
	v_mul_lo_u32 v11, v10, s19
	v_mul_hi_u32 v17, s23, v10
	v_sub_u32_e32 v9, v9, v11
	v_add_u32_e32 v11, v10, v17
	v_mul_lo_u32 v7, v7, s28
	v_mul_lo_u32 v9, v9, s29
	v_lshrrev_b32_e32 v11, s4, v11
	v_add3_u32 v8, v7, v8, v9
	v_mul_lo_u32 v7, v11, s22
	v_mul_hi_u32 v9, s6, v11
	v_sub_u32_e32 v7, v10, v7
	v_add_u32_e32 v9, v11, v9
	v_mul_lo_u32 v10, v7, s30
	v_lshrrev_b32_e32 v7, s7, v9
	s_add_i32 s63, s63, 4
	v_mul_lo_u32 v9, v7, s5
	s_add_u32 s56, s56, 16
	v_sub_u32_e32 v9, v11, v9
	s_addc_u32 s57, s57, 0
	v_mul_lo_u32 v9, v9, s31
	s_cmp_lg_u32 s15, s63
	v_add3_u32 v8, v10, v8, v9
	s_cbranch_scc1 .LBB67_24
; %bb.25:                               ;   in Loop: Header=BB67_9 Depth=1
	s_mov_b32 s6, s15
	s_andn2_b64 vcc, exec, s[52:53]
	s_cbranch_vccz .LBB67_29
	s_branch .LBB67_31
.LBB67_26:                              ;   in Loop: Header=BB67_9 Depth=1
                                        ; implicit-def: $vgpr8
	s_branch .LBB67_32
.LBB67_27:                              ;   in Loop: Header=BB67_9 Depth=1
	v_mov_b32_e32 v8, 0
	s_branch .LBB67_31
.LBB67_28:                              ;   in Loop: Header=BB67_9 Depth=1
	v_mov_b32_e32 v7, v14
	s_andn2_b64 vcc, exec, s[52:53]
	s_cbranch_vccnz .LBB67_31
.LBB67_29:                              ;   in Loop: Header=BB67_9 Depth=1
	s_lshl_b32 s4, s6, 2
	s_add_u32 s4, s40, s4
	s_addc_u32 s5, s41, 0
	s_mul_i32 s6, s6, 12
	s_add_u32 s6, s34, s6
	s_addc_u32 s7, s35, 0
	s_mov_b32 s16, s13
.LBB67_30:                              ;   Parent Loop BB67_9 Depth=1
                                        ; =>  This Inner Loop Header: Depth=2
	s_load_dwordx2 s[18:19], s[6:7], 0x4
	s_load_dword s17, s[6:7], 0xc
	s_load_dword s20, s[4:5], 0x0
	s_add_u32 s6, s6, 12
	s_addc_u32 s7, s7, 0
	s_waitcnt lgkmcnt(0)
	v_mul_hi_u32 v9, s19, v7
	v_add_u32_e32 v9, v7, v9
	v_lshrrev_b32_e32 v9, s17, v9
	s_add_u32 s4, s4, 4
	v_mul_lo_u32 v10, v9, s18
	s_addc_u32 s5, s5, 0
	s_add_i32 s16, s16, -1
	v_sub_u32_e32 v10, v7, v10
	s_cmp_lg_u32 s16, 0
	v_mov_b32_e32 v7, v9
	v_mad_u64_u32 v[8:9], s[18:19], v10, s20, v[8:9]
	s_cbranch_scc1 .LBB67_30
.LBB67_31:                              ;   in Loop: Header=BB67_9 Depth=1
	s_cbranch_execnz .LBB67_34
.LBB67_32:                              ;   in Loop: Header=BB67_9 Depth=1
	v_mul_hi_u32 v7, v14, s10
	v_add_u32_e32 v7, v7, v14
	v_lshrrev_b32_e32 v7, s11, v7
	v_mul_lo_u32 v8, v7, s9
	v_sub_u32_e32 v8, v14, v8
	s_andn2_b64 vcc, exec, s[42:43]
	s_waitcnt lgkmcnt(0)
	v_mul_lo_u32 v8, v8, s44
	s_cbranch_vccnz .LBB67_34
; %bb.33:                               ;   in Loop: Header=BB67_9 Depth=1
	v_mul_hi_u32 v9, s8, v7
	v_add_u32_e32 v9, v7, v9
	v_lshrrev_b32_e32 v9, s14, v9
	v_mul_lo_u32 v9, v9, s12
	v_sub_u32_e32 v7, v7, v9
	v_mad_u64_u32 v[8:9], s[4:5], v7, s45, v[8:9]
.LBB67_34:                              ;   in Loop: Header=BB67_9 Depth=1
	v_mov_b32_e32 v11, v0
	v_ffbh_i32_e32 v7, v0
	v_xor_b32_e32 v0, v1, v0
	v_ashrrev_i32_e32 v0, 31, v0
	v_add_u32_e32 v7, -1, v7
	v_add_u32_e32 v0, 32, v0
	v_mov_b32_e32 v10, v1
	v_min_u32_e32 v7, v7, v0
	v_lshlrev_b64 v[0:1], v7, v[10:11]
	v_min_u32_e32 v0, 1, v0
	v_or_b32_e32 v0, v1, v0
	v_cvt_f32_i32_e32 v0, v0
	v_sub_u32_e32 v1, 32, v7
	v_ldexp_f32 v0, v0, v1
	v_bfe_u32 v1, v0, 16, 1
	v_add3_u32 v0, v0, v1, s62
	s_waitcnt lgkmcnt(0)
	global_store_short_d16_hi v8, v0, s[46:47]
.LBB67_35:                              ;   in Loop: Header=BB67_9 Depth=1
	s_or_b64 exec, exec, s[2:3]
	v_mov_b32_e32 v1, s59
	v_add_co_u32_e32 v0, vcc, s33, v14
	v_addc_co_u32_e32 v1, vcc, v15, v1, vcc
	v_cmp_gt_i64_e32 vcc, s[24:25], v[0:1]
	s_and_saveexec_b64 s[28:29], vcc
	s_cbranch_execz .LBB67_8
; %bb.36:                               ;   in Loop: Header=BB67_9 Depth=1
	s_and_b64 vcc, exec, s[0:1]
	s_cbranch_vccnz .LBB67_42
; %bb.37:                               ;   in Loop: Header=BB67_9 Depth=1
	s_andn2_b64 vcc, exec, s[38:39]
	s_cbranch_vccnz .LBB67_43
; %bb.38:                               ;   in Loop: Header=BB67_9 Depth=1
	s_mov_b32 s2, 0
	s_andn2_b64 vcc, exec, s[48:49]
	v_mov_b32_e32 v8, 0
	s_cbranch_vccnz .LBB67_44
; %bb.39:                               ;   in Loop: Header=BB67_9 Depth=1
	s_mov_b32 s56, 0
	v_mov_b32_e32 v8, 0
	s_mov_b64 s[30:31], s[34:35]
	s_mov_b64 s[54:55], s[40:41]
	v_mov_b32_e32 v1, v0
.LBB67_40:                              ;   Parent Loop BB67_9 Depth=1
                                        ; =>  This Inner Loop Header: Depth=2
	s_load_dwordx8 s[0:7], s[30:31], 0x4
	s_load_dwordx4 s[16:19], s[30:31], 0x24
	s_load_dwordx4 s[20:23], s[54:55], 0x0
	s_add_u32 s30, s30, 48
	s_addc_u32 s31, s31, 0
	s_waitcnt lgkmcnt(0)
	v_mul_hi_u32 v7, s1, v1
	v_add_u32_e32 v7, v1, v7
	v_lshrrev_b32_e32 v7, s2, v7
	v_mul_lo_u32 v9, v7, s0
	v_mul_hi_u32 v10, s4, v7
	v_sub_u32_e32 v1, v1, v9
	v_add_u32_e32 v9, v7, v10
	v_lshrrev_b32_e32 v9, s5, v9
	v_mul_lo_u32 v10, v9, s3
	v_mul_hi_u32 v11, s7, v9
	v_sub_u32_e32 v7, v7, v10
	v_add_u32_e32 v10, v9, v11
	v_mul_lo_u32 v1, v1, s20
	v_mul_lo_u32 v7, v7, s21
	v_lshrrev_b32_e32 v10, s16, v10
	v_add3_u32 v7, v1, v8, v7
	v_mul_lo_u32 v1, v10, s6
	v_mul_hi_u32 v8, s18, v10
	v_sub_u32_e32 v1, v9, v1
	v_add_u32_e32 v8, v10, v8
	v_mul_lo_u32 v9, v1, s22
	v_lshrrev_b32_e32 v1, s19, v8
	s_add_i32 s56, s56, 4
	v_mul_lo_u32 v8, v1, s17
	s_add_u32 s54, s54, 16
	v_sub_u32_e32 v8, v10, v8
	s_addc_u32 s55, s55, 0
	v_mul_lo_u32 v8, v8, s23
	s_cmp_eq_u32 s15, s56
	v_add3_u32 v8, v9, v7, v8
	s_cbranch_scc0 .LBB67_40
; %bb.41:                               ;   in Loop: Header=BB67_9 Depth=1
	s_mov_b32 s2, s15
	s_andn2_b64 vcc, exec, s[52:53]
	s_cbranch_vccz .LBB67_45
	s_branch .LBB67_47
.LBB67_42:                              ;   in Loop: Header=BB67_9 Depth=1
                                        ; implicit-def: $vgpr8
	s_branch .LBB67_48
.LBB67_43:                              ;   in Loop: Header=BB67_9 Depth=1
	v_mov_b32_e32 v8, 0
	s_branch .LBB67_47
.LBB67_44:                              ;   in Loop: Header=BB67_9 Depth=1
	v_mov_b32_e32 v1, v0
	s_andn2_b64 vcc, exec, s[52:53]
	s_cbranch_vccnz .LBB67_47
.LBB67_45:                              ;   in Loop: Header=BB67_9 Depth=1
	s_lshl_b32 s0, s2, 2
	s_add_u32 s0, s40, s0
	s_addc_u32 s1, s41, 0
	s_mul_i32 s2, s2, 12
	s_add_u32 s2, s34, s2
	s_addc_u32 s3, s35, 0
	s_mov_b32 s4, s13
.LBB67_46:                              ;   Parent Loop BB67_9 Depth=1
                                        ; =>  This Inner Loop Header: Depth=2
	s_load_dwordx2 s[6:7], s[2:3], 0x4
	s_load_dword s5, s[2:3], 0xc
	s_load_dword s16, s[0:1], 0x0
	s_add_u32 s2, s2, 12
	s_addc_u32 s3, s3, 0
	s_waitcnt lgkmcnt(0)
	v_mul_hi_u32 v7, s7, v1
	v_add_u32_e32 v7, v1, v7
	v_lshrrev_b32_e32 v7, s5, v7
	s_add_u32 s0, s0, 4
	v_mul_lo_u32 v9, v7, s6
	s_addc_u32 s1, s1, 0
	s_add_i32 s4, s4, -1
	v_sub_u32_e32 v9, v1, v9
	s_cmp_lg_u32 s4, 0
	v_mov_b32_e32 v1, v7
	v_mad_u64_u32 v[8:9], s[6:7], v9, s16, v[8:9]
	s_cbranch_scc1 .LBB67_46
.LBB67_47:                              ;   in Loop: Header=BB67_9 Depth=1
	s_cbranch_execnz .LBB67_7
.LBB67_48:                              ;   in Loop: Header=BB67_9 Depth=1
	v_mul_hi_u32 v1, v0, s10
	v_add_u32_e32 v1, v1, v0
	v_lshrrev_b32_e32 v1, s11, v1
	v_mul_lo_u32 v7, v1, s9
	v_sub_u32_e32 v0, v0, v7
	s_andn2_b64 vcc, exec, s[42:43]
	s_waitcnt lgkmcnt(0)
	v_mul_lo_u32 v8, v0, s44
	s_cbranch_vccnz .LBB67_7
; %bb.49:                               ;   in Loop: Header=BB67_9 Depth=1
	v_mul_hi_u32 v0, s8, v1
	v_add_u32_e32 v0, v1, v0
	v_lshrrev_b32_e32 v0, s14, v0
	v_mul_lo_u32 v0, v0, s12
	v_sub_u32_e32 v0, v1, v0
	v_mad_u64_u32 v[8:9], s[0:1], v0, s45, v[8:9]
	s_branch .LBB67_7
.LBB67_50:
	s_endpgm
.LBB67_51:
                                        ; implicit-def: $sgpr2_sgpr3
	s_andn2_b64 vcc, exec, s[0:1]
	s_cbranch_vccz .LBB67_4
	s_branch .LBB67_5
	.section	.rodata,"a",@progbits
	.p2align	6, 0x0
	.amdhsa_kernel _ZN2at6native12_GLOBAL__N_143distribution_elementwise_grid_stride_kernelImLi2EZZZNS0_9templates4cuda32random_full_64_bits_range_kernelIPNS_17CUDAGeneratorImplEEEvRNS_18TensorIteratorBaseET_ENKUlvE_clEvENKUlvE6_clEvEUlP25hiprandStatePhilox4_32_10E_ZNS1_27distribution_nullary_kernelIN3c108BFloat16Em15HIP_vector_typeIyLj2EES7_SF_ZZZNS5_IS7_EEvS9_SA_ENKSB_clEvENKSC_clEvEUlmE_EEvS9_T2_RKT3_T4_EUlimE0_EEvlNS_15PhiloxCudaStateET1_SM_
		.amdhsa_group_segment_fixed_size 0
		.amdhsa_private_segment_fixed_size 0
		.amdhsa_kernarg_size 584
		.amdhsa_user_sgpr_count 6
		.amdhsa_user_sgpr_private_segment_buffer 1
		.amdhsa_user_sgpr_dispatch_ptr 0
		.amdhsa_user_sgpr_queue_ptr 0
		.amdhsa_user_sgpr_kernarg_segment_ptr 1
		.amdhsa_user_sgpr_dispatch_id 0
		.amdhsa_user_sgpr_flat_scratch_init 0
		.amdhsa_user_sgpr_kernarg_preload_length 0
		.amdhsa_user_sgpr_kernarg_preload_offset 0
		.amdhsa_user_sgpr_private_segment_size 0
		.amdhsa_uses_dynamic_stack 0
		.amdhsa_system_sgpr_private_segment_wavefront_offset 0
		.amdhsa_system_sgpr_workgroup_id_x 1
		.amdhsa_system_sgpr_workgroup_id_y 0
		.amdhsa_system_sgpr_workgroup_id_z 0
		.amdhsa_system_sgpr_workgroup_info 0
		.amdhsa_system_vgpr_workitem_id 0
		.amdhsa_next_free_vgpr 41
		.amdhsa_next_free_sgpr 64
		.amdhsa_accum_offset 44
		.amdhsa_reserve_vcc 1
		.amdhsa_reserve_flat_scratch 0
		.amdhsa_float_round_mode_32 0
		.amdhsa_float_round_mode_16_64 0
		.amdhsa_float_denorm_mode_32 3
		.amdhsa_float_denorm_mode_16_64 3
		.amdhsa_dx10_clamp 1
		.amdhsa_ieee_mode 1
		.amdhsa_fp16_overflow 0
		.amdhsa_tg_split 0
		.amdhsa_exception_fp_ieee_invalid_op 0
		.amdhsa_exception_fp_denorm_src 0
		.amdhsa_exception_fp_ieee_div_zero 0
		.amdhsa_exception_fp_ieee_overflow 0
		.amdhsa_exception_fp_ieee_underflow 0
		.amdhsa_exception_fp_ieee_inexact 0
		.amdhsa_exception_int_div_zero 0
	.end_amdhsa_kernel
	.section	.text._ZN2at6native12_GLOBAL__N_143distribution_elementwise_grid_stride_kernelImLi2EZZZNS0_9templates4cuda32random_full_64_bits_range_kernelIPNS_17CUDAGeneratorImplEEEvRNS_18TensorIteratorBaseET_ENKUlvE_clEvENKUlvE6_clEvEUlP25hiprandStatePhilox4_32_10E_ZNS1_27distribution_nullary_kernelIN3c108BFloat16Em15HIP_vector_typeIyLj2EES7_SF_ZZZNS5_IS7_EEvS9_SA_ENKSB_clEvENKSC_clEvEUlmE_EEvS9_T2_RKT3_T4_EUlimE0_EEvlNS_15PhiloxCudaStateET1_SM_,"axG",@progbits,_ZN2at6native12_GLOBAL__N_143distribution_elementwise_grid_stride_kernelImLi2EZZZNS0_9templates4cuda32random_full_64_bits_range_kernelIPNS_17CUDAGeneratorImplEEEvRNS_18TensorIteratorBaseET_ENKUlvE_clEvENKUlvE6_clEvEUlP25hiprandStatePhilox4_32_10E_ZNS1_27distribution_nullary_kernelIN3c108BFloat16Em15HIP_vector_typeIyLj2EES7_SF_ZZZNS5_IS7_EEvS9_SA_ENKSB_clEvENKSC_clEvEUlmE_EEvS9_T2_RKT3_T4_EUlimE0_EEvlNS_15PhiloxCudaStateET1_SM_,comdat
.Lfunc_end67:
	.size	_ZN2at6native12_GLOBAL__N_143distribution_elementwise_grid_stride_kernelImLi2EZZZNS0_9templates4cuda32random_full_64_bits_range_kernelIPNS_17CUDAGeneratorImplEEEvRNS_18TensorIteratorBaseET_ENKUlvE_clEvENKUlvE6_clEvEUlP25hiprandStatePhilox4_32_10E_ZNS1_27distribution_nullary_kernelIN3c108BFloat16Em15HIP_vector_typeIyLj2EES7_SF_ZZZNS5_IS7_EEvS9_SA_ENKSB_clEvENKSC_clEvEUlmE_EEvS9_T2_RKT3_T4_EUlimE0_EEvlNS_15PhiloxCudaStateET1_SM_, .Lfunc_end67-_ZN2at6native12_GLOBAL__N_143distribution_elementwise_grid_stride_kernelImLi2EZZZNS0_9templates4cuda32random_full_64_bits_range_kernelIPNS_17CUDAGeneratorImplEEEvRNS_18TensorIteratorBaseET_ENKUlvE_clEvENKUlvE6_clEvEUlP25hiprandStatePhilox4_32_10E_ZNS1_27distribution_nullary_kernelIN3c108BFloat16Em15HIP_vector_typeIyLj2EES7_SF_ZZZNS5_IS7_EEvS9_SA_ENKSB_clEvENKSC_clEvEUlmE_EEvS9_T2_RKT3_T4_EUlimE0_EEvlNS_15PhiloxCudaStateET1_SM_
                                        ; -- End function
	.section	.AMDGPU.csdata,"",@progbits
; Kernel info:
; codeLenInByte = 3360
; NumSgprs: 68
; NumVgprs: 41
; NumAgprs: 0
; TotalNumVgprs: 41
; ScratchSize: 0
; MemoryBound: 0
; FloatMode: 240
; IeeeMode: 1
; LDSByteSize: 0 bytes/workgroup (compile time only)
; SGPRBlocks: 8
; VGPRBlocks: 5
; NumSGPRsForWavesPerEU: 68
; NumVGPRsForWavesPerEU: 41
; AccumOffset: 44
; Occupancy: 8
; WaveLimiterHint : 1
; COMPUTE_PGM_RSRC2:SCRATCH_EN: 0
; COMPUTE_PGM_RSRC2:USER_SGPR: 6
; COMPUTE_PGM_RSRC2:TRAP_HANDLER: 0
; COMPUTE_PGM_RSRC2:TGID_X_EN: 1
; COMPUTE_PGM_RSRC2:TGID_Y_EN: 0
; COMPUTE_PGM_RSRC2:TGID_Z_EN: 0
; COMPUTE_PGM_RSRC2:TIDIG_COMP_CNT: 0
; COMPUTE_PGM_RSRC3_GFX90A:ACCUM_OFFSET: 10
; COMPUTE_PGM_RSRC3_GFX90A:TG_SPLIT: 0
	.section	.text._ZN2at6native12_GLOBAL__N_143distribution_elementwise_grid_stride_kernelImLi2EZZZNS0_9templates4cuda13random_kernelIPNS_17CUDAGeneratorImplEEEvRNS_18TensorIteratorBaseET_ENKUlvE_clEvENKUlvE_clEvEUlP25hiprandStatePhilox4_32_10E_ZNS1_27distribution_nullary_kernelIhm15HIP_vector_typeIyLj2EES7_SF_ZZZNS5_IS7_EEvS9_SA_ENKSB_clEvENKSC_clEvEUlmE_EEvS9_T2_RKT3_T4_EUlimE_EEvlNS_15PhiloxCudaStateET1_SK_,"axG",@progbits,_ZN2at6native12_GLOBAL__N_143distribution_elementwise_grid_stride_kernelImLi2EZZZNS0_9templates4cuda13random_kernelIPNS_17CUDAGeneratorImplEEEvRNS_18TensorIteratorBaseET_ENKUlvE_clEvENKUlvE_clEvEUlP25hiprandStatePhilox4_32_10E_ZNS1_27distribution_nullary_kernelIhm15HIP_vector_typeIyLj2EES7_SF_ZZZNS5_IS7_EEvS9_SA_ENKSB_clEvENKSC_clEvEUlmE_EEvS9_T2_RKT3_T4_EUlimE_EEvlNS_15PhiloxCudaStateET1_SK_,comdat
	.globl	_ZN2at6native12_GLOBAL__N_143distribution_elementwise_grid_stride_kernelImLi2EZZZNS0_9templates4cuda13random_kernelIPNS_17CUDAGeneratorImplEEEvRNS_18TensorIteratorBaseET_ENKUlvE_clEvENKUlvE_clEvEUlP25hiprandStatePhilox4_32_10E_ZNS1_27distribution_nullary_kernelIhm15HIP_vector_typeIyLj2EES7_SF_ZZZNS5_IS7_EEvS9_SA_ENKSB_clEvENKSC_clEvEUlmE_EEvS9_T2_RKT3_T4_EUlimE_EEvlNS_15PhiloxCudaStateET1_SK_ ; -- Begin function _ZN2at6native12_GLOBAL__N_143distribution_elementwise_grid_stride_kernelImLi2EZZZNS0_9templates4cuda13random_kernelIPNS_17CUDAGeneratorImplEEEvRNS_18TensorIteratorBaseET_ENKUlvE_clEvENKUlvE_clEvEUlP25hiprandStatePhilox4_32_10E_ZNS1_27distribution_nullary_kernelIhm15HIP_vector_typeIyLj2EES7_SF_ZZZNS5_IS7_EEvS9_SA_ENKSB_clEvENKSC_clEvEUlmE_EEvS9_T2_RKT3_T4_EUlimE_EEvlNS_15PhiloxCudaStateET1_SK_
	.p2align	8
	.type	_ZN2at6native12_GLOBAL__N_143distribution_elementwise_grid_stride_kernelImLi2EZZZNS0_9templates4cuda13random_kernelIPNS_17CUDAGeneratorImplEEEvRNS_18TensorIteratorBaseET_ENKUlvE_clEvENKUlvE_clEvEUlP25hiprandStatePhilox4_32_10E_ZNS1_27distribution_nullary_kernelIhm15HIP_vector_typeIyLj2EES7_SF_ZZZNS5_IS7_EEvS9_SA_ENKSB_clEvENKSC_clEvEUlmE_EEvS9_T2_RKT3_T4_EUlimE_EEvlNS_15PhiloxCudaStateET1_SK_,@function
_ZN2at6native12_GLOBAL__N_143distribution_elementwise_grid_stride_kernelImLi2EZZZNS0_9templates4cuda13random_kernelIPNS_17CUDAGeneratorImplEEEvRNS_18TensorIteratorBaseET_ENKUlvE_clEvENKUlvE_clEvEUlP25hiprandStatePhilox4_32_10E_ZNS1_27distribution_nullary_kernelIhm15HIP_vector_typeIyLj2EES7_SF_ZZZNS5_IS7_EEvS9_SA_ENKSB_clEvENKSC_clEvEUlmE_EEvS9_T2_RKT3_T4_EUlimE_EEvlNS_15PhiloxCudaStateET1_SK_: ; @_ZN2at6native12_GLOBAL__N_143distribution_elementwise_grid_stride_kernelImLi2EZZZNS0_9templates4cuda13random_kernelIPNS_17CUDAGeneratorImplEEEvRNS_18TensorIteratorBaseET_ENKUlvE_clEvENKUlvE_clEvEUlP25hiprandStatePhilox4_32_10E_ZNS1_27distribution_nullary_kernelIhm15HIP_vector_typeIyLj2EES7_SF_ZZZNS5_IS7_EEvS9_SA_ENKSB_clEvENKSC_clEvEUlmE_EEvS9_T2_RKT3_T4_EUlimE_EEvlNS_15PhiloxCudaStateET1_SK_
; %bb.0:
	s_load_dword s7, s[4:5], 0x20
	s_load_dwordx2 s[10:11], s[4:5], 0x10
	s_load_dwordx4 s[0:3], s[4:5], 0x0
	s_mov_b32 s8, 0
	s_waitcnt lgkmcnt(0)
	s_bitcmp0_b32 s7, 0
	v_pk_mov_b32 v[2:3], s[10:11], s[10:11] op_sel:[0,1]
	v_pk_mov_b32 v[12:13], s[2:3], s[2:3] op_sel:[0,1]
	s_cbranch_scc1 .LBB68_2
; %bb.1:
	v_pk_mov_b32 v[2:3], s[10:11], s[10:11] op_sel:[0,1]
	flat_load_dwordx2 v[2:3], v[2:3]
	v_pk_mov_b32 v[4:5], s[2:3], s[2:3] op_sel:[0,1]
	flat_load_dwordx2 v[12:13], v[4:5]
	s_load_dwordx2 s[2:3], s[4:5], 0x18
	s_waitcnt lgkmcnt(0)
	v_mov_b32_e32 v1, s3
	s_waitcnt vmcnt(0)
	v_add_co_u32_e32 v2, vcc, s2, v2
	v_addc_co_u32_e32 v3, vcc, v3, v1, vcc
.LBB68_2:
	s_load_dword s2, s[4:5], 0x4c
	s_load_dword s10, s[4:5], 0x40
	s_waitcnt lgkmcnt(0)
	s_and_b32 s7, s2, 0xffff
	s_add_u32 s11, s0, -1
	s_mul_i32 s12, s10, s7
	s_addc_u32 s9, s1, -1
	s_lshl_b32 s13, s12, 1
	s_cmp_lg_u64 s[8:9], 0
	s_mov_b64 s[2:3], -1
	s_cbranch_scc0 .LBB68_23
; %bb.3:
	v_cvt_f32_u32_e32 v1, s13
	v_cvt_f32_ubyte0_e32 v4, 0
	s_sub_u32 s8, 0, s13
	s_subb_u32 s14, 0, 0
	v_madmk_f32 v1, v4, 0x4f800000, v1
	v_rcp_f32_e32 v1, v1
	v_mul_f32_e32 v1, 0x5f7ffffc, v1
	v_mul_f32_e32 v4, 0x2f800000, v1
	v_trunc_f32_e32 v4, v4
	v_madmk_f32 v1, v4, 0xcf800000, v1
	v_cvt_u32_f32_e32 v4, v4
	v_cvt_u32_f32_e32 v1, v1
	v_readfirstlane_b32 s15, v4
	v_readfirstlane_b32 s16, v1
	s_mul_i32 s17, s8, s15
	s_mul_hi_u32 s19, s8, s16
	s_mul_i32 s18, s14, s16
	s_add_i32 s17, s19, s17
	s_add_i32 s17, s17, s18
	s_mul_i32 s20, s8, s16
	s_mul_hi_u32 s18, s16, s17
	s_mul_i32 s19, s16, s17
	s_mul_hi_u32 s16, s16, s20
	s_add_u32 s16, s16, s19
	s_addc_u32 s18, 0, s18
	s_mul_hi_u32 s21, s15, s20
	s_mul_i32 s20, s15, s20
	s_add_u32 s16, s16, s20
	s_mul_hi_u32 s19, s15, s17
	s_addc_u32 s16, s18, s21
	s_addc_u32 s18, s19, 0
	s_mul_i32 s17, s15, s17
	s_add_u32 s16, s16, s17
	s_addc_u32 s17, 0, s18
	v_add_co_u32_e32 v1, vcc, s16, v1
	s_cmp_lg_u64 vcc, 0
	s_addc_u32 s15, s15, s17
	v_readfirstlane_b32 s17, v1
	s_mul_i32 s16, s8, s15
	s_mul_hi_u32 s18, s8, s17
	s_add_i32 s16, s18, s16
	s_mul_i32 s14, s14, s17
	s_add_i32 s16, s16, s14
	s_mul_i32 s8, s8, s17
	s_mul_hi_u32 s18, s15, s8
	s_mul_i32 s19, s15, s8
	s_mul_i32 s21, s17, s16
	s_mul_hi_u32 s8, s17, s8
	s_mul_hi_u32 s20, s17, s16
	s_add_u32 s8, s8, s21
	s_addc_u32 s17, 0, s20
	s_add_u32 s8, s8, s19
	s_mul_hi_u32 s14, s15, s16
	s_addc_u32 s8, s17, s18
	s_addc_u32 s14, s14, 0
	s_mul_i32 s16, s15, s16
	s_add_u32 s8, s8, s16
	s_addc_u32 s14, 0, s14
	v_add_co_u32_e32 v1, vcc, s8, v1
	s_cmp_lg_u64 vcc, 0
	s_addc_u32 s16, s15, s14
	s_ashr_i32 s14, s9, 31
	s_add_u32 s8, s11, s14
	s_mov_b32 s15, s14
	s_addc_u32 s9, s9, s14
	s_xor_b64 s[8:9], s[8:9], s[14:15]
	v_readfirstlane_b32 s19, v1
	s_mul_i32 s18, s8, s16
	s_mul_hi_u32 s20, s8, s19
	s_mul_hi_u32 s17, s8, s16
	s_add_u32 s18, s20, s18
	s_addc_u32 s17, 0, s17
	s_mul_hi_u32 s21, s9, s19
	s_mul_i32 s19, s9, s19
	s_add_u32 s18, s18, s19
	s_mul_hi_u32 s20, s9, s16
	s_addc_u32 s17, s17, s21
	s_addc_u32 s18, s20, 0
	s_mul_i32 s16, s9, s16
	s_add_u32 s16, s17, s16
	s_addc_u32 s17, 0, s18
	s_add_u32 s18, s16, 1
	s_addc_u32 s19, s17, 0
	s_add_u32 s20, s16, 2
	s_mul_i32 s22, s13, s17
	s_mul_hi_u32 s23, s13, s16
	s_addc_u32 s21, s17, 0
	s_add_i32 s23, s23, s22
	s_mul_i32 s22, s13, s16
	v_mov_b32_e32 v1, s22
	v_sub_co_u32_e32 v1, vcc, s8, v1
	s_cmp_lg_u64 vcc, 0
	s_subb_u32 s8, s9, s23
	v_subrev_co_u32_e32 v4, vcc, s13, v1
	s_cmp_lg_u64 vcc, 0
	s_subb_u32 s9, s8, 0
	v_readfirstlane_b32 s22, v4
	s_cmp_ge_u32 s22, s13
	s_cselect_b32 s22, -1, 0
	s_cmp_eq_u32 s9, 0
	s_cselect_b32 s9, s22, -1
	s_cmp_lg_u32 s9, 0
	s_cselect_b32 s9, s21, s19
	v_readfirstlane_b32 s19, v1
	s_cselect_b32 s18, s20, s18
	s_cmp_ge_u32 s19, s13
	s_cselect_b32 s19, -1, 0
	s_cmp_eq_u32 s8, 0
	s_cselect_b32 s8, s19, -1
	s_cmp_lg_u32 s8, 0
	s_cselect_b32 s9, s9, s17
	s_cselect_b32 s8, s18, s16
	s_xor_b64 s[8:9], s[8:9], s[14:15]
	s_sub_u32 s8, s8, s14
	s_subb_u32 s9, s9, s14
	s_cbranch_execnz .LBB68_5
.LBB68_4:
	v_cvt_f32_u32_e32 v1, s13
	s_sub_i32 s2, 0, s13
	s_mov_b32 s9, 0
	v_rcp_iflag_f32_e32 v1, v1
	v_mul_f32_e32 v1, 0x4f7ffffe, v1
	v_cvt_u32_f32_e32 v1, v1
	v_readfirstlane_b32 s3, v1
	s_mul_i32 s2, s2, s3
	s_mul_hi_u32 s2, s3, s2
	s_add_i32 s3, s3, s2
	s_mul_hi_u32 s2, s11, s3
	s_mul_i32 s8, s2, s13
	s_sub_i32 s8, s11, s8
	s_add_i32 s3, s2, 1
	s_sub_i32 s11, s8, s13
	s_cmp_ge_u32 s8, s13
	s_cselect_b32 s2, s3, s2
	s_cselect_b32 s8, s11, s8
	s_add_i32 s3, s2, 1
	s_cmp_ge_u32 s8, s13
	s_cselect_b32 s8, s3, s2
.LBB68_5:
	v_mov_b32_e32 v1, 0
	v_mov_b32_e32 v4, s6
	v_mad_u64_u32 v[14:15], s[2:3], s7, v4, v[0:1]
	s_add_u32 s2, s8, 1
	s_addc_u32 s3, s9, 0
	s_mul_hi_u32 s8, s10, s7
	s_mul_i32 s3, s12, s3
	s_mul_hi_u32 s9, s12, s2
	s_add_i32 s3, s9, s3
	s_mul_i32 s8, s8, s2
	s_add_i32 s3, s3, s8
	s_mul_i32 s2, s12, s2
	s_lshl_b64 s[2:3], s[2:3], 1
	v_cmp_gt_i64_e32 vcc, s[2:3], v[14:15]
	s_and_saveexec_b64 s[8:9], vcc
	s_cbranch_execz .LBB68_22
; %bb.6:
	s_load_dwordx2 s[8:9], s[4:5], 0x30
	s_load_dword s11, s[4:5], 0x38
	s_mov_b32 s4, 0x5384540f
	v_mov_b32_e32 v4, v13
	v_add_co_u32_e32 v20, vcc, s4, v12
	s_mov_b32 s4, 0x646e171e
	v_add_co_u32_e32 v21, vcc, s4, v4
	s_mov_b32 s4, 0x1715609d
	;; [unrolled: 2-line block ×6, first 2 shown]
	v_alignbit_b32 v27, v3, v2, 2
	s_mov_b32 s15, 0xd2511f53
	v_add_co_u32_e32 v26, vcc, s4, v12
	v_mad_u64_u32 v[6:7], s[4:5], v27, s15, 0
	v_xor_b32_e32 v1, v7, v13
	v_xor_b32_e32 v1, v1, v15
	s_mov_b32 s16, 0xcd9e8d57
	v_mad_u64_u32 v[8:9], s[4:5], v1, s16, 0
	v_xor_b32_e32 v1, v26, v9
	v_mad_u64_u32 v[10:11], s[4:5], v14, s16, 0
	v_and_b32_e32 v16, 3, v2
	v_xor_b32_e32 v1, v1, v10
	v_xor_b32_e32 v2, v12, v11
	v_lshrrev_b32_e32 v28, 2, v3
	v_mad_u64_u32 v[32:33], s[4:5], v1, s15, 0
	v_xor_b32_e32 v2, v2, v28
	v_xor_b32_e32 v1, v25, v33
	v_mad_u64_u32 v[2:3], s[4:5], v2, s15, 0
	v_xor_b32_e32 v1, v1, v2
	v_mad_u64_u32 v[10:11], s[4:5], v1, s16, 0
	s_mov_b32 s4, 0xbb67ae85
	v_add_co_u32_e32 v29, vcc, s4, v4
	v_xor_b32_e32 v2, v29, v3
	v_xor_b32_e32 v2, v2, v6
	v_xor_b32_e32 v1, v24, v11
	v_mad_u64_u32 v[2:3], s[4:5], v2, s16, 0
	v_xor_b32_e32 v1, v1, v2
	v_mad_u64_u32 v[6:7], s[4:5], v1, s15, 0
	s_mov_b32 s4, 0x3c6ef372
	v_add_co_u32_e32 v30, vcc, s4, v12
	v_xor_b32_e32 v2, v30, v3
	;; [unrolled: 8-line block ×6, first 2 shown]
	v_add_co_u32_e32 v19, vcc, 0xdb3d7428, v4
	v_xor_b32_e32 v2, v2, v8
	v_xor_b32_e32 v1, v19, v7
	v_mad_u64_u32 v[2:3], s[4:5], v2, s15, 0
	v_xor_b32_e32 v1, v1, v2
	v_mad_u64_u32 v[8:9], s[4:5], v1, s16, 0
	s_mov_b32 s4, 0x1fd5c5a3
	v_add_co_u32_e32 v35, vcc, s4, v4
	v_xor_b32_e32 v1, v35, v3
	v_xor_b32_e32 v1, v1, v36
	v_mad_u64_u32 v[2:3], s[4:5], v1, s16, 0
	s_mov_b32 s4, 0xf1bbcdc8
	v_add_co_u32_e32 v36, vcc, s4, v12
	v_xor_b32_e32 v1, v36, v3
	v_xor_b32_e32 v1, v1, v10
	v_mad_u64_u32 v[4:5], s[4:5], v1, s15, 0
	s_mul_i32 s4, s6, s7
	v_mov_b32_e32 v3, v4
	v_add_u32_e32 v4, s4, v0
	s_waitcnt lgkmcnt(0)
	s_mul_i32 s4, s10, s11
	s_mul_i32 s4, s4, s7
	s_lshl_b32 s17, s4, 1
	s_add_i32 s4, s6, s10
	s_mul_i32 s4, s4, s7
	s_mov_b32 s14, 0
	v_add_u32_e32 v18, 0x96a522ad, v13
	v_xor_b32_e32 v1, v5, v6
	v_add_u32_e32 v0, s4, v0
	v_add_u32_e32 v17, 0x8ff34781, v12
	v_xor_b32_e32 v2, v18, v1
	v_mov_b32_e32 v1, v8
	v_mul_lo_u32 v37, s11, v4
	v_mul_lo_u32 v38, s11, v0
	s_mov_b64 s[4:5], 0
	s_mov_b32 s18, s14
	v_mov_b32_e32 v39, v14
	v_mov_b32_e32 v40, v15
	s_branch .LBB68_8
.LBB68_7:                               ;   in Loop: Header=BB68_8 Depth=1
	s_or_b64 exec, exec, s[6:7]
	v_add_co_u32_e32 v14, vcc, s13, v14
	v_addc_co_u32_e32 v15, vcc, 0, v15, vcc
	v_mov_b32_e32 v7, v4
	s_add_i32 s18, s18, s17
	v_cmp_le_i64_e32 vcc, s[2:3], v[14:15]
	v_pk_mov_b32 v[0:1], v[4:5], v[4:5] op_sel:[0,1]
	s_or_b64 s[4:5], vcc, s[4:5]
	v_pk_mov_b32 v[2:3], v[6:7], v[6:7] op_sel:[0,1]
	s_barrier
	s_andn2_b64 exec, exec, s[4:5]
	s_cbranch_execz .LBB68_22
.LBB68_8:                               ; =>This Inner Loop Header: Depth=1
	v_add_co_u32_e32 v27, vcc, 1, v27
	v_cndmask_b32_e64 v0, 0, 1, vcc
	v_addc_co_u32_e32 v28, vcc, 0, v28, vcc
	v_cmp_eq_u32_e32 vcc, 0, v28
	v_cndmask_b32_e32 v0, 0, v0, vcc
	v_add_u32_e32 v39, v0, v39
	v_cmp_eq_u32_e32 vcc, 0, v39
	v_cndmask_b32_e32 v0, 0, v0, vcc
	v_mad_u64_u32 v[4:5], s[6:7], v27, s15, 0
	v_add_u32_e32 v40, v0, v40
	v_mad_u64_u32 v[6:7], s[6:7], v39, s16, 0
	v_xor_b32_e32 v5, v5, v13
	v_xor_b32_e32 v0, v7, v12
	v_xor_b32_e32 v5, v40, v5
	v_xor_b32_e32 v0, v28, v0
	v_mad_u64_u32 v[10:11], s[6:7], v5, s16, 0
	v_mad_u64_u32 v[8:9], s[6:7], v0, s15, 0
	v_xor_b32_e32 v0, v26, v11
	v_xor_b32_e32 v0, v0, v6
	v_xor_b32_e32 v5, v29, v9
	v_xor_b32_e32 v6, v5, v4
	v_mad_u64_u32 v[4:5], s[6:7], v0, s15, 0
	;; [unrolled: 6-line block ×9, first 2 shown]
	v_mad_u64_u32 v[4:5], s[6:7], v0, s15, 0
	v_xor_b32_e32 v0, v11, v42
	v_xor_b32_e32 v8, v17, v0
	;; [unrolled: 1-line block ×4, first 2 shown]
	v_mov_b32_e32 v5, v10
	v_mov_b32_e32 v6, v9
	v_cmp_lt_i32_e32 vcc, 1, v16
	s_and_saveexec_b64 s[6:7], vcc
	s_xor_b64 s[6:7], exec, s[6:7]
	s_cbranch_execnz .LBB68_14
; %bb.9:                                ;   in Loop: Header=BB68_8 Depth=1
	s_andn2_saveexec_b64 s[6:7], s[6:7]
	s_cbranch_execnz .LBB68_19
.LBB68_10:                              ;   in Loop: Header=BB68_8 Depth=1
	s_or_b64 exec, exec, s[6:7]
	v_cmp_gt_i64_e32 vcc, s[0:1], v[14:15]
	s_and_saveexec_b64 s[6:7], vcc
	s_cbranch_execz .LBB68_12
.LBB68_11:                              ;   in Loop: Header=BB68_8 Depth=1
	v_add_u32_e32 v0, s18, v37
	v_ashrrev_i32_e32 v2, 31, v0
	v_mov_b32_e32 v7, s9
	v_add_co_u32_e32 v8, vcc, s8, v0
	v_addc_co_u32_e32 v9, vcc, v7, v2, vcc
	global_store_byte v[8:9], v1, off
.LBB68_12:                              ;   in Loop: Header=BB68_8 Depth=1
	s_or_b64 exec, exec, s[6:7]
	v_mov_b32_e32 v1, s14
	v_add_co_u32_e32 v0, vcc, s12, v14
	v_addc_co_u32_e32 v1, vcc, v1, v15, vcc
	v_cmp_gt_i64_e32 vcc, s[0:1], v[0:1]
	s_and_saveexec_b64 s[6:7], vcc
	s_cbranch_execz .LBB68_7
; %bb.13:                               ;   in Loop: Header=BB68_8 Depth=1
	v_add_u32_e32 v0, s18, v38
	v_ashrrev_i32_e32 v1, 31, v0
	v_mov_b32_e32 v2, s9
	v_add_co_u32_e32 v0, vcc, s8, v0
	v_addc_co_u32_e32 v1, vcc, v2, v1, vcc
	global_store_byte v[0:1], v3, off
	s_branch .LBB68_7
.LBB68_14:                              ;   in Loop: Header=BB68_8 Depth=1
	v_cmp_lt_i32_e32 vcc, 2, v16
	s_and_saveexec_b64 s[10:11], vcc
	s_xor_b64 s[10:11], exec, s[10:11]
; %bb.15:                               ;   in Loop: Header=BB68_8 Depth=1
	v_mov_b32_e32 v7, v8
	v_pk_mov_b32 v[0:1], v[6:7], v[6:7] op_sel:[0,1]
	v_pk_mov_b32 v[2:3], v[8:9], v[8:9] op_sel:[0,1]
                                        ; implicit-def: $vgpr10_vgpr11
; %bb.16:                               ;   in Loop: Header=BB68_8 Depth=1
	s_andn2_saveexec_b64 s[10:11], s[10:11]
; %bb.17:                               ;   in Loop: Header=BB68_8 Depth=1
	v_mov_b32_e32 v1, v3
	v_mov_b32_e32 v3, v10
; %bb.18:                               ;   in Loop: Header=BB68_8 Depth=1
	s_or_b64 exec, exec, s[10:11]
                                        ; implicit-def: $vgpr8_vgpr9_vgpr10_vgpr11
	s_andn2_saveexec_b64 s[6:7], s[6:7]
	s_cbranch_execz .LBB68_10
.LBB68_19:                              ;   in Loop: Header=BB68_8 Depth=1
	v_cmp_eq_u32_e32 vcc, 1, v16
	s_and_saveexec_b64 s[10:11], vcc
; %bb.20:                               ;   in Loop: Header=BB68_8 Depth=1
	v_mov_b32_e32 v1, v2
	v_mov_b32_e32 v3, v8
; %bb.21:                               ;   in Loop: Header=BB68_8 Depth=1
	s_or_b64 exec, exec, s[10:11]
	s_or_b64 exec, exec, s[6:7]
	v_cmp_gt_i64_e32 vcc, s[0:1], v[14:15]
	s_and_saveexec_b64 s[6:7], vcc
	s_cbranch_execnz .LBB68_11
	s_branch .LBB68_12
.LBB68_22:
	s_endpgm
.LBB68_23:
                                        ; implicit-def: $sgpr8_sgpr9
	s_andn2_b64 vcc, exec, s[2:3]
	s_cbranch_vccz .LBB68_4
	s_branch .LBB68_5
	.section	.rodata,"a",@progbits
	.p2align	6, 0x0
	.amdhsa_kernel _ZN2at6native12_GLOBAL__N_143distribution_elementwise_grid_stride_kernelImLi2EZZZNS0_9templates4cuda13random_kernelIPNS_17CUDAGeneratorImplEEEvRNS_18TensorIteratorBaseET_ENKUlvE_clEvENKUlvE_clEvEUlP25hiprandStatePhilox4_32_10E_ZNS1_27distribution_nullary_kernelIhm15HIP_vector_typeIyLj2EES7_SF_ZZZNS5_IS7_EEvS9_SA_ENKSB_clEvENKSC_clEvEUlmE_EEvS9_T2_RKT3_T4_EUlimE_EEvlNS_15PhiloxCudaStateET1_SK_
		.amdhsa_group_segment_fixed_size 0
		.amdhsa_private_segment_fixed_size 0
		.amdhsa_kernarg_size 320
		.amdhsa_user_sgpr_count 6
		.amdhsa_user_sgpr_private_segment_buffer 1
		.amdhsa_user_sgpr_dispatch_ptr 0
		.amdhsa_user_sgpr_queue_ptr 0
		.amdhsa_user_sgpr_kernarg_segment_ptr 1
		.amdhsa_user_sgpr_dispatch_id 0
		.amdhsa_user_sgpr_flat_scratch_init 0
		.amdhsa_user_sgpr_kernarg_preload_length 0
		.amdhsa_user_sgpr_kernarg_preload_offset 0
		.amdhsa_user_sgpr_private_segment_size 0
		.amdhsa_uses_dynamic_stack 0
		.amdhsa_system_sgpr_private_segment_wavefront_offset 0
		.amdhsa_system_sgpr_workgroup_id_x 1
		.amdhsa_system_sgpr_workgroup_id_y 0
		.amdhsa_system_sgpr_workgroup_id_z 0
		.amdhsa_system_sgpr_workgroup_info 0
		.amdhsa_system_vgpr_workitem_id 0
		.amdhsa_next_free_vgpr 44
		.amdhsa_next_free_sgpr 24
		.amdhsa_accum_offset 44
		.amdhsa_reserve_vcc 1
		.amdhsa_reserve_flat_scratch 0
		.amdhsa_float_round_mode_32 0
		.amdhsa_float_round_mode_16_64 0
		.amdhsa_float_denorm_mode_32 3
		.amdhsa_float_denorm_mode_16_64 3
		.amdhsa_dx10_clamp 1
		.amdhsa_ieee_mode 1
		.amdhsa_fp16_overflow 0
		.amdhsa_tg_split 0
		.amdhsa_exception_fp_ieee_invalid_op 0
		.amdhsa_exception_fp_denorm_src 0
		.amdhsa_exception_fp_ieee_div_zero 0
		.amdhsa_exception_fp_ieee_overflow 0
		.amdhsa_exception_fp_ieee_underflow 0
		.amdhsa_exception_fp_ieee_inexact 0
		.amdhsa_exception_int_div_zero 0
	.end_amdhsa_kernel
	.section	.text._ZN2at6native12_GLOBAL__N_143distribution_elementwise_grid_stride_kernelImLi2EZZZNS0_9templates4cuda13random_kernelIPNS_17CUDAGeneratorImplEEEvRNS_18TensorIteratorBaseET_ENKUlvE_clEvENKUlvE_clEvEUlP25hiprandStatePhilox4_32_10E_ZNS1_27distribution_nullary_kernelIhm15HIP_vector_typeIyLj2EES7_SF_ZZZNS5_IS7_EEvS9_SA_ENKSB_clEvENKSC_clEvEUlmE_EEvS9_T2_RKT3_T4_EUlimE_EEvlNS_15PhiloxCudaStateET1_SK_,"axG",@progbits,_ZN2at6native12_GLOBAL__N_143distribution_elementwise_grid_stride_kernelImLi2EZZZNS0_9templates4cuda13random_kernelIPNS_17CUDAGeneratorImplEEEvRNS_18TensorIteratorBaseET_ENKUlvE_clEvENKUlvE_clEvEUlP25hiprandStatePhilox4_32_10E_ZNS1_27distribution_nullary_kernelIhm15HIP_vector_typeIyLj2EES7_SF_ZZZNS5_IS7_EEvS9_SA_ENKSB_clEvENKSC_clEvEUlmE_EEvS9_T2_RKT3_T4_EUlimE_EEvlNS_15PhiloxCudaStateET1_SK_,comdat
.Lfunc_end68:
	.size	_ZN2at6native12_GLOBAL__N_143distribution_elementwise_grid_stride_kernelImLi2EZZZNS0_9templates4cuda13random_kernelIPNS_17CUDAGeneratorImplEEEvRNS_18TensorIteratorBaseET_ENKUlvE_clEvENKUlvE_clEvEUlP25hiprandStatePhilox4_32_10E_ZNS1_27distribution_nullary_kernelIhm15HIP_vector_typeIyLj2EES7_SF_ZZZNS5_IS7_EEvS9_SA_ENKSB_clEvENKSC_clEvEUlmE_EEvS9_T2_RKT3_T4_EUlimE_EEvlNS_15PhiloxCudaStateET1_SK_, .Lfunc_end68-_ZN2at6native12_GLOBAL__N_143distribution_elementwise_grid_stride_kernelImLi2EZZZNS0_9templates4cuda13random_kernelIPNS_17CUDAGeneratorImplEEEvRNS_18TensorIteratorBaseET_ENKUlvE_clEvENKUlvE_clEvEUlP25hiprandStatePhilox4_32_10E_ZNS1_27distribution_nullary_kernelIhm15HIP_vector_typeIyLj2EES7_SF_ZZZNS5_IS7_EEvS9_SA_ENKSB_clEvENKSC_clEvEUlmE_EEvS9_T2_RKT3_T4_EUlimE_EEvlNS_15PhiloxCudaStateET1_SK_
                                        ; -- End function
	.section	.AMDGPU.csdata,"",@progbits
; Kernel info:
; codeLenInByte = 2132
; NumSgprs: 28
; NumVgprs: 44
; NumAgprs: 0
; TotalNumVgprs: 44
; ScratchSize: 0
; MemoryBound: 0
; FloatMode: 240
; IeeeMode: 1
; LDSByteSize: 0 bytes/workgroup (compile time only)
; SGPRBlocks: 3
; VGPRBlocks: 5
; NumSGPRsForWavesPerEU: 28
; NumVGPRsForWavesPerEU: 44
; AccumOffset: 44
; Occupancy: 8
; WaveLimiterHint : 0
; COMPUTE_PGM_RSRC2:SCRATCH_EN: 0
; COMPUTE_PGM_RSRC2:USER_SGPR: 6
; COMPUTE_PGM_RSRC2:TRAP_HANDLER: 0
; COMPUTE_PGM_RSRC2:TGID_X_EN: 1
; COMPUTE_PGM_RSRC2:TGID_Y_EN: 0
; COMPUTE_PGM_RSRC2:TGID_Z_EN: 0
; COMPUTE_PGM_RSRC2:TIDIG_COMP_CNT: 0
; COMPUTE_PGM_RSRC3_GFX90A:ACCUM_OFFSET: 10
; COMPUTE_PGM_RSRC3_GFX90A:TG_SPLIT: 0
	.section	.text._ZN2at6native12_GLOBAL__N_143distribution_elementwise_grid_stride_kernelImLi2EZZZNS0_9templates4cuda13random_kernelIPNS_17CUDAGeneratorImplEEEvRNS_18TensorIteratorBaseET_ENKUlvE_clEvENKUlvE_clEvEUlP25hiprandStatePhilox4_32_10E_ZNS1_27distribution_nullary_kernelIhm15HIP_vector_typeIyLj2EES7_SF_ZZZNS5_IS7_EEvS9_SA_ENKSB_clEvENKSC_clEvEUlmE_EEvS9_T2_RKT3_T4_EUlimE0_EEvlNS_15PhiloxCudaStateET1_SK_,"axG",@progbits,_ZN2at6native12_GLOBAL__N_143distribution_elementwise_grid_stride_kernelImLi2EZZZNS0_9templates4cuda13random_kernelIPNS_17CUDAGeneratorImplEEEvRNS_18TensorIteratorBaseET_ENKUlvE_clEvENKUlvE_clEvEUlP25hiprandStatePhilox4_32_10E_ZNS1_27distribution_nullary_kernelIhm15HIP_vector_typeIyLj2EES7_SF_ZZZNS5_IS7_EEvS9_SA_ENKSB_clEvENKSC_clEvEUlmE_EEvS9_T2_RKT3_T4_EUlimE0_EEvlNS_15PhiloxCudaStateET1_SK_,comdat
	.globl	_ZN2at6native12_GLOBAL__N_143distribution_elementwise_grid_stride_kernelImLi2EZZZNS0_9templates4cuda13random_kernelIPNS_17CUDAGeneratorImplEEEvRNS_18TensorIteratorBaseET_ENKUlvE_clEvENKUlvE_clEvEUlP25hiprandStatePhilox4_32_10E_ZNS1_27distribution_nullary_kernelIhm15HIP_vector_typeIyLj2EES7_SF_ZZZNS5_IS7_EEvS9_SA_ENKSB_clEvENKSC_clEvEUlmE_EEvS9_T2_RKT3_T4_EUlimE0_EEvlNS_15PhiloxCudaStateET1_SK_ ; -- Begin function _ZN2at6native12_GLOBAL__N_143distribution_elementwise_grid_stride_kernelImLi2EZZZNS0_9templates4cuda13random_kernelIPNS_17CUDAGeneratorImplEEEvRNS_18TensorIteratorBaseET_ENKUlvE_clEvENKUlvE_clEvEUlP25hiprandStatePhilox4_32_10E_ZNS1_27distribution_nullary_kernelIhm15HIP_vector_typeIyLj2EES7_SF_ZZZNS5_IS7_EEvS9_SA_ENKSB_clEvENKSC_clEvEUlmE_EEvS9_T2_RKT3_T4_EUlimE0_EEvlNS_15PhiloxCudaStateET1_SK_
	.p2align	8
	.type	_ZN2at6native12_GLOBAL__N_143distribution_elementwise_grid_stride_kernelImLi2EZZZNS0_9templates4cuda13random_kernelIPNS_17CUDAGeneratorImplEEEvRNS_18TensorIteratorBaseET_ENKUlvE_clEvENKUlvE_clEvEUlP25hiprandStatePhilox4_32_10E_ZNS1_27distribution_nullary_kernelIhm15HIP_vector_typeIyLj2EES7_SF_ZZZNS5_IS7_EEvS9_SA_ENKSB_clEvENKSC_clEvEUlmE_EEvS9_T2_RKT3_T4_EUlimE0_EEvlNS_15PhiloxCudaStateET1_SK_,@function
_ZN2at6native12_GLOBAL__N_143distribution_elementwise_grid_stride_kernelImLi2EZZZNS0_9templates4cuda13random_kernelIPNS_17CUDAGeneratorImplEEEvRNS_18TensorIteratorBaseET_ENKUlvE_clEvENKUlvE_clEvEUlP25hiprandStatePhilox4_32_10E_ZNS1_27distribution_nullary_kernelIhm15HIP_vector_typeIyLj2EES7_SF_ZZZNS5_IS7_EEvS9_SA_ENKSB_clEvENKSC_clEvEUlmE_EEvS9_T2_RKT3_T4_EUlimE0_EEvlNS_15PhiloxCudaStateET1_SK_: ; @_ZN2at6native12_GLOBAL__N_143distribution_elementwise_grid_stride_kernelImLi2EZZZNS0_9templates4cuda13random_kernelIPNS_17CUDAGeneratorImplEEEvRNS_18TensorIteratorBaseET_ENKUlvE_clEvENKUlvE_clEvEUlP25hiprandStatePhilox4_32_10E_ZNS1_27distribution_nullary_kernelIhm15HIP_vector_typeIyLj2EES7_SF_ZZZNS5_IS7_EEvS9_SA_ENKSB_clEvENKSC_clEvEUlmE_EEvS9_T2_RKT3_T4_EUlimE0_EEvlNS_15PhiloxCudaStateET1_SK_
; %bb.0:
	s_load_dword s2, s[4:5], 0x20
	s_load_dwordx2 s[0:1], s[4:5], 0x10
	s_load_dwordx4 s[24:27], s[4:5], 0x0
	s_waitcnt lgkmcnt(0)
	s_bitcmp0_b32 s2, 0
	s_mov_b32 s2, 0
	v_pk_mov_b32 v[2:3], s[0:1], s[0:1] op_sel:[0,1]
	v_pk_mov_b32 v[12:13], s[26:27], s[26:27] op_sel:[0,1]
	s_cbranch_scc1 .LBB69_2
; %bb.1:
	v_pk_mov_b32 v[2:3], s[0:1], s[0:1] op_sel:[0,1]
	flat_load_dwordx2 v[2:3], v[2:3]
	v_pk_mov_b32 v[4:5], s[26:27], s[26:27] op_sel:[0,1]
	flat_load_dwordx2 v[12:13], v[4:5]
	s_load_dwordx2 s[0:1], s[4:5], 0x18
	s_waitcnt lgkmcnt(0)
	v_mov_b32_e32 v1, s1
	s_waitcnt vmcnt(0)
	v_add_co_u32_e32 v2, vcc, s0, v2
	v_addc_co_u32_e32 v3, vcc, v3, v1, vcc
.LBB69_2:
	s_load_dword s0, s[4:5], 0x154
	s_load_dword s7, s[4:5], 0x148
	s_waitcnt lgkmcnt(0)
	s_and_b32 s8, s0, 0xffff
	s_add_u32 s9, s24, -1
	s_mul_i32 s33, s7, s8
	s_addc_u32 s3, s25, -1
	s_lshl_b32 s58, s33, 1
	s_cmp_lg_u64 s[2:3], 0
	s_mov_b64 s[0:1], -1
	s_cbranch_scc0 .LBB69_51
; %bb.3:
	v_cvt_f32_u32_e32 v1, s58
	v_cvt_f32_ubyte0_e32 v4, 0
	s_sub_u32 s2, 0, s58
	s_subb_u32 s10, 0, 0
	v_madmk_f32 v1, v4, 0x4f800000, v1
	v_rcp_f32_e32 v1, v1
	v_mul_f32_e32 v1, 0x5f7ffffc, v1
	v_mul_f32_e32 v4, 0x2f800000, v1
	v_trunc_f32_e32 v4, v4
	v_madmk_f32 v1, v4, 0xcf800000, v1
	v_cvt_u32_f32_e32 v4, v4
	v_cvt_u32_f32_e32 v1, v1
	v_readfirstlane_b32 s11, v4
	v_readfirstlane_b32 s12, v1
	s_mul_i32 s13, s2, s11
	s_mul_hi_u32 s15, s2, s12
	s_mul_i32 s14, s10, s12
	s_add_i32 s13, s15, s13
	s_add_i32 s13, s13, s14
	s_mul_i32 s16, s2, s12
	s_mul_hi_u32 s14, s12, s13
	s_mul_i32 s15, s12, s13
	s_mul_hi_u32 s12, s12, s16
	s_add_u32 s12, s12, s15
	s_addc_u32 s14, 0, s14
	s_mul_hi_u32 s17, s11, s16
	s_mul_i32 s16, s11, s16
	s_add_u32 s12, s12, s16
	s_mul_hi_u32 s15, s11, s13
	s_addc_u32 s12, s14, s17
	s_addc_u32 s14, s15, 0
	s_mul_i32 s13, s11, s13
	s_add_u32 s12, s12, s13
	s_addc_u32 s13, 0, s14
	v_add_co_u32_e32 v1, vcc, s12, v1
	s_cmp_lg_u64 vcc, 0
	s_addc_u32 s11, s11, s13
	v_readfirstlane_b32 s13, v1
	s_mul_i32 s12, s2, s11
	s_mul_hi_u32 s14, s2, s13
	s_add_i32 s12, s14, s12
	s_mul_i32 s10, s10, s13
	s_add_i32 s12, s12, s10
	s_mul_i32 s2, s2, s13
	s_mul_hi_u32 s14, s11, s2
	s_mul_i32 s15, s11, s2
	s_mul_i32 s17, s13, s12
	s_mul_hi_u32 s2, s13, s2
	s_mul_hi_u32 s16, s13, s12
	s_add_u32 s2, s2, s17
	s_addc_u32 s13, 0, s16
	s_add_u32 s2, s2, s15
	s_mul_hi_u32 s10, s11, s12
	s_addc_u32 s2, s13, s14
	s_addc_u32 s10, s10, 0
	s_mul_i32 s12, s11, s12
	s_add_u32 s2, s2, s12
	s_addc_u32 s10, 0, s10
	v_add_co_u32_e32 v1, vcc, s2, v1
	s_cmp_lg_u64 vcc, 0
	s_addc_u32 s12, s11, s10
	s_ashr_i32 s10, s3, 31
	s_add_u32 s2, s9, s10
	s_mov_b32 s11, s10
	s_addc_u32 s3, s3, s10
	s_xor_b64 s[2:3], s[2:3], s[10:11]
	v_readfirstlane_b32 s15, v1
	s_mul_i32 s14, s2, s12
	s_mul_hi_u32 s16, s2, s15
	s_mul_hi_u32 s13, s2, s12
	s_add_u32 s14, s16, s14
	s_addc_u32 s13, 0, s13
	s_mul_hi_u32 s17, s3, s15
	s_mul_i32 s15, s3, s15
	s_add_u32 s14, s14, s15
	s_mul_hi_u32 s16, s3, s12
	s_addc_u32 s13, s13, s17
	s_addc_u32 s14, s16, 0
	s_mul_i32 s12, s3, s12
	s_add_u32 s12, s13, s12
	s_addc_u32 s13, 0, s14
	s_add_u32 s14, s12, 1
	s_addc_u32 s15, s13, 0
	s_add_u32 s16, s12, 2
	s_mul_i32 s18, s58, s13
	s_mul_hi_u32 s19, s58, s12
	s_addc_u32 s17, s13, 0
	s_add_i32 s19, s19, s18
	s_mul_i32 s18, s58, s12
	v_mov_b32_e32 v1, s18
	v_sub_co_u32_e32 v1, vcc, s2, v1
	s_cmp_lg_u64 vcc, 0
	s_subb_u32 s2, s3, s19
	v_subrev_co_u32_e32 v4, vcc, s58, v1
	s_cmp_lg_u64 vcc, 0
	s_subb_u32 s3, s2, 0
	v_readfirstlane_b32 s18, v4
	s_cmp_ge_u32 s18, s58
	s_cselect_b32 s18, -1, 0
	s_cmp_eq_u32 s3, 0
	s_cselect_b32 s3, s18, -1
	s_cmp_lg_u32 s3, 0
	s_cselect_b32 s3, s17, s15
	v_readfirstlane_b32 s15, v1
	s_cselect_b32 s14, s16, s14
	s_cmp_ge_u32 s15, s58
	s_cselect_b32 s15, -1, 0
	s_cmp_eq_u32 s2, 0
	s_cselect_b32 s2, s15, -1
	s_cmp_lg_u32 s2, 0
	s_cselect_b32 s3, s3, s13
	s_cselect_b32 s2, s14, s12
	s_xor_b64 s[2:3], s[2:3], s[10:11]
	s_sub_u32 s2, s2, s10
	s_subb_u32 s3, s3, s10
	s_cbranch_execnz .LBB69_5
.LBB69_4:
	v_cvt_f32_u32_e32 v1, s58
	s_sub_i32 s0, 0, s58
	s_mov_b32 s3, 0
	v_rcp_iflag_f32_e32 v1, v1
	v_mul_f32_e32 v1, 0x4f7ffffe, v1
	v_cvt_u32_f32_e32 v1, v1
	v_readfirstlane_b32 s1, v1
	s_mul_i32 s0, s0, s1
	s_mul_hi_u32 s0, s1, s0
	s_add_i32 s1, s1, s0
	s_mul_hi_u32 s0, s9, s1
	s_mul_i32 s2, s0, s58
	s_sub_i32 s2, s9, s2
	s_add_i32 s1, s0, 1
	s_sub_i32 s9, s2, s58
	s_cmp_ge_u32 s2, s58
	s_cselect_b32 s0, s1, s0
	s_cselect_b32 s2, s9, s2
	s_add_i32 s1, s0, 1
	s_cmp_ge_u32 s2, s58
	s_cselect_b32 s2, s1, s0
.LBB69_5:
	v_mov_b32_e32 v1, 0
	v_mov_b32_e32 v4, s6
	v_mad_u64_u32 v[14:15], s[0:1], s8, v4, v[0:1]
	s_add_u32 s0, s2, 1
	s_addc_u32 s1, s3, 0
	s_mul_hi_u32 s2, s7, s8
	s_mul_i32 s1, s33, s1
	s_mul_hi_u32 s3, s33, s0
	s_add_i32 s1, s3, s1
	s_mul_i32 s2, s2, s0
	s_add_i32 s1, s1, s2
	s_mul_i32 s0, s33, s0
	s_lshl_b64 s[26:27], s[0:1], 1
	v_cmp_gt_i64_e32 vcc, s[26:27], v[14:15]
	s_and_saveexec_b64 s[0:1], vcc
	s_cbranch_execz .LBB69_50
; %bb.6:
	s_mov_b32 s0, 0x5384540f
	v_mov_b32_e32 v0, v13
	v_add_co_u32_e32 v20, vcc, s0, v12
	s_mov_b32 s0, 0x646e171e
	v_add_co_u32_e32 v21, vcc, s0, v0
	s_mov_b32 s0, 0x1715609d
	;; [unrolled: 2-line block ×6, first 2 shown]
	v_alignbit_b32 v27, v3, v2, 2
	s_mov_b32 s60, 0xd2511f53
	v_add_co_u32_e32 v26, vcc, s0, v12
	v_mad_u64_u32 v[4:5], s[0:1], v27, s60, 0
	v_xor_b32_e32 v1, v5, v13
	v_xor_b32_e32 v1, v1, v15
	s_mov_b32 s61, 0xcd9e8d57
	v_mad_u64_u32 v[6:7], s[0:1], v1, s61, 0
	v_xor_b32_e32 v1, v26, v7
	v_mad_u64_u32 v[8:9], s[0:1], v14, s61, 0
	v_and_b32_e32 v16, 3, v2
	v_xor_b32_e32 v1, v1, v8
	v_xor_b32_e32 v2, v12, v9
	v_lshrrev_b32_e32 v28, 2, v3
	v_mad_u64_u32 v[10:11], s[0:1], v1, s60, 0
	v_xor_b32_e32 v2, v2, v28
	v_xor_b32_e32 v1, v25, v11
	v_mad_u64_u32 v[2:3], s[0:1], v2, s60, 0
	v_xor_b32_e32 v1, v1, v2
	v_mad_u64_u32 v[8:9], s[0:1], v1, s61, 0
	s_mov_b32 s0, 0xbb67ae85
	v_add_co_u32_e32 v29, vcc, s0, v0
	v_xor_b32_e32 v2, v29, v3
	v_xor_b32_e32 v2, v2, v4
	v_xor_b32_e32 v1, v24, v9
	v_mad_u64_u32 v[2:3], s[0:1], v2, s61, 0
	v_xor_b32_e32 v1, v1, v2
	v_mad_u64_u32 v[4:5], s[0:1], v1, s60, 0
	s_mov_b32 s0, 0x3c6ef372
	v_add_co_u32_e32 v30, vcc, s0, v12
	v_xor_b32_e32 v2, v30, v3
	;; [unrolled: 8-line block ×6, first 2 shown]
	v_add_co_u32_e32 v19, vcc, 0xdb3d7428, v0
	v_xor_b32_e32 v2, v2, v6
	v_xor_b32_e32 v1, v19, v5
	v_mad_u64_u32 v[2:3], s[0:1], v2, s60, 0
	v_xor_b32_e32 v1, v1, v2
	v_mad_u64_u32 v[6:7], s[0:1], v1, s61, 0
	s_mov_b32 s0, 0x1fd5c5a3
	v_add_co_u32_e32 v35, vcc, s0, v0
	v_xor_b32_e32 v0, v35, v3
	v_xor_b32_e32 v0, v0, v10
	v_mad_u64_u32 v[0:1], s[0:1], v0, s61, 0
	s_mov_b32 s0, 0xf1bbcdc8
	s_load_dwordx8 s[8:15], s[4:5], 0x30
	v_add_co_u32_e32 v36, vcc, s0, v12
	v_xor_b32_e32 v0, v36, v1
	v_xor_b32_e32 v0, v0, v8
	s_add_u32 s34, s4, 48
	v_mad_u64_u32 v[0:1], s[0:1], v0, s60, 0
	s_addc_u32 s35, s5, 0
	s_waitcnt lgkmcnt(0)
	s_add_i32 s0, s8, -1
	s_cmp_gt_u32 s0, 1
	s_cselect_b64 s[36:37], -1, 0
	s_cmp_lg_u32 s8, 0
	s_cselect_b64 s[38:39], -1, 0
	s_add_u32 s40, s4, 0xf4
	s_addc_u32 s41, s5, 0
	s_min_u32 s1, s0, 15
	s_cmp_gt_u32 s8, 1
	s_cselect_b64 s[42:43], -1, 0
	s_add_i32 s1, s1, 1
	s_mov_b32 s8, s13
	s_load_dwordx2 s[44:45], s[4:5], 0xf4
	s_load_dwordx2 s[46:47], s[4:5], 0x138
	s_and_b32 s13, s1, 3
	s_cmp_lg_u32 s0, 2
	s_cselect_b64 s[48:49], -1, 0
	s_and_b32 s15, s1, 28
	v_add_u32_e32 v18, 0x96a522ad, v13
	v_xor_b32_e32 v1, v1, v4
	s_cmp_lg_u32 s13, 0
	s_mov_b32 s59, 0
	v_add_u32_e32 v17, 0x8ff34781, v12
	v_xor_b32_e32 v2, v18, v1
	v_mov_b32_e32 v1, v6
	v_mov_b32_e32 v3, v0
	s_mov_b64 s[50:51], 0
	s_cselect_b64 s[52:53], -1, 0
	v_mov_b32_e32 v37, v14
	v_mov_b32_e32 v38, v15
	s_branch .LBB69_9
.LBB69_7:                               ;   in Loop: Header=BB69_9 Depth=1
	s_waitcnt lgkmcnt(0)
	global_store_byte v8, v3, s[46:47]
.LBB69_8:                               ;   in Loop: Header=BB69_9 Depth=1
	s_or_b64 exec, exec, s[28:29]
	v_add_co_u32_e32 v14, vcc, s58, v14
	v_addc_co_u32_e32 v15, vcc, 0, v15, vcc
	v_mov_b32_e32 v7, v4
	v_cmp_le_i64_e32 vcc, s[26:27], v[14:15]
	v_pk_mov_b32 v[0:1], v[4:5], v[4:5] op_sel:[0,1]
	s_or_b64 s[50:51], vcc, s[50:51]
	v_pk_mov_b32 v[2:3], v[6:7], v[6:7] op_sel:[0,1]
	s_waitcnt lgkmcnt(0)
	s_barrier
	s_andn2_b64 exec, exec, s[50:51]
	s_cbranch_execz .LBB69_50
.LBB69_9:                               ; =>This Loop Header: Depth=1
                                        ;     Child Loop BB69_24 Depth 2
                                        ;     Child Loop BB69_30 Depth 2
	;; [unrolled: 1-line block ×4, first 2 shown]
	v_add_co_u32_e32 v27, vcc, 1, v27
	v_cndmask_b32_e64 v0, 0, 1, vcc
	v_addc_co_u32_e32 v28, vcc, 0, v28, vcc
	v_cmp_eq_u32_e32 vcc, 0, v28
	v_cndmask_b32_e32 v0, 0, v0, vcc
	v_add_u32_e32 v37, v0, v37
	v_cmp_eq_u32_e32 vcc, 0, v37
	v_cndmask_b32_e32 v0, 0, v0, vcc
	v_mad_u64_u32 v[4:5], s[0:1], v27, s60, 0
	v_add_u32_e32 v38, v0, v38
	v_mad_u64_u32 v[6:7], s[0:1], v37, s61, 0
	v_xor_b32_e32 v5, v5, v13
	v_xor_b32_e32 v0, v7, v12
	v_xor_b32_e32 v5, v38, v5
	v_xor_b32_e32 v0, v28, v0
	v_mad_u64_u32 v[10:11], s[0:1], v5, s61, 0
	v_mad_u64_u32 v[8:9], s[0:1], v0, s60, 0
	v_xor_b32_e32 v0, v26, v11
	v_xor_b32_e32 v0, v0, v6
	v_xor_b32_e32 v5, v29, v9
	v_xor_b32_e32 v6, v5, v4
	v_mad_u64_u32 v[4:5], s[0:1], v0, s60, 0
	;; [unrolled: 6-line block ×9, first 2 shown]
	v_mad_u64_u32 v[4:5], s[0:1], v0, s60, 0
	v_xor_b32_e32 v0, v11, v40
	v_xor_b32_e32 v8, v17, v0
	;; [unrolled: 1-line block ×4, first 2 shown]
	v_mov_b32_e32 v5, v10
	v_mov_b32_e32 v6, v9
	v_cmp_lt_i32_e32 vcc, 1, v16
	s_and_saveexec_b64 s[0:1], vcc
	s_xor_b64 s[0:1], exec, s[0:1]
	s_cbranch_execz .LBB69_15
; %bb.10:                               ;   in Loop: Header=BB69_9 Depth=1
	v_cmp_lt_i32_e32 vcc, 2, v16
	s_and_saveexec_b64 s[2:3], vcc
	s_xor_b64 s[2:3], exec, s[2:3]
; %bb.11:                               ;   in Loop: Header=BB69_9 Depth=1
	v_mov_b32_e32 v7, v8
	v_pk_mov_b32 v[0:1], v[6:7], v[6:7] op_sel:[0,1]
	v_pk_mov_b32 v[2:3], v[8:9], v[8:9] op_sel:[0,1]
                                        ; implicit-def: $vgpr10_vgpr11
; %bb.12:                               ;   in Loop: Header=BB69_9 Depth=1
	s_andn2_saveexec_b64 s[2:3], s[2:3]
; %bb.13:                               ;   in Loop: Header=BB69_9 Depth=1
	v_mov_b32_e32 v1, v3
	v_mov_b32_e32 v3, v10
; %bb.14:                               ;   in Loop: Header=BB69_9 Depth=1
	s_or_b64 exec, exec, s[2:3]
                                        ; implicit-def: $vgpr8_vgpr9_vgpr10_vgpr11
.LBB69_15:                              ;   in Loop: Header=BB69_9 Depth=1
	s_andn2_saveexec_b64 s[0:1], s[0:1]
	s_cbranch_execz .LBB69_19
; %bb.16:                               ;   in Loop: Header=BB69_9 Depth=1
	v_cmp_eq_u32_e32 vcc, 1, v16
	s_and_saveexec_b64 s[2:3], vcc
; %bb.17:                               ;   in Loop: Header=BB69_9 Depth=1
	v_mov_b32_e32 v1, v2
	v_mov_b32_e32 v3, v8
; %bb.18:                               ;   in Loop: Header=BB69_9 Depth=1
	s_or_b64 exec, exec, s[2:3]
.LBB69_19:                              ;   in Loop: Header=BB69_9 Depth=1
	s_or_b64 exec, exec, s[0:1]
	v_cndmask_b32_e64 v0, 0, 1, s[36:37]
	v_cmp_gt_i64_e32 vcc, s[24:25], v[14:15]
	v_cmp_ne_u32_e64 s[0:1], 1, v0
	s_and_saveexec_b64 s[2:3], vcc
	s_cbranch_execz .LBB69_35
; %bb.20:                               ;   in Loop: Header=BB69_9 Depth=1
	s_and_b64 vcc, exec, s[0:1]
	s_cbranch_vccnz .LBB69_26
; %bb.21:                               ;   in Loop: Header=BB69_9 Depth=1
	s_andn2_b64 vcc, exec, s[38:39]
	s_cbranch_vccnz .LBB69_27
; %bb.22:                               ;   in Loop: Header=BB69_9 Depth=1
	s_mov_b32 s6, 0
	s_andn2_b64 vcc, exec, s[48:49]
	v_mov_b32_e32 v8, 0
	s_cbranch_vccnz .LBB69_28
; %bb.23:                               ;   in Loop: Header=BB69_9 Depth=1
	s_mov_b32 s62, 0
	v_mov_b32_e32 v8, 0
	s_mov_b64 s[54:55], s[34:35]
	s_mov_b64 s[56:57], s[40:41]
	v_mov_b32_e32 v0, v14
.LBB69_24:                              ;   Parent Loop BB69_9 Depth=1
                                        ; =>  This Inner Loop Header: Depth=2
	s_load_dwordx8 s[16:23], s[54:55], 0x4
	s_load_dwordx4 s[4:7], s[54:55], 0x24
	s_load_dwordx4 s[28:31], s[56:57], 0x0
	s_add_u32 s54, s54, 48
	s_addc_u32 s55, s55, 0
	s_waitcnt lgkmcnt(0)
	v_mul_hi_u32 v2, s17, v0
	v_add_u32_e32 v2, v0, v2
	v_lshrrev_b32_e32 v2, s18, v2
	v_mul_lo_u32 v7, v2, s16
	v_mul_hi_u32 v9, s20, v2
	v_sub_u32_e32 v0, v0, v7
	v_add_u32_e32 v7, v2, v9
	v_lshrrev_b32_e32 v7, s21, v7
	v_mul_lo_u32 v9, v7, s19
	v_mul_hi_u32 v10, s23, v7
	v_sub_u32_e32 v2, v2, v9
	v_add_u32_e32 v9, v7, v10
	v_mul_lo_u32 v0, v0, s28
	v_mul_lo_u32 v2, v2, s29
	v_lshrrev_b32_e32 v9, s4, v9
	v_add3_u32 v2, v0, v8, v2
	v_mul_lo_u32 v0, v9, s22
	v_mul_hi_u32 v8, s6, v9
	v_sub_u32_e32 v0, v7, v0
	v_add_u32_e32 v7, v9, v8
	v_mul_lo_u32 v8, v0, s30
	v_lshrrev_b32_e32 v0, s7, v7
	s_add_i32 s62, s62, 4
	v_mul_lo_u32 v7, v0, s5
	s_add_u32 s56, s56, 16
	v_sub_u32_e32 v7, v9, v7
	s_addc_u32 s57, s57, 0
	v_mul_lo_u32 v7, v7, s31
	s_cmp_lg_u32 s15, s62
	v_add3_u32 v8, v8, v2, v7
	s_cbranch_scc1 .LBB69_24
; %bb.25:                               ;   in Loop: Header=BB69_9 Depth=1
	s_mov_b32 s6, s15
	s_andn2_b64 vcc, exec, s[52:53]
	s_cbranch_vccz .LBB69_29
	s_branch .LBB69_31
.LBB69_26:                              ;   in Loop: Header=BB69_9 Depth=1
                                        ; implicit-def: $vgpr8
	s_branch .LBB69_32
.LBB69_27:                              ;   in Loop: Header=BB69_9 Depth=1
	v_mov_b32_e32 v8, 0
	s_branch .LBB69_31
.LBB69_28:                              ;   in Loop: Header=BB69_9 Depth=1
	v_mov_b32_e32 v0, v14
	s_andn2_b64 vcc, exec, s[52:53]
	s_cbranch_vccnz .LBB69_31
.LBB69_29:                              ;   in Loop: Header=BB69_9 Depth=1
	s_lshl_b32 s4, s6, 2
	s_add_u32 s4, s40, s4
	s_addc_u32 s5, s41, 0
	s_mul_i32 s6, s6, 12
	s_add_u32 s6, s34, s6
	s_addc_u32 s7, s35, 0
	s_mov_b32 s16, s13
.LBB69_30:                              ;   Parent Loop BB69_9 Depth=1
                                        ; =>  This Inner Loop Header: Depth=2
	s_load_dwordx2 s[18:19], s[6:7], 0x4
	s_load_dword s17, s[6:7], 0xc
	s_load_dword s20, s[4:5], 0x0
	s_add_u32 s6, s6, 12
	s_addc_u32 s7, s7, 0
	s_waitcnt lgkmcnt(0)
	v_mul_hi_u32 v2, s19, v0
	v_add_u32_e32 v2, v0, v2
	v_lshrrev_b32_e32 v2, s17, v2
	s_add_u32 s4, s4, 4
	v_mul_lo_u32 v7, v2, s18
	s_addc_u32 s5, s5, 0
	s_add_i32 s16, s16, -1
	v_sub_u32_e32 v7, v0, v7
	s_cmp_lg_u32 s16, 0
	v_mov_b32_e32 v0, v2
	v_mad_u64_u32 v[8:9], s[18:19], v7, s20, v[8:9]
	s_cbranch_scc1 .LBB69_30
.LBB69_31:                              ;   in Loop: Header=BB69_9 Depth=1
	s_cbranch_execnz .LBB69_34
.LBB69_32:                              ;   in Loop: Header=BB69_9 Depth=1
	v_mul_hi_u32 v0, v14, s10
	v_add_u32_e32 v0, v0, v14
	v_lshrrev_b32_e32 v0, s11, v0
	v_mul_lo_u32 v2, v0, s9
	v_sub_u32_e32 v2, v14, v2
	s_andn2_b64 vcc, exec, s[42:43]
	s_waitcnt lgkmcnt(0)
	v_mul_lo_u32 v8, v2, s44
	s_cbranch_vccnz .LBB69_34
; %bb.33:                               ;   in Loop: Header=BB69_9 Depth=1
	v_mul_hi_u32 v2, s8, v0
	v_add_u32_e32 v2, v0, v2
	v_lshrrev_b32_e32 v2, s14, v2
	v_mul_lo_u32 v2, v2, s12
	v_sub_u32_e32 v0, v0, v2
	v_mad_u64_u32 v[8:9], s[4:5], v0, s45, v[8:9]
.LBB69_34:                              ;   in Loop: Header=BB69_9 Depth=1
	s_waitcnt lgkmcnt(0)
	global_store_byte v8, v1, s[46:47]
.LBB69_35:                              ;   in Loop: Header=BB69_9 Depth=1
	s_or_b64 exec, exec, s[2:3]
	v_mov_b32_e32 v1, s59
	v_add_co_u32_e32 v0, vcc, s33, v14
	v_addc_co_u32_e32 v1, vcc, v15, v1, vcc
	v_cmp_gt_i64_e32 vcc, s[24:25], v[0:1]
	s_and_saveexec_b64 s[28:29], vcc
	s_cbranch_execz .LBB69_8
; %bb.36:                               ;   in Loop: Header=BB69_9 Depth=1
	s_and_b64 vcc, exec, s[0:1]
	s_cbranch_vccnz .LBB69_42
; %bb.37:                               ;   in Loop: Header=BB69_9 Depth=1
	s_andn2_b64 vcc, exec, s[38:39]
	s_cbranch_vccnz .LBB69_43
; %bb.38:                               ;   in Loop: Header=BB69_9 Depth=1
	s_mov_b32 s2, 0
	s_andn2_b64 vcc, exec, s[48:49]
	v_mov_b32_e32 v8, 0
	s_cbranch_vccnz .LBB69_44
; %bb.39:                               ;   in Loop: Header=BB69_9 Depth=1
	s_mov_b32 s56, 0
	v_mov_b32_e32 v8, 0
	s_mov_b64 s[30:31], s[34:35]
	s_mov_b64 s[54:55], s[40:41]
	v_mov_b32_e32 v1, v0
.LBB69_40:                              ;   Parent Loop BB69_9 Depth=1
                                        ; =>  This Inner Loop Header: Depth=2
	s_load_dwordx8 s[0:7], s[30:31], 0x4
	s_load_dwordx4 s[16:19], s[30:31], 0x24
	s_load_dwordx4 s[20:23], s[54:55], 0x0
	s_add_u32 s30, s30, 48
	s_addc_u32 s31, s31, 0
	s_waitcnt lgkmcnt(0)
	v_mul_hi_u32 v2, s1, v1
	v_add_u32_e32 v2, v1, v2
	v_lshrrev_b32_e32 v2, s2, v2
	v_mul_lo_u32 v7, v2, s0
	v_mul_hi_u32 v9, s4, v2
	v_sub_u32_e32 v1, v1, v7
	v_add_u32_e32 v7, v2, v9
	v_lshrrev_b32_e32 v7, s5, v7
	v_mul_lo_u32 v9, v7, s3
	v_mul_hi_u32 v10, s7, v7
	v_sub_u32_e32 v2, v2, v9
	v_add_u32_e32 v9, v7, v10
	v_mul_lo_u32 v1, v1, s20
	v_mul_lo_u32 v2, v2, s21
	v_lshrrev_b32_e32 v9, s16, v9
	v_add3_u32 v2, v1, v8, v2
	v_mul_lo_u32 v1, v9, s6
	v_mul_hi_u32 v8, s18, v9
	v_sub_u32_e32 v1, v7, v1
	v_add_u32_e32 v7, v9, v8
	v_mul_lo_u32 v8, v1, s22
	v_lshrrev_b32_e32 v1, s19, v7
	s_add_i32 s56, s56, 4
	v_mul_lo_u32 v7, v1, s17
	s_add_u32 s54, s54, 16
	v_sub_u32_e32 v7, v9, v7
	s_addc_u32 s55, s55, 0
	v_mul_lo_u32 v7, v7, s23
	s_cmp_eq_u32 s15, s56
	v_add3_u32 v8, v8, v2, v7
	s_cbranch_scc0 .LBB69_40
; %bb.41:                               ;   in Loop: Header=BB69_9 Depth=1
	s_mov_b32 s2, s15
	s_andn2_b64 vcc, exec, s[52:53]
	s_cbranch_vccz .LBB69_45
	s_branch .LBB69_47
.LBB69_42:                              ;   in Loop: Header=BB69_9 Depth=1
                                        ; implicit-def: $vgpr8
	s_branch .LBB69_48
.LBB69_43:                              ;   in Loop: Header=BB69_9 Depth=1
	v_mov_b32_e32 v8, 0
	s_branch .LBB69_47
.LBB69_44:                              ;   in Loop: Header=BB69_9 Depth=1
	v_mov_b32_e32 v1, v0
	s_andn2_b64 vcc, exec, s[52:53]
	s_cbranch_vccnz .LBB69_47
.LBB69_45:                              ;   in Loop: Header=BB69_9 Depth=1
	s_lshl_b32 s0, s2, 2
	s_add_u32 s0, s40, s0
	s_addc_u32 s1, s41, 0
	s_mul_i32 s2, s2, 12
	s_add_u32 s2, s34, s2
	s_addc_u32 s3, s35, 0
	s_mov_b32 s4, s13
.LBB69_46:                              ;   Parent Loop BB69_9 Depth=1
                                        ; =>  This Inner Loop Header: Depth=2
	s_load_dwordx2 s[6:7], s[2:3], 0x4
	s_load_dword s5, s[2:3], 0xc
	s_load_dword s16, s[0:1], 0x0
	s_add_u32 s2, s2, 12
	s_addc_u32 s3, s3, 0
	s_waitcnt lgkmcnt(0)
	v_mul_hi_u32 v2, s7, v1
	v_add_u32_e32 v2, v1, v2
	v_lshrrev_b32_e32 v2, s5, v2
	s_add_u32 s0, s0, 4
	v_mul_lo_u32 v7, v2, s6
	s_addc_u32 s1, s1, 0
	s_add_i32 s4, s4, -1
	v_sub_u32_e32 v7, v1, v7
	s_cmp_lg_u32 s4, 0
	v_mov_b32_e32 v1, v2
	v_mad_u64_u32 v[8:9], s[6:7], v7, s16, v[8:9]
	s_cbranch_scc1 .LBB69_46
.LBB69_47:                              ;   in Loop: Header=BB69_9 Depth=1
	s_cbranch_execnz .LBB69_7
.LBB69_48:                              ;   in Loop: Header=BB69_9 Depth=1
	v_mul_hi_u32 v1, v0, s10
	v_add_u32_e32 v1, v1, v0
	v_lshrrev_b32_e32 v1, s11, v1
	v_mul_lo_u32 v2, v1, s9
	v_sub_u32_e32 v0, v0, v2
	s_andn2_b64 vcc, exec, s[42:43]
	s_waitcnt lgkmcnt(0)
	v_mul_lo_u32 v8, v0, s44
	s_cbranch_vccnz .LBB69_7
; %bb.49:                               ;   in Loop: Header=BB69_9 Depth=1
	v_mul_hi_u32 v0, s8, v1
	v_add_u32_e32 v0, v1, v0
	v_lshrrev_b32_e32 v0, s14, v0
	v_mul_lo_u32 v0, v0, s12
	v_sub_u32_e32 v0, v1, v0
	v_mad_u64_u32 v[8:9], s[0:1], v0, s45, v[8:9]
	s_branch .LBB69_7
.LBB69_50:
	s_endpgm
.LBB69_51:
                                        ; implicit-def: $sgpr2_sgpr3
	s_andn2_b64 vcc, exec, s[0:1]
	s_cbranch_vccz .LBB69_4
	s_branch .LBB69_5
	.section	.rodata,"a",@progbits
	.p2align	6, 0x0
	.amdhsa_kernel _ZN2at6native12_GLOBAL__N_143distribution_elementwise_grid_stride_kernelImLi2EZZZNS0_9templates4cuda13random_kernelIPNS_17CUDAGeneratorImplEEEvRNS_18TensorIteratorBaseET_ENKUlvE_clEvENKUlvE_clEvEUlP25hiprandStatePhilox4_32_10E_ZNS1_27distribution_nullary_kernelIhm15HIP_vector_typeIyLj2EES7_SF_ZZZNS5_IS7_EEvS9_SA_ENKSB_clEvENKSC_clEvEUlmE_EEvS9_T2_RKT3_T4_EUlimE0_EEvlNS_15PhiloxCudaStateET1_SK_
		.amdhsa_group_segment_fixed_size 0
		.amdhsa_private_segment_fixed_size 0
		.amdhsa_kernarg_size 584
		.amdhsa_user_sgpr_count 6
		.amdhsa_user_sgpr_private_segment_buffer 1
		.amdhsa_user_sgpr_dispatch_ptr 0
		.amdhsa_user_sgpr_queue_ptr 0
		.amdhsa_user_sgpr_kernarg_segment_ptr 1
		.amdhsa_user_sgpr_dispatch_id 0
		.amdhsa_user_sgpr_flat_scratch_init 0
		.amdhsa_user_sgpr_kernarg_preload_length 0
		.amdhsa_user_sgpr_kernarg_preload_offset 0
		.amdhsa_user_sgpr_private_segment_size 0
		.amdhsa_uses_dynamic_stack 0
		.amdhsa_system_sgpr_private_segment_wavefront_offset 0
		.amdhsa_system_sgpr_workgroup_id_x 1
		.amdhsa_system_sgpr_workgroup_id_y 0
		.amdhsa_system_sgpr_workgroup_id_z 0
		.amdhsa_system_sgpr_workgroup_info 0
		.amdhsa_system_vgpr_workitem_id 0
		.amdhsa_next_free_vgpr 42
		.amdhsa_next_free_sgpr 63
		.amdhsa_accum_offset 44
		.amdhsa_reserve_vcc 1
		.amdhsa_reserve_flat_scratch 0
		.amdhsa_float_round_mode_32 0
		.amdhsa_float_round_mode_16_64 0
		.amdhsa_float_denorm_mode_32 3
		.amdhsa_float_denorm_mode_16_64 3
		.amdhsa_dx10_clamp 1
		.amdhsa_ieee_mode 1
		.amdhsa_fp16_overflow 0
		.amdhsa_tg_split 0
		.amdhsa_exception_fp_ieee_invalid_op 0
		.amdhsa_exception_fp_denorm_src 0
		.amdhsa_exception_fp_ieee_div_zero 0
		.amdhsa_exception_fp_ieee_overflow 0
		.amdhsa_exception_fp_ieee_underflow 0
		.amdhsa_exception_fp_ieee_inexact 0
		.amdhsa_exception_int_div_zero 0
	.end_amdhsa_kernel
	.section	.text._ZN2at6native12_GLOBAL__N_143distribution_elementwise_grid_stride_kernelImLi2EZZZNS0_9templates4cuda13random_kernelIPNS_17CUDAGeneratorImplEEEvRNS_18TensorIteratorBaseET_ENKUlvE_clEvENKUlvE_clEvEUlP25hiprandStatePhilox4_32_10E_ZNS1_27distribution_nullary_kernelIhm15HIP_vector_typeIyLj2EES7_SF_ZZZNS5_IS7_EEvS9_SA_ENKSB_clEvENKSC_clEvEUlmE_EEvS9_T2_RKT3_T4_EUlimE0_EEvlNS_15PhiloxCudaStateET1_SK_,"axG",@progbits,_ZN2at6native12_GLOBAL__N_143distribution_elementwise_grid_stride_kernelImLi2EZZZNS0_9templates4cuda13random_kernelIPNS_17CUDAGeneratorImplEEEvRNS_18TensorIteratorBaseET_ENKUlvE_clEvENKUlvE_clEvEUlP25hiprandStatePhilox4_32_10E_ZNS1_27distribution_nullary_kernelIhm15HIP_vector_typeIyLj2EES7_SF_ZZZNS5_IS7_EEvS9_SA_ENKSB_clEvENKSC_clEvEUlmE_EEvS9_T2_RKT3_T4_EUlimE0_EEvlNS_15PhiloxCudaStateET1_SK_,comdat
.Lfunc_end69:
	.size	_ZN2at6native12_GLOBAL__N_143distribution_elementwise_grid_stride_kernelImLi2EZZZNS0_9templates4cuda13random_kernelIPNS_17CUDAGeneratorImplEEEvRNS_18TensorIteratorBaseET_ENKUlvE_clEvENKUlvE_clEvEUlP25hiprandStatePhilox4_32_10E_ZNS1_27distribution_nullary_kernelIhm15HIP_vector_typeIyLj2EES7_SF_ZZZNS5_IS7_EEvS9_SA_ENKSB_clEvENKSC_clEvEUlmE_EEvS9_T2_RKT3_T4_EUlimE0_EEvlNS_15PhiloxCudaStateET1_SK_, .Lfunc_end69-_ZN2at6native12_GLOBAL__N_143distribution_elementwise_grid_stride_kernelImLi2EZZZNS0_9templates4cuda13random_kernelIPNS_17CUDAGeneratorImplEEEvRNS_18TensorIteratorBaseET_ENKUlvE_clEvENKUlvE_clEvEUlP25hiprandStatePhilox4_32_10E_ZNS1_27distribution_nullary_kernelIhm15HIP_vector_typeIyLj2EES7_SF_ZZZNS5_IS7_EEvS9_SA_ENKSB_clEvENKSC_clEvEUlmE_EEvS9_T2_RKT3_T4_EUlimE0_EEvlNS_15PhiloxCudaStateET1_SK_
                                        ; -- End function
	.section	.AMDGPU.csdata,"",@progbits
; Kernel info:
; codeLenInByte = 3168
; NumSgprs: 67
; NumVgprs: 42
; NumAgprs: 0
; TotalNumVgprs: 42
; ScratchSize: 0
; MemoryBound: 0
; FloatMode: 240
; IeeeMode: 1
; LDSByteSize: 0 bytes/workgroup (compile time only)
; SGPRBlocks: 8
; VGPRBlocks: 5
; NumSGPRsForWavesPerEU: 67
; NumVGPRsForWavesPerEU: 42
; AccumOffset: 44
; Occupancy: 8
; WaveLimiterHint : 1
; COMPUTE_PGM_RSRC2:SCRATCH_EN: 0
; COMPUTE_PGM_RSRC2:USER_SGPR: 6
; COMPUTE_PGM_RSRC2:TRAP_HANDLER: 0
; COMPUTE_PGM_RSRC2:TGID_X_EN: 1
; COMPUTE_PGM_RSRC2:TGID_Y_EN: 0
; COMPUTE_PGM_RSRC2:TGID_Z_EN: 0
; COMPUTE_PGM_RSRC2:TIDIG_COMP_CNT: 0
; COMPUTE_PGM_RSRC3_GFX90A:ACCUM_OFFSET: 10
; COMPUTE_PGM_RSRC3_GFX90A:TG_SPLIT: 0
	.section	.text._ZN2at6native12_GLOBAL__N_143distribution_elementwise_grid_stride_kernelIjLi4EZZZNS0_9templates4cuda13random_kernelIPNS_17CUDAGeneratorImplEEEvRNS_18TensorIteratorBaseET_ENKUlvE_clEvENKUlvE_clEvEUlP25hiprandStatePhilox4_32_10E0_ZNS1_27distribution_nullary_kernelIhj15HIP_vector_typeIjLj4EES7_SF_ZZZNS5_IS7_EEvS9_SA_ENKSB_clEvENKSC_clEvEUljE_EEvS9_T2_RKT3_T4_EUlijE_EEvlNS_15PhiloxCudaStateET1_SK_,"axG",@progbits,_ZN2at6native12_GLOBAL__N_143distribution_elementwise_grid_stride_kernelIjLi4EZZZNS0_9templates4cuda13random_kernelIPNS_17CUDAGeneratorImplEEEvRNS_18TensorIteratorBaseET_ENKUlvE_clEvENKUlvE_clEvEUlP25hiprandStatePhilox4_32_10E0_ZNS1_27distribution_nullary_kernelIhj15HIP_vector_typeIjLj4EES7_SF_ZZZNS5_IS7_EEvS9_SA_ENKSB_clEvENKSC_clEvEUljE_EEvS9_T2_RKT3_T4_EUlijE_EEvlNS_15PhiloxCudaStateET1_SK_,comdat
	.globl	_ZN2at6native12_GLOBAL__N_143distribution_elementwise_grid_stride_kernelIjLi4EZZZNS0_9templates4cuda13random_kernelIPNS_17CUDAGeneratorImplEEEvRNS_18TensorIteratorBaseET_ENKUlvE_clEvENKUlvE_clEvEUlP25hiprandStatePhilox4_32_10E0_ZNS1_27distribution_nullary_kernelIhj15HIP_vector_typeIjLj4EES7_SF_ZZZNS5_IS7_EEvS9_SA_ENKSB_clEvENKSC_clEvEUljE_EEvS9_T2_RKT3_T4_EUlijE_EEvlNS_15PhiloxCudaStateET1_SK_ ; -- Begin function _ZN2at6native12_GLOBAL__N_143distribution_elementwise_grid_stride_kernelIjLi4EZZZNS0_9templates4cuda13random_kernelIPNS_17CUDAGeneratorImplEEEvRNS_18TensorIteratorBaseET_ENKUlvE_clEvENKUlvE_clEvEUlP25hiprandStatePhilox4_32_10E0_ZNS1_27distribution_nullary_kernelIhj15HIP_vector_typeIjLj4EES7_SF_ZZZNS5_IS7_EEvS9_SA_ENKSB_clEvENKSC_clEvEUljE_EEvS9_T2_RKT3_T4_EUlijE_EEvlNS_15PhiloxCudaStateET1_SK_
	.p2align	8
	.type	_ZN2at6native12_GLOBAL__N_143distribution_elementwise_grid_stride_kernelIjLi4EZZZNS0_9templates4cuda13random_kernelIPNS_17CUDAGeneratorImplEEEvRNS_18TensorIteratorBaseET_ENKUlvE_clEvENKUlvE_clEvEUlP25hiprandStatePhilox4_32_10E0_ZNS1_27distribution_nullary_kernelIhj15HIP_vector_typeIjLj4EES7_SF_ZZZNS5_IS7_EEvS9_SA_ENKSB_clEvENKSC_clEvEUljE_EEvS9_T2_RKT3_T4_EUlijE_EEvlNS_15PhiloxCudaStateET1_SK_,@function
_ZN2at6native12_GLOBAL__N_143distribution_elementwise_grid_stride_kernelIjLi4EZZZNS0_9templates4cuda13random_kernelIPNS_17CUDAGeneratorImplEEEvRNS_18TensorIteratorBaseET_ENKUlvE_clEvENKUlvE_clEvEUlP25hiprandStatePhilox4_32_10E0_ZNS1_27distribution_nullary_kernelIhj15HIP_vector_typeIjLj4EES7_SF_ZZZNS5_IS7_EEvS9_SA_ENKSB_clEvENKSC_clEvEUljE_EEvS9_T2_RKT3_T4_EUlijE_EEvlNS_15PhiloxCudaStateET1_SK_: ; @_ZN2at6native12_GLOBAL__N_143distribution_elementwise_grid_stride_kernelIjLi4EZZZNS0_9templates4cuda13random_kernelIPNS_17CUDAGeneratorImplEEEvRNS_18TensorIteratorBaseET_ENKUlvE_clEvENKUlvE_clEvEUlP25hiprandStatePhilox4_32_10E0_ZNS1_27distribution_nullary_kernelIhj15HIP_vector_typeIjLj4EES7_SF_ZZZNS5_IS7_EEvS9_SA_ENKSB_clEvENKSC_clEvEUljE_EEvS9_T2_RKT3_T4_EUlijE_EEvlNS_15PhiloxCudaStateET1_SK_
; %bb.0:
	s_load_dword s7, s[4:5], 0x20
	s_load_dwordx2 s[10:11], s[4:5], 0x10
	s_load_dwordx4 s[0:3], s[4:5], 0x0
	s_mov_b32 s8, 0
	s_waitcnt lgkmcnt(0)
	s_bitcmp0_b32 s7, 0
	v_pk_mov_b32 v[2:3], s[10:11], s[10:11] op_sel:[0,1]
	v_pk_mov_b32 v[14:15], s[2:3], s[2:3] op_sel:[0,1]
	s_cbranch_scc1 .LBB70_2
; %bb.1:
	v_pk_mov_b32 v[2:3], s[10:11], s[10:11] op_sel:[0,1]
	flat_load_dwordx2 v[2:3], v[2:3]
	v_pk_mov_b32 v[4:5], s[2:3], s[2:3] op_sel:[0,1]
	flat_load_dwordx2 v[14:15], v[4:5]
	s_load_dwordx2 s[2:3], s[4:5], 0x18
	s_waitcnt lgkmcnt(0)
	v_mov_b32_e32 v1, s3
	s_waitcnt vmcnt(0)
	v_add_co_u32_e32 v2, vcc, s2, v2
	v_addc_co_u32_e32 v3, vcc, v3, v1, vcc
.LBB70_2:
	s_load_dword s2, s[4:5], 0x4c
	s_load_dword s10, s[4:5], 0x40
	s_waitcnt lgkmcnt(0)
	s_and_b32 s7, s2, 0xffff
	s_add_u32 s11, s0, -1
	s_mul_i32 s12, s10, s7
	s_addc_u32 s9, s1, -1
	s_lshl_b32 s13, s12, 2
	s_cmp_lg_u64 s[8:9], 0
	s_mov_b64 s[2:3], -1
	s_cbranch_scc0 .LBB70_27
; %bb.3:
	v_cvt_f32_u32_e32 v1, s13
	v_cvt_f32_ubyte0_e32 v4, 0
	s_sub_u32 s8, 0, s13
	s_subb_u32 s14, 0, 0
	v_madmk_f32 v1, v4, 0x4f800000, v1
	v_rcp_f32_e32 v1, v1
	v_mul_f32_e32 v1, 0x5f7ffffc, v1
	v_mul_f32_e32 v4, 0x2f800000, v1
	v_trunc_f32_e32 v4, v4
	v_madmk_f32 v1, v4, 0xcf800000, v1
	v_cvt_u32_f32_e32 v4, v4
	v_cvt_u32_f32_e32 v1, v1
	v_readfirstlane_b32 s15, v4
	v_readfirstlane_b32 s16, v1
	s_mul_i32 s17, s8, s15
	s_mul_hi_u32 s19, s8, s16
	s_mul_i32 s18, s14, s16
	s_add_i32 s17, s19, s17
	s_add_i32 s17, s17, s18
	s_mul_i32 s20, s8, s16
	s_mul_hi_u32 s18, s16, s17
	s_mul_i32 s19, s16, s17
	s_mul_hi_u32 s16, s16, s20
	s_add_u32 s16, s16, s19
	s_addc_u32 s18, 0, s18
	s_mul_hi_u32 s21, s15, s20
	s_mul_i32 s20, s15, s20
	s_add_u32 s16, s16, s20
	s_mul_hi_u32 s19, s15, s17
	s_addc_u32 s16, s18, s21
	s_addc_u32 s18, s19, 0
	s_mul_i32 s17, s15, s17
	s_add_u32 s16, s16, s17
	s_addc_u32 s17, 0, s18
	v_add_co_u32_e32 v1, vcc, s16, v1
	s_cmp_lg_u64 vcc, 0
	s_addc_u32 s15, s15, s17
	v_readfirstlane_b32 s17, v1
	s_mul_i32 s16, s8, s15
	s_mul_hi_u32 s18, s8, s17
	s_add_i32 s16, s18, s16
	s_mul_i32 s14, s14, s17
	s_add_i32 s16, s16, s14
	s_mul_i32 s8, s8, s17
	s_mul_hi_u32 s18, s15, s8
	s_mul_i32 s19, s15, s8
	s_mul_i32 s21, s17, s16
	s_mul_hi_u32 s8, s17, s8
	s_mul_hi_u32 s20, s17, s16
	s_add_u32 s8, s8, s21
	s_addc_u32 s17, 0, s20
	s_add_u32 s8, s8, s19
	s_mul_hi_u32 s14, s15, s16
	s_addc_u32 s8, s17, s18
	s_addc_u32 s14, s14, 0
	s_mul_i32 s16, s15, s16
	s_add_u32 s8, s8, s16
	s_addc_u32 s14, 0, s14
	v_add_co_u32_e32 v1, vcc, s8, v1
	s_cmp_lg_u64 vcc, 0
	s_addc_u32 s16, s15, s14
	s_ashr_i32 s14, s9, 31
	s_add_u32 s8, s11, s14
	s_mov_b32 s15, s14
	s_addc_u32 s9, s9, s14
	s_xor_b64 s[8:9], s[8:9], s[14:15]
	v_readfirstlane_b32 s19, v1
	s_mul_i32 s18, s8, s16
	s_mul_hi_u32 s20, s8, s19
	s_mul_hi_u32 s17, s8, s16
	s_add_u32 s18, s20, s18
	s_addc_u32 s17, 0, s17
	s_mul_hi_u32 s21, s9, s19
	s_mul_i32 s19, s9, s19
	s_add_u32 s18, s18, s19
	s_mul_hi_u32 s20, s9, s16
	s_addc_u32 s17, s17, s21
	s_addc_u32 s18, s20, 0
	s_mul_i32 s16, s9, s16
	s_add_u32 s16, s17, s16
	s_addc_u32 s17, 0, s18
	s_add_u32 s18, s16, 1
	s_addc_u32 s19, s17, 0
	s_add_u32 s20, s16, 2
	s_mul_i32 s22, s13, s17
	s_mul_hi_u32 s23, s13, s16
	s_addc_u32 s21, s17, 0
	s_add_i32 s23, s23, s22
	s_mul_i32 s22, s13, s16
	v_mov_b32_e32 v1, s22
	v_sub_co_u32_e32 v1, vcc, s8, v1
	s_cmp_lg_u64 vcc, 0
	s_subb_u32 s8, s9, s23
	v_subrev_co_u32_e32 v4, vcc, s13, v1
	s_cmp_lg_u64 vcc, 0
	s_subb_u32 s9, s8, 0
	v_readfirstlane_b32 s22, v4
	s_cmp_ge_u32 s22, s13
	s_cselect_b32 s22, -1, 0
	s_cmp_eq_u32 s9, 0
	s_cselect_b32 s9, s22, -1
	s_cmp_lg_u32 s9, 0
	s_cselect_b32 s9, s21, s19
	v_readfirstlane_b32 s19, v1
	s_cselect_b32 s18, s20, s18
	s_cmp_ge_u32 s19, s13
	s_cselect_b32 s19, -1, 0
	s_cmp_eq_u32 s8, 0
	s_cselect_b32 s8, s19, -1
	s_cmp_lg_u32 s8, 0
	s_cselect_b32 s9, s9, s17
	s_cselect_b32 s8, s18, s16
	s_xor_b64 s[8:9], s[8:9], s[14:15]
	s_sub_u32 s8, s8, s14
	s_subb_u32 s9, s9, s14
	s_cbranch_execnz .LBB70_5
.LBB70_4:
	v_cvt_f32_u32_e32 v1, s13
	s_sub_i32 s2, 0, s13
	s_mov_b32 s9, 0
	v_rcp_iflag_f32_e32 v1, v1
	v_mul_f32_e32 v1, 0x4f7ffffe, v1
	v_cvt_u32_f32_e32 v1, v1
	v_readfirstlane_b32 s3, v1
	s_mul_i32 s2, s2, s3
	s_mul_hi_u32 s2, s3, s2
	s_add_i32 s3, s3, s2
	s_mul_hi_u32 s2, s11, s3
	s_mul_i32 s8, s2, s13
	s_sub_i32 s8, s11, s8
	s_add_i32 s3, s2, 1
	s_sub_i32 s11, s8, s13
	s_cmp_ge_u32 s8, s13
	s_cselect_b32 s2, s3, s2
	s_cselect_b32 s8, s11, s8
	s_add_i32 s3, s2, 1
	s_cmp_ge_u32 s8, s13
	s_cselect_b32 s8, s3, s2
.LBB70_5:
	v_mov_b32_e32 v1, 0
	v_mov_b32_e32 v4, s6
	v_mad_u64_u32 v[16:17], s[2:3], s7, v4, v[0:1]
	s_add_u32 s2, s8, 1
	s_addc_u32 s3, s9, 0
	s_mul_hi_u32 s8, s10, s7
	s_mul_i32 s3, s12, s3
	s_mul_hi_u32 s9, s12, s2
	s_add_i32 s3, s9, s3
	s_mul_i32 s8, s8, s2
	s_add_i32 s3, s3, s8
	s_mul_i32 s2, s12, s2
	s_lshl_b64 s[2:3], s[2:3], 2
	v_cmp_gt_i64_e32 vcc, s[2:3], v[16:17]
	s_and_saveexec_b64 s[8:9], vcc
	s_cbranch_execz .LBB70_26
; %bb.6:
	s_load_dwordx2 s[8:9], s[4:5], 0x30
	s_load_dword s11, s[4:5], 0x38
	s_mov_b32 s4, 0x5384540f
	v_mov_b32_e32 v4, v15
	v_add_co_u32_e32 v22, vcc, s4, v14
	s_mov_b32 s4, 0x646e171e
	v_add_co_u32_e32 v23, vcc, s4, v4
	s_mov_b32 s4, 0x1715609d
	;; [unrolled: 2-line block ×6, first 2 shown]
	v_alignbit_b32 v29, v3, v2, 2
	s_mov_b32 s15, 0xd2511f53
	v_add_co_u32_e32 v28, vcc, s4, v14
	v_mad_u64_u32 v[6:7], s[4:5], v29, s15, 0
	v_xor_b32_e32 v1, v7, v15
	v_xor_b32_e32 v1, v1, v17
	s_mov_b32 s16, 0xcd9e8d57
	v_mad_u64_u32 v[8:9], s[4:5], v1, s16, 0
	v_xor_b32_e32 v1, v28, v9
	v_mad_u64_u32 v[10:11], s[4:5], v16, s16, 0
	v_and_b32_e32 v18, 3, v2
	v_xor_b32_e32 v1, v1, v10
	v_xor_b32_e32 v2, v14, v11
	v_lshrrev_b32_e32 v30, 2, v3
	v_mad_u64_u32 v[12:13], s[4:5], v1, s15, 0
	v_xor_b32_e32 v2, v2, v30
	v_xor_b32_e32 v1, v27, v13
	v_mad_u64_u32 v[2:3], s[4:5], v2, s15, 0
	v_xor_b32_e32 v1, v1, v2
	v_mad_u64_u32 v[10:11], s[4:5], v1, s16, 0
	s_mov_b32 s4, 0xbb67ae85
	v_add_co_u32_e32 v31, vcc, s4, v4
	v_xor_b32_e32 v2, v31, v3
	v_xor_b32_e32 v2, v2, v6
	v_xor_b32_e32 v1, v26, v11
	v_mad_u64_u32 v[2:3], s[4:5], v2, s16, 0
	v_xor_b32_e32 v1, v1, v2
	v_mad_u64_u32 v[6:7], s[4:5], v1, s15, 0
	s_mov_b32 s4, 0x3c6ef372
	v_add_co_u32_e32 v32, vcc, s4, v14
	v_xor_b32_e32 v2, v32, v3
	;; [unrolled: 8-line block ×6, first 2 shown]
	v_add_co_u32_e32 v21, vcc, 0xdb3d7428, v4
	v_xor_b32_e32 v2, v2, v8
	v_xor_b32_e32 v1, v21, v7
	v_mad_u64_u32 v[2:3], s[4:5], v2, s15, 0
	v_xor_b32_e32 v1, v1, v2
	v_mad_u64_u32 v[8:9], s[4:5], v1, s16, 0
	s_mov_b32 s4, 0x1fd5c5a3
	v_add_co_u32_e32 v37, vcc, s4, v4
	v_xor_b32_e32 v1, v37, v3
	v_xor_b32_e32 v1, v1, v12
	v_mad_u64_u32 v[2:3], s[4:5], v1, s16, 0
	s_mov_b32 s4, 0xf1bbcdc8
	v_add_u32_e32 v19, 0x8ff34781, v14
	v_xor_b32_e32 v1, v9, v2
	v_add_co_u32_e32 v38, vcc, s4, v14
	v_xor_b32_e32 v2, v19, v1
	v_xor_b32_e32 v1, v38, v3
	;; [unrolled: 1-line block ×3, first 2 shown]
	v_mad_u64_u32 v[10:11], s[4:5], v1, s15, 0
	v_add_u32_e32 v20, 0x96a522ad, v15
	v_xor_b32_e32 v1, v11, v6
	s_mul_i32 s4, s6, s7
	v_xor_b32_e32 v4, v20, v1
	v_add_u32_e32 v1, s4, v0
	s_waitcnt lgkmcnt(0)
	s_mul_i32 s4, s10, s11
	s_mul_i32 s4, s4, s7
	s_lshl_b32 s21, s4, 2
	s_mul_i32 s4, s10, 3
	s_add_i32 s4, s6, s4
	s_mul_i32 s4, s4, s7
	v_mul_lo_u32 v39, s11, v1
	v_add_u32_e32 v1, s4, v0
	s_lshl_b32 s4, s10, 1
	s_add_i32 s4, s6, s4
	s_mul_i32 s4, s4, s7
	v_mul_lo_u32 v40, s11, v1
	v_add_u32_e32 v1, s4, v0
	s_add_i32 s4, s6, s10
	s_mul_i32 s4, s4, s7
	s_mov_b32 s14, 0
	v_add_u32_e32 v0, s4, v0
	v_mov_b32_e32 v3, v8
	v_mov_b32_e32 v5, v10
	s_lshl_b32 s17, s12, 1
	s_mov_b32 s18, s14
	s_mul_i32 s19, s12, 3
	s_mov_b32 s20, s14
	v_mul_lo_u32 v41, s11, v1
	v_mul_lo_u32 v42, s11, v0
	s_mov_b64 s[4:5], 0
	s_mov_b32 s22, s14
	v_mov_b32_e32 v43, v16
	v_mov_b32_e32 v44, v17
	s_branch .LBB70_8
.LBB70_7:                               ;   in Loop: Header=BB70_8 Depth=1
	s_or_b64 exec, exec, s[6:7]
	v_add_co_u32_e32 v16, vcc, s13, v16
	v_addc_co_u32_e32 v17, vcc, 0, v17, vcc
	v_mov_b32_e32 v9, v0
	s_add_i32 s22, s22, s21
	v_cmp_le_i64_e32 vcc, s[2:3], v[16:17]
	v_pk_mov_b32 v[2:3], v[6:7], v[6:7] op_sel:[0,1]
	s_or_b64 s[4:5], vcc, s[4:5]
	v_pk_mov_b32 v[4:5], v[8:9], v[8:9] op_sel:[0,1]
	s_barrier
	s_andn2_b64 exec, exec, s[4:5]
	s_cbranch_execz .LBB70_26
.LBB70_8:                               ; =>This Inner Loop Header: Depth=1
	v_add_co_u32_e32 v29, vcc, 1, v29
	v_cndmask_b32_e64 v0, 0, 1, vcc
	v_addc_co_u32_e32 v30, vcc, 0, v30, vcc
	v_cmp_eq_u32_e32 vcc, 0, v30
	v_cndmask_b32_e32 v0, 0, v0, vcc
	v_add_u32_e32 v43, v0, v43
	v_cmp_eq_u32_e32 vcc, 0, v43
	v_cndmask_b32_e32 v0, 0, v0, vcc
	v_add_u32_e32 v44, v0, v44
	v_mad_u64_u32 v[0:1], s[6:7], v29, s15, 0
	v_mad_u64_u32 v[6:7], s[6:7], v43, s16, 0
	v_xor_b32_e32 v1, v1, v15
	v_xor_b32_e32 v7, v7, v14
	v_xor_b32_e32 v1, v44, v1
	v_xor_b32_e32 v7, v30, v7
	v_mad_u64_u32 v[10:11], s[6:7], v1, s16, 0
	v_mad_u64_u32 v[8:9], s[6:7], v7, s15, 0
	v_xor_b32_e32 v1, v28, v11
	v_xor_b32_e32 v1, v1, v6
	v_xor_b32_e32 v6, v31, v9
	v_xor_b32_e32 v6, v6, v0
	;; [unrolled: 6-line block ×10, first 2 shown]
	v_mov_b32_e32 v7, v12
	v_mov_b32_e32 v8, v13
	v_cmp_lt_i32_e32 vcc, 1, v18
	s_and_saveexec_b64 s[6:7], vcc
	s_xor_b64 s[6:7], exec, s[6:7]
	s_cbranch_execnz .LBB70_18
; %bb.9:                                ;   in Loop: Header=BB70_8 Depth=1
	s_andn2_saveexec_b64 s[6:7], s[6:7]
	s_cbranch_execnz .LBB70_23
.LBB70_10:                              ;   in Loop: Header=BB70_8 Depth=1
	s_or_b64 exec, exec, s[6:7]
	v_cmp_gt_i64_e32 vcc, s[0:1], v[16:17]
	s_and_saveexec_b64 s[6:7], vcc
	s_cbranch_execz .LBB70_12
.LBB70_11:                              ;   in Loop: Header=BB70_8 Depth=1
	v_add_u32_e32 v1, s22, v39
	v_ashrrev_i32_e32 v9, 31, v1
	v_mov_b32_e32 v11, s9
	v_add_co_u32_e32 v10, vcc, s8, v1
	v_addc_co_u32_e32 v11, vcc, v11, v9, vcc
	global_store_byte v[10:11], v2, off
.LBB70_12:                              ;   in Loop: Header=BB70_8 Depth=1
	s_or_b64 exec, exec, s[6:7]
	v_mov_b32_e32 v1, s14
	v_add_co_u32_e32 v10, vcc, s12, v16
	v_addc_co_u32_e32 v11, vcc, v1, v17, vcc
	v_cmp_gt_i64_e32 vcc, s[0:1], v[10:11]
	s_and_saveexec_b64 s[6:7], vcc
	s_cbranch_execz .LBB70_14
; %bb.13:                               ;   in Loop: Header=BB70_8 Depth=1
	v_add_u32_e32 v1, s22, v42
	v_ashrrev_i32_e32 v2, 31, v1
	v_mov_b32_e32 v9, s9
	v_add_co_u32_e32 v10, vcc, s8, v1
	v_addc_co_u32_e32 v11, vcc, v9, v2, vcc
	global_store_byte v[10:11], v3, off
.LBB70_14:                              ;   in Loop: Header=BB70_8 Depth=1
	s_or_b64 exec, exec, s[6:7]
	v_mov_b32_e32 v1, s18
	v_add_co_u32_e32 v2, vcc, s17, v16
	v_addc_co_u32_e32 v3, vcc, v1, v17, vcc
	v_cmp_gt_i64_e32 vcc, s[0:1], v[2:3]
	s_and_saveexec_b64 s[6:7], vcc
	s_cbranch_execz .LBB70_16
; %bb.15:                               ;   in Loop: Header=BB70_8 Depth=1
	v_add_u32_e32 v1, s22, v41
	v_ashrrev_i32_e32 v3, 31, v1
	v_mov_b32_e32 v9, s9
	v_add_co_u32_e32 v2, vcc, s8, v1
	v_addc_co_u32_e32 v3, vcc, v9, v3, vcc
	global_store_byte v[2:3], v4, off
.LBB70_16:                              ;   in Loop: Header=BB70_8 Depth=1
	s_or_b64 exec, exec, s[6:7]
	v_mov_b32_e32 v1, s20
	v_add_co_u32_e32 v2, vcc, s19, v16
	v_addc_co_u32_e32 v3, vcc, v1, v17, vcc
	v_cmp_gt_i64_e32 vcc, s[0:1], v[2:3]
	s_and_saveexec_b64 s[6:7], vcc
	s_cbranch_execz .LBB70_7
; %bb.17:                               ;   in Loop: Header=BB70_8 Depth=1
	v_add_u32_e32 v1, s22, v40
	v_ashrrev_i32_e32 v3, 31, v1
	v_mov_b32_e32 v4, s9
	v_add_co_u32_e32 v2, vcc, s8, v1
	v_addc_co_u32_e32 v3, vcc, v4, v3, vcc
	global_store_byte v[2:3], v5, off
	s_branch .LBB70_7
.LBB70_18:                              ;   in Loop: Header=BB70_8 Depth=1
	v_cmp_lt_i32_e32 vcc, 2, v18
	s_and_saveexec_b64 s[10:11], vcc
	s_xor_b64 s[10:11], exec, s[10:11]
; %bb.19:                               ;   in Loop: Header=BB70_8 Depth=1
	v_mov_b32_e32 v10, v5
	v_mov_b32_e32 v11, v6
	v_pk_mov_b32 v[2:3], v[10:11], v[10:11] op_sel:[0,1]
	v_pk_mov_b32 v[4:5], v[12:13], v[12:13] op_sel:[0,1]
                                        ; implicit-def: $vgpr12_vgpr13
; %bb.20:                               ;   in Loop: Header=BB70_8 Depth=1
	s_andn2_saveexec_b64 s[10:11], s[10:11]
; %bb.21:                               ;   in Loop: Header=BB70_8 Depth=1
	v_mov_b32_e32 v2, v4
	v_mov_b32_e32 v3, v5
	;; [unrolled: 1-line block ×4, first 2 shown]
; %bb.22:                               ;   in Loop: Header=BB70_8 Depth=1
	s_or_b64 exec, exec, s[10:11]
	s_andn2_saveexec_b64 s[6:7], s[6:7]
	s_cbranch_execz .LBB70_10
.LBB70_23:                              ;   in Loop: Header=BB70_8 Depth=1
	v_cmp_eq_u32_e32 vcc, 1, v18
	s_and_saveexec_b64 s[10:11], vcc
; %bb.24:                               ;   in Loop: Header=BB70_8 Depth=1
	v_mov_b32_e32 v2, v3
	v_mov_b32_e32 v3, v4
	;; [unrolled: 1-line block ×4, first 2 shown]
; %bb.25:                               ;   in Loop: Header=BB70_8 Depth=1
	s_or_b64 exec, exec, s[10:11]
	s_or_b64 exec, exec, s[6:7]
	v_cmp_gt_i64_e32 vcc, s[0:1], v[16:17]
	s_and_saveexec_b64 s[6:7], vcc
	s_cbranch_execnz .LBB70_11
	s_branch .LBB70_12
.LBB70_26:
	s_endpgm
.LBB70_27:
                                        ; implicit-def: $sgpr8_sgpr9
	s_andn2_b64 vcc, exec, s[2:3]
	s_cbranch_vccz .LBB70_4
	s_branch .LBB70_5
	.section	.rodata,"a",@progbits
	.p2align	6, 0x0
	.amdhsa_kernel _ZN2at6native12_GLOBAL__N_143distribution_elementwise_grid_stride_kernelIjLi4EZZZNS0_9templates4cuda13random_kernelIPNS_17CUDAGeneratorImplEEEvRNS_18TensorIteratorBaseET_ENKUlvE_clEvENKUlvE_clEvEUlP25hiprandStatePhilox4_32_10E0_ZNS1_27distribution_nullary_kernelIhj15HIP_vector_typeIjLj4EES7_SF_ZZZNS5_IS7_EEvS9_SA_ENKSB_clEvENKSC_clEvEUljE_EEvS9_T2_RKT3_T4_EUlijE_EEvlNS_15PhiloxCudaStateET1_SK_
		.amdhsa_group_segment_fixed_size 0
		.amdhsa_private_segment_fixed_size 0
		.amdhsa_kernarg_size 320
		.amdhsa_user_sgpr_count 6
		.amdhsa_user_sgpr_private_segment_buffer 1
		.amdhsa_user_sgpr_dispatch_ptr 0
		.amdhsa_user_sgpr_queue_ptr 0
		.amdhsa_user_sgpr_kernarg_segment_ptr 1
		.amdhsa_user_sgpr_dispatch_id 0
		.amdhsa_user_sgpr_flat_scratch_init 0
		.amdhsa_user_sgpr_kernarg_preload_length 0
		.amdhsa_user_sgpr_kernarg_preload_offset 0
		.amdhsa_user_sgpr_private_segment_size 0
		.amdhsa_uses_dynamic_stack 0
		.amdhsa_system_sgpr_private_segment_wavefront_offset 0
		.amdhsa_system_sgpr_workgroup_id_x 1
		.amdhsa_system_sgpr_workgroup_id_y 0
		.amdhsa_system_sgpr_workgroup_id_z 0
		.amdhsa_system_sgpr_workgroup_info 0
		.amdhsa_system_vgpr_workitem_id 0
		.amdhsa_next_free_vgpr 48
		.amdhsa_next_free_sgpr 24
		.amdhsa_accum_offset 48
		.amdhsa_reserve_vcc 1
		.amdhsa_reserve_flat_scratch 0
		.amdhsa_float_round_mode_32 0
		.amdhsa_float_round_mode_16_64 0
		.amdhsa_float_denorm_mode_32 3
		.amdhsa_float_denorm_mode_16_64 3
		.amdhsa_dx10_clamp 1
		.amdhsa_ieee_mode 1
		.amdhsa_fp16_overflow 0
		.amdhsa_tg_split 0
		.amdhsa_exception_fp_ieee_invalid_op 0
		.amdhsa_exception_fp_denorm_src 0
		.amdhsa_exception_fp_ieee_div_zero 0
		.amdhsa_exception_fp_ieee_overflow 0
		.amdhsa_exception_fp_ieee_underflow 0
		.amdhsa_exception_fp_ieee_inexact 0
		.amdhsa_exception_int_div_zero 0
	.end_amdhsa_kernel
	.section	.text._ZN2at6native12_GLOBAL__N_143distribution_elementwise_grid_stride_kernelIjLi4EZZZNS0_9templates4cuda13random_kernelIPNS_17CUDAGeneratorImplEEEvRNS_18TensorIteratorBaseET_ENKUlvE_clEvENKUlvE_clEvEUlP25hiprandStatePhilox4_32_10E0_ZNS1_27distribution_nullary_kernelIhj15HIP_vector_typeIjLj4EES7_SF_ZZZNS5_IS7_EEvS9_SA_ENKSB_clEvENKSC_clEvEUljE_EEvS9_T2_RKT3_T4_EUlijE_EEvlNS_15PhiloxCudaStateET1_SK_,"axG",@progbits,_ZN2at6native12_GLOBAL__N_143distribution_elementwise_grid_stride_kernelIjLi4EZZZNS0_9templates4cuda13random_kernelIPNS_17CUDAGeneratorImplEEEvRNS_18TensorIteratorBaseET_ENKUlvE_clEvENKUlvE_clEvEUlP25hiprandStatePhilox4_32_10E0_ZNS1_27distribution_nullary_kernelIhj15HIP_vector_typeIjLj4EES7_SF_ZZZNS5_IS7_EEvS9_SA_ENKSB_clEvENKSC_clEvEUljE_EEvS9_T2_RKT3_T4_EUlijE_EEvlNS_15PhiloxCudaStateET1_SK_,comdat
.Lfunc_end70:
	.size	_ZN2at6native12_GLOBAL__N_143distribution_elementwise_grid_stride_kernelIjLi4EZZZNS0_9templates4cuda13random_kernelIPNS_17CUDAGeneratorImplEEEvRNS_18TensorIteratorBaseET_ENKUlvE_clEvENKUlvE_clEvEUlP25hiprandStatePhilox4_32_10E0_ZNS1_27distribution_nullary_kernelIhj15HIP_vector_typeIjLj4EES7_SF_ZZZNS5_IS7_EEvS9_SA_ENKSB_clEvENKSC_clEvEUljE_EEvS9_T2_RKT3_T4_EUlijE_EEvlNS_15PhiloxCudaStateET1_SK_, .Lfunc_end70-_ZN2at6native12_GLOBAL__N_143distribution_elementwise_grid_stride_kernelIjLi4EZZZNS0_9templates4cuda13random_kernelIPNS_17CUDAGeneratorImplEEEvRNS_18TensorIteratorBaseET_ENKUlvE_clEvENKUlvE_clEvEUlP25hiprandStatePhilox4_32_10E0_ZNS1_27distribution_nullary_kernelIhj15HIP_vector_typeIjLj4EES7_SF_ZZZNS5_IS7_EEvS9_SA_ENKSB_clEvENKSC_clEvEUljE_EEvS9_T2_RKT3_T4_EUlijE_EEvlNS_15PhiloxCudaStateET1_SK_
                                        ; -- End function
	.section	.AMDGPU.csdata,"",@progbits
; Kernel info:
; codeLenInByte = 2336
; NumSgprs: 28
; NumVgprs: 48
; NumAgprs: 0
; TotalNumVgprs: 48
; ScratchSize: 0
; MemoryBound: 0
; FloatMode: 240
; IeeeMode: 1
; LDSByteSize: 0 bytes/workgroup (compile time only)
; SGPRBlocks: 3
; VGPRBlocks: 5
; NumSGPRsForWavesPerEU: 28
; NumVGPRsForWavesPerEU: 48
; AccumOffset: 48
; Occupancy: 8
; WaveLimiterHint : 0
; COMPUTE_PGM_RSRC2:SCRATCH_EN: 0
; COMPUTE_PGM_RSRC2:USER_SGPR: 6
; COMPUTE_PGM_RSRC2:TRAP_HANDLER: 0
; COMPUTE_PGM_RSRC2:TGID_X_EN: 1
; COMPUTE_PGM_RSRC2:TGID_Y_EN: 0
; COMPUTE_PGM_RSRC2:TGID_Z_EN: 0
; COMPUTE_PGM_RSRC2:TIDIG_COMP_CNT: 0
; COMPUTE_PGM_RSRC3_GFX90A:ACCUM_OFFSET: 11
; COMPUTE_PGM_RSRC3_GFX90A:TG_SPLIT: 0
	.section	.text._ZN2at6native12_GLOBAL__N_143distribution_elementwise_grid_stride_kernelIjLi4EZZZNS0_9templates4cuda13random_kernelIPNS_17CUDAGeneratorImplEEEvRNS_18TensorIteratorBaseET_ENKUlvE_clEvENKUlvE_clEvEUlP25hiprandStatePhilox4_32_10E0_ZNS1_27distribution_nullary_kernelIhj15HIP_vector_typeIjLj4EES7_SF_ZZZNS5_IS7_EEvS9_SA_ENKSB_clEvENKSC_clEvEUljE_EEvS9_T2_RKT3_T4_EUlijE0_EEvlNS_15PhiloxCudaStateET1_SK_,"axG",@progbits,_ZN2at6native12_GLOBAL__N_143distribution_elementwise_grid_stride_kernelIjLi4EZZZNS0_9templates4cuda13random_kernelIPNS_17CUDAGeneratorImplEEEvRNS_18TensorIteratorBaseET_ENKUlvE_clEvENKUlvE_clEvEUlP25hiprandStatePhilox4_32_10E0_ZNS1_27distribution_nullary_kernelIhj15HIP_vector_typeIjLj4EES7_SF_ZZZNS5_IS7_EEvS9_SA_ENKSB_clEvENKSC_clEvEUljE_EEvS9_T2_RKT3_T4_EUlijE0_EEvlNS_15PhiloxCudaStateET1_SK_,comdat
	.globl	_ZN2at6native12_GLOBAL__N_143distribution_elementwise_grid_stride_kernelIjLi4EZZZNS0_9templates4cuda13random_kernelIPNS_17CUDAGeneratorImplEEEvRNS_18TensorIteratorBaseET_ENKUlvE_clEvENKUlvE_clEvEUlP25hiprandStatePhilox4_32_10E0_ZNS1_27distribution_nullary_kernelIhj15HIP_vector_typeIjLj4EES7_SF_ZZZNS5_IS7_EEvS9_SA_ENKSB_clEvENKSC_clEvEUljE_EEvS9_T2_RKT3_T4_EUlijE0_EEvlNS_15PhiloxCudaStateET1_SK_ ; -- Begin function _ZN2at6native12_GLOBAL__N_143distribution_elementwise_grid_stride_kernelIjLi4EZZZNS0_9templates4cuda13random_kernelIPNS_17CUDAGeneratorImplEEEvRNS_18TensorIteratorBaseET_ENKUlvE_clEvENKUlvE_clEvEUlP25hiprandStatePhilox4_32_10E0_ZNS1_27distribution_nullary_kernelIhj15HIP_vector_typeIjLj4EES7_SF_ZZZNS5_IS7_EEvS9_SA_ENKSB_clEvENKSC_clEvEUljE_EEvS9_T2_RKT3_T4_EUlijE0_EEvlNS_15PhiloxCudaStateET1_SK_
	.p2align	8
	.type	_ZN2at6native12_GLOBAL__N_143distribution_elementwise_grid_stride_kernelIjLi4EZZZNS0_9templates4cuda13random_kernelIPNS_17CUDAGeneratorImplEEEvRNS_18TensorIteratorBaseET_ENKUlvE_clEvENKUlvE_clEvEUlP25hiprandStatePhilox4_32_10E0_ZNS1_27distribution_nullary_kernelIhj15HIP_vector_typeIjLj4EES7_SF_ZZZNS5_IS7_EEvS9_SA_ENKSB_clEvENKSC_clEvEUljE_EEvS9_T2_RKT3_T4_EUlijE0_EEvlNS_15PhiloxCudaStateET1_SK_,@function
_ZN2at6native12_GLOBAL__N_143distribution_elementwise_grid_stride_kernelIjLi4EZZZNS0_9templates4cuda13random_kernelIPNS_17CUDAGeneratorImplEEEvRNS_18TensorIteratorBaseET_ENKUlvE_clEvENKUlvE_clEvEUlP25hiprandStatePhilox4_32_10E0_ZNS1_27distribution_nullary_kernelIhj15HIP_vector_typeIjLj4EES7_SF_ZZZNS5_IS7_EEvS9_SA_ENKSB_clEvENKSC_clEvEUljE_EEvS9_T2_RKT3_T4_EUlijE0_EEvlNS_15PhiloxCudaStateET1_SK_: ; @_ZN2at6native12_GLOBAL__N_143distribution_elementwise_grid_stride_kernelIjLi4EZZZNS0_9templates4cuda13random_kernelIPNS_17CUDAGeneratorImplEEEvRNS_18TensorIteratorBaseET_ENKUlvE_clEvENKUlvE_clEvEUlP25hiprandStatePhilox4_32_10E0_ZNS1_27distribution_nullary_kernelIhj15HIP_vector_typeIjLj4EES7_SF_ZZZNS5_IS7_EEvS9_SA_ENKSB_clEvENKSC_clEvEUljE_EEvS9_T2_RKT3_T4_EUlijE0_EEvlNS_15PhiloxCudaStateET1_SK_
; %bb.0:
	s_load_dword s2, s[4:5], 0x20
	s_load_dwordx2 s[0:1], s[4:5], 0x10
	s_load_dwordx4 s[24:27], s[4:5], 0x0
	s_waitcnt lgkmcnt(0)
	s_bitcmp0_b32 s2, 0
	s_mov_b32 s2, 0
	v_pk_mov_b32 v[2:3], s[0:1], s[0:1] op_sel:[0,1]
	v_pk_mov_b32 v[12:13], s[26:27], s[26:27] op_sel:[0,1]
	s_cbranch_scc1 .LBB71_2
; %bb.1:
	v_pk_mov_b32 v[2:3], s[0:1], s[0:1] op_sel:[0,1]
	flat_load_dwordx2 v[2:3], v[2:3]
	v_pk_mov_b32 v[4:5], s[26:27], s[26:27] op_sel:[0,1]
	flat_load_dwordx2 v[12:13], v[4:5]
	s_load_dwordx2 s[0:1], s[4:5], 0x18
	s_waitcnt lgkmcnt(0)
	v_mov_b32_e32 v1, s1
	s_waitcnt vmcnt(0)
	v_add_co_u32_e32 v2, vcc, s0, v2
	v_addc_co_u32_e32 v3, vcc, v3, v1, vcc
.LBB71_2:
	s_load_dword s0, s[4:5], 0x154
	s_load_dword s7, s[4:5], 0x148
	s_waitcnt lgkmcnt(0)
	s_and_b32 s8, s0, 0xffff
	s_add_u32 s9, s24, -1
	s_mul_i32 s33, s7, s8
	s_addc_u32 s3, s25, -1
	s_lshl_b32 s58, s33, 2
	s_cmp_lg_u64 s[2:3], 0
	s_mov_b64 s[0:1], -1
	s_cbranch_scc0 .LBB71_83
; %bb.3:
	v_cvt_f32_u32_e32 v1, s58
	v_cvt_f32_ubyte0_e32 v4, 0
	s_sub_u32 s2, 0, s58
	s_subb_u32 s10, 0, 0
	v_madmk_f32 v1, v4, 0x4f800000, v1
	v_rcp_f32_e32 v1, v1
	v_mul_f32_e32 v1, 0x5f7ffffc, v1
	v_mul_f32_e32 v4, 0x2f800000, v1
	v_trunc_f32_e32 v4, v4
	v_madmk_f32 v1, v4, 0xcf800000, v1
	v_cvt_u32_f32_e32 v4, v4
	v_cvt_u32_f32_e32 v1, v1
	v_readfirstlane_b32 s11, v4
	v_readfirstlane_b32 s12, v1
	s_mul_i32 s13, s2, s11
	s_mul_hi_u32 s15, s2, s12
	s_mul_i32 s14, s10, s12
	s_add_i32 s13, s15, s13
	s_add_i32 s13, s13, s14
	s_mul_i32 s16, s2, s12
	s_mul_hi_u32 s14, s12, s13
	s_mul_i32 s15, s12, s13
	s_mul_hi_u32 s12, s12, s16
	s_add_u32 s12, s12, s15
	s_addc_u32 s14, 0, s14
	s_mul_hi_u32 s17, s11, s16
	s_mul_i32 s16, s11, s16
	s_add_u32 s12, s12, s16
	s_mul_hi_u32 s15, s11, s13
	s_addc_u32 s12, s14, s17
	s_addc_u32 s14, s15, 0
	s_mul_i32 s13, s11, s13
	s_add_u32 s12, s12, s13
	s_addc_u32 s13, 0, s14
	v_add_co_u32_e32 v1, vcc, s12, v1
	s_cmp_lg_u64 vcc, 0
	s_addc_u32 s11, s11, s13
	v_readfirstlane_b32 s13, v1
	s_mul_i32 s12, s2, s11
	s_mul_hi_u32 s14, s2, s13
	s_add_i32 s12, s14, s12
	s_mul_i32 s10, s10, s13
	s_add_i32 s12, s12, s10
	s_mul_i32 s2, s2, s13
	s_mul_hi_u32 s14, s11, s2
	s_mul_i32 s15, s11, s2
	s_mul_i32 s17, s13, s12
	s_mul_hi_u32 s2, s13, s2
	s_mul_hi_u32 s16, s13, s12
	s_add_u32 s2, s2, s17
	s_addc_u32 s13, 0, s16
	s_add_u32 s2, s2, s15
	s_mul_hi_u32 s10, s11, s12
	s_addc_u32 s2, s13, s14
	s_addc_u32 s10, s10, 0
	s_mul_i32 s12, s11, s12
	s_add_u32 s2, s2, s12
	s_addc_u32 s10, 0, s10
	v_add_co_u32_e32 v1, vcc, s2, v1
	s_cmp_lg_u64 vcc, 0
	s_addc_u32 s12, s11, s10
	s_ashr_i32 s10, s3, 31
	s_add_u32 s2, s9, s10
	s_mov_b32 s11, s10
	s_addc_u32 s3, s3, s10
	s_xor_b64 s[2:3], s[2:3], s[10:11]
	v_readfirstlane_b32 s15, v1
	s_mul_i32 s14, s2, s12
	s_mul_hi_u32 s16, s2, s15
	s_mul_hi_u32 s13, s2, s12
	s_add_u32 s14, s16, s14
	s_addc_u32 s13, 0, s13
	s_mul_hi_u32 s17, s3, s15
	s_mul_i32 s15, s3, s15
	s_add_u32 s14, s14, s15
	s_mul_hi_u32 s16, s3, s12
	s_addc_u32 s13, s13, s17
	s_addc_u32 s14, s16, 0
	s_mul_i32 s12, s3, s12
	s_add_u32 s12, s13, s12
	s_addc_u32 s13, 0, s14
	s_add_u32 s14, s12, 1
	s_addc_u32 s15, s13, 0
	s_add_u32 s16, s12, 2
	s_mul_i32 s18, s58, s13
	s_mul_hi_u32 s19, s58, s12
	s_addc_u32 s17, s13, 0
	s_add_i32 s19, s19, s18
	s_mul_i32 s18, s58, s12
	v_mov_b32_e32 v1, s18
	v_sub_co_u32_e32 v1, vcc, s2, v1
	s_cmp_lg_u64 vcc, 0
	s_subb_u32 s2, s3, s19
	v_subrev_co_u32_e32 v4, vcc, s58, v1
	s_cmp_lg_u64 vcc, 0
	s_subb_u32 s3, s2, 0
	v_readfirstlane_b32 s18, v4
	s_cmp_ge_u32 s18, s58
	s_cselect_b32 s18, -1, 0
	s_cmp_eq_u32 s3, 0
	s_cselect_b32 s3, s18, -1
	s_cmp_lg_u32 s3, 0
	s_cselect_b32 s3, s17, s15
	v_readfirstlane_b32 s15, v1
	s_cselect_b32 s14, s16, s14
	s_cmp_ge_u32 s15, s58
	s_cselect_b32 s15, -1, 0
	s_cmp_eq_u32 s2, 0
	s_cselect_b32 s2, s15, -1
	s_cmp_lg_u32 s2, 0
	s_cselect_b32 s3, s3, s13
	s_cselect_b32 s2, s14, s12
	s_xor_b64 s[2:3], s[2:3], s[10:11]
	s_sub_u32 s2, s2, s10
	s_subb_u32 s3, s3, s10
	s_cbranch_execnz .LBB71_5
.LBB71_4:
	v_cvt_f32_u32_e32 v1, s58
	s_sub_i32 s0, 0, s58
	s_mov_b32 s3, 0
	v_rcp_iflag_f32_e32 v1, v1
	v_mul_f32_e32 v1, 0x4f7ffffe, v1
	v_cvt_u32_f32_e32 v1, v1
	v_readfirstlane_b32 s1, v1
	s_mul_i32 s0, s0, s1
	s_mul_hi_u32 s0, s1, s0
	s_add_i32 s1, s1, s0
	s_mul_hi_u32 s0, s9, s1
	s_mul_i32 s2, s0, s58
	s_sub_i32 s2, s9, s2
	s_add_i32 s1, s0, 1
	s_sub_i32 s9, s2, s58
	s_cmp_ge_u32 s2, s58
	s_cselect_b32 s0, s1, s0
	s_cselect_b32 s2, s9, s2
	s_add_i32 s1, s0, 1
	s_cmp_ge_u32 s2, s58
	s_cselect_b32 s2, s1, s0
.LBB71_5:
	v_mov_b32_e32 v1, 0
	v_mov_b32_e32 v4, s6
	v_mad_u64_u32 v[14:15], s[0:1], s8, v4, v[0:1]
	s_add_u32 s0, s2, 1
	s_addc_u32 s1, s3, 0
	s_mul_hi_u32 s2, s7, s8
	s_mul_i32 s1, s33, s1
	s_mul_hi_u32 s3, s33, s0
	s_add_i32 s1, s3, s1
	s_mul_i32 s2, s2, s0
	s_add_i32 s1, s1, s2
	s_mul_i32 s0, s33, s0
	s_lshl_b64 s[26:27], s[0:1], 2
	v_cmp_gt_i64_e32 vcc, s[26:27], v[14:15]
	s_and_saveexec_b64 s[0:1], vcc
	s_cbranch_execz .LBB71_82
; %bb.6:
	s_mov_b32 s0, 0x5384540f
	v_mov_b32_e32 v0, v13
	v_add_co_u32_e32 v22, vcc, s0, v12
	s_mov_b32 s0, 0x646e171e
	v_add_co_u32_e32 v23, vcc, s0, v0
	s_mov_b32 s0, 0x1715609d
	;; [unrolled: 2-line block ×6, first 2 shown]
	v_alignbit_b32 v29, v3, v2, 2
	s_mov_b32 s60, 0xd2511f53
	v_add_co_u32_e32 v28, vcc, s0, v12
	v_mad_u64_u32 v[4:5], s[0:1], v29, s60, 0
	v_xor_b32_e32 v1, v5, v13
	v_xor_b32_e32 v1, v1, v15
	s_mov_b32 s61, 0xcd9e8d57
	v_mad_u64_u32 v[6:7], s[0:1], v1, s61, 0
	v_xor_b32_e32 v1, v28, v7
	v_mad_u64_u32 v[8:9], s[0:1], v14, s61, 0
	v_and_b32_e32 v18, 3, v2
	v_xor_b32_e32 v1, v1, v8
	v_xor_b32_e32 v2, v12, v9
	v_lshrrev_b32_e32 v30, 2, v3
	v_mad_u64_u32 v[10:11], s[0:1], v1, s60, 0
	v_xor_b32_e32 v2, v2, v30
	v_xor_b32_e32 v1, v27, v11
	v_mad_u64_u32 v[2:3], s[0:1], v2, s60, 0
	v_xor_b32_e32 v1, v1, v2
	v_mad_u64_u32 v[8:9], s[0:1], v1, s61, 0
	s_mov_b32 s0, 0xbb67ae85
	v_add_co_u32_e32 v31, vcc, s0, v0
	v_xor_b32_e32 v2, v31, v3
	v_xor_b32_e32 v2, v2, v4
	v_xor_b32_e32 v1, v26, v9
	v_mad_u64_u32 v[2:3], s[0:1], v2, s61, 0
	v_xor_b32_e32 v1, v1, v2
	v_mad_u64_u32 v[4:5], s[0:1], v1, s60, 0
	s_mov_b32 s0, 0x3c6ef372
	v_add_co_u32_e32 v32, vcc, s0, v12
	v_xor_b32_e32 v2, v32, v3
	;; [unrolled: 8-line block ×6, first 2 shown]
	v_add_co_u32_e32 v21, vcc, 0xdb3d7428, v0
	v_xor_b32_e32 v2, v2, v6
	v_xor_b32_e32 v1, v21, v5
	v_mad_u64_u32 v[2:3], s[0:1], v2, s60, 0
	v_xor_b32_e32 v1, v1, v2
	v_mad_u64_u32 v[6:7], s[0:1], v1, s61, 0
	s_mov_b32 s0, 0x1fd5c5a3
	v_add_co_u32_e32 v37, vcc, s0, v0
	v_xor_b32_e32 v0, v37, v3
	v_xor_b32_e32 v0, v0, v10
	v_mad_u64_u32 v[0:1], s[0:1], v0, s61, 0
	s_mov_b32 s0, 0xf1bbcdc8
	s_load_dwordx8 s[8:15], s[4:5], 0x30
	v_add_co_u32_e32 v38, vcc, s0, v12
	v_xor_b32_e32 v1, v38, v1
	v_xor_b32_e32 v1, v1, v8
	s_add_u32 s34, s4, 48
	v_mad_u64_u32 v[8:9], s[0:1], v1, s60, 0
	s_addc_u32 s35, s5, 0
	s_waitcnt lgkmcnt(0)
	s_add_i32 s0, s8, -1
	s_cmp_gt_u32 s0, 1
	s_cselect_b64 s[36:37], -1, 0
	s_cmp_lg_u32 s8, 0
	s_cselect_b64 s[38:39], -1, 0
	s_add_u32 s40, s4, 0xf4
	s_addc_u32 s41, s5, 0
	s_min_u32 s1, s0, 15
	s_cmp_gt_u32 s8, 1
	s_cselect_b64 s[42:43], -1, 0
	s_add_i32 s1, s1, 1
	s_mov_b32 s8, s13
	s_load_dwordx2 s[44:45], s[4:5], 0xf4
	s_load_dwordx2 s[46:47], s[4:5], 0x138
	s_lshl_b32 s13, s33, 1
	s_and_b32 s64, s1, 3
	s_cmp_lg_u32 s0, 2
	s_cselect_b64 s[48:49], -1, 0
	s_and_b32 s65, s1, 28
	s_mov_b32 s59, 0
	v_add_u32_e32 v19, 0x8ff34781, v12
	v_add_u32_e32 v20, 0x96a522ad, v13
	v_xor_b32_e32 v0, v7, v0
	v_xor_b32_e32 v1, v9, v4
	s_cmp_lg_u32 s64, 0
	v_xor_b32_e32 v0, v19, v0
	v_xor_b32_e32 v2, v20, v1
	v_mov_b32_e32 v1, v6
	v_mov_b32_e32 v3, v8
	s_mov_b32 s15, s59
	s_mul_i32 s62, s33, 3
	s_mov_b32 s63, s59
	s_mov_b64 s[50:51], 0
	s_cselect_b64 s[52:53], -1, 0
	v_mov_b32_e32 v39, v14
	v_mov_b32_e32 v40, v15
	s_branch .LBB71_9
.LBB71_7:                               ;   in Loop: Header=BB71_9 Depth=1
	s_waitcnt lgkmcnt(0)
	global_store_byte v8, v3, s[46:47]
.LBB71_8:                               ;   in Loop: Header=BB71_9 Depth=1
	s_or_b64 exec, exec, s[28:29]
	v_add_co_u32_e32 v14, vcc, s58, v14
	v_addc_co_u32_e32 v15, vcc, 0, v15, vcc
	v_mov_b32_e32 v7, v16
	v_cmp_le_i64_e32 vcc, s[26:27], v[14:15]
	v_pk_mov_b32 v[0:1], v[4:5], v[4:5] op_sel:[0,1]
	s_or_b64 s[50:51], vcc, s[50:51]
	v_pk_mov_b32 v[2:3], v[6:7], v[6:7] op_sel:[0,1]
	s_waitcnt lgkmcnt(0)
	s_barrier
	s_andn2_b64 exec, exec, s[50:51]
	s_cbranch_execz .LBB71_82
.LBB71_9:                               ; =>This Loop Header: Depth=1
                                        ;     Child Loop BB71_24 Depth 2
                                        ;     Child Loop BB71_30 Depth 2
	;; [unrolled: 1-line block ×8, first 2 shown]
	v_add_co_u32_e32 v29, vcc, 1, v29
	v_cndmask_b32_e64 v4, 0, 1, vcc
	v_addc_co_u32_e32 v30, vcc, 0, v30, vcc
	v_cmp_eq_u32_e32 vcc, 0, v30
	v_cndmask_b32_e32 v4, 0, v4, vcc
	v_add_u32_e32 v39, v4, v39
	v_cmp_eq_u32_e32 vcc, 0, v39
	v_cndmask_b32_e32 v4, 0, v4, vcc
	v_add_u32_e32 v40, v4, v40
	v_mad_u64_u32 v[4:5], s[0:1], v29, s60, 0
	v_mad_u64_u32 v[6:7], s[0:1], v39, s61, 0
	v_xor_b32_e32 v5, v5, v13
	v_xor_b32_e32 v7, v7, v12
	v_xor_b32_e32 v5, v40, v5
	v_xor_b32_e32 v7, v30, v7
	v_mad_u64_u32 v[10:11], s[0:1], v5, s61, 0
	v_mad_u64_u32 v[8:9], s[0:1], v7, s60, 0
	v_xor_b32_e32 v5, v28, v11
	v_xor_b32_e32 v5, v5, v6
	v_xor_b32_e32 v6, v31, v9
	v_xor_b32_e32 v6, v6, v4
	;; [unrolled: 6-line block ×10, first 2 shown]
	v_mov_b32_e32 v5, v10
	v_mov_b32_e32 v6, v11
	v_cmp_lt_i32_e32 vcc, 1, v18
	s_and_saveexec_b64 s[0:1], vcc
	s_xor_b64 s[0:1], exec, s[0:1]
	s_cbranch_execz .LBB71_15
; %bb.10:                               ;   in Loop: Header=BB71_9 Depth=1
	v_cmp_lt_i32_e32 vcc, 2, v18
	s_and_saveexec_b64 s[2:3], vcc
	s_xor_b64 s[2:3], exec, s[2:3]
; %bb.11:                               ;   in Loop: Header=BB71_9 Depth=1
	v_mov_b32_e32 v8, v3
	v_mov_b32_e32 v9, v4
	v_pk_mov_b32 v[0:1], v[8:9], v[8:9] op_sel:[0,1]
	v_pk_mov_b32 v[2:3], v[10:11], v[10:11] op_sel:[0,1]
                                        ; implicit-def: $vgpr10_vgpr11
; %bb.12:                               ;   in Loop: Header=BB71_9 Depth=1
	s_andn2_saveexec_b64 s[2:3], s[2:3]
; %bb.13:                               ;   in Loop: Header=BB71_9 Depth=1
	v_mov_b32_e32 v0, v2
	v_mov_b32_e32 v1, v3
	v_mov_b32_e32 v2, v4
	v_mov_b32_e32 v3, v10
; %bb.14:                               ;   in Loop: Header=BB71_9 Depth=1
	s_or_b64 exec, exec, s[2:3]
.LBB71_15:                              ;   in Loop: Header=BB71_9 Depth=1
	s_andn2_saveexec_b64 s[0:1], s[0:1]
	s_cbranch_execz .LBB71_19
; %bb.16:                               ;   in Loop: Header=BB71_9 Depth=1
	v_cmp_eq_u32_e32 vcc, 1, v18
	s_and_saveexec_b64 s[2:3], vcc
; %bb.17:                               ;   in Loop: Header=BB71_9 Depth=1
	v_mov_b32_e32 v0, v1
	v_mov_b32_e32 v1, v2
	;; [unrolled: 1-line block ×4, first 2 shown]
; %bb.18:                               ;   in Loop: Header=BB71_9 Depth=1
	s_or_b64 exec, exec, s[2:3]
.LBB71_19:                              ;   in Loop: Header=BB71_9 Depth=1
	s_or_b64 exec, exec, s[0:1]
	v_cndmask_b32_e64 v7, 0, 1, s[36:37]
	v_cmp_gt_i64_e32 vcc, s[24:25], v[14:15]
	v_cmp_ne_u32_e64 s[0:1], 1, v7
	s_and_saveexec_b64 s[2:3], vcc
	s_cbranch_execz .LBB71_35
; %bb.20:                               ;   in Loop: Header=BB71_9 Depth=1
	s_and_b64 vcc, exec, s[0:1]
	s_cbranch_vccnz .LBB71_26
; %bb.21:                               ;   in Loop: Header=BB71_9 Depth=1
	s_andn2_b64 vcc, exec, s[38:39]
	s_cbranch_vccnz .LBB71_27
; %bb.22:                               ;   in Loop: Header=BB71_9 Depth=1
	s_mov_b32 s6, 0
	s_andn2_b64 vcc, exec, s[48:49]
	v_mov_b32_e32 v8, 0
	s_cbranch_vccnz .LBB71_28
; %bb.23:                               ;   in Loop: Header=BB71_9 Depth=1
	s_mov_b32 s66, 0
	v_mov_b32_e32 v8, 0
	s_mov_b64 s[54:55], s[34:35]
	s_mov_b64 s[56:57], s[40:41]
	v_mov_b32_e32 v7, v14
.LBB71_24:                              ;   Parent Loop BB71_9 Depth=1
                                        ; =>  This Inner Loop Header: Depth=2
	s_load_dwordx8 s[16:23], s[54:55], 0x4
	s_load_dwordx4 s[4:7], s[54:55], 0x24
	s_load_dwordx4 s[28:31], s[56:57], 0x0
	s_add_u32 s54, s54, 48
	s_addc_u32 s55, s55, 0
	s_waitcnt lgkmcnt(0)
	v_mul_hi_u32 v9, s17, v7
	v_add_u32_e32 v9, v7, v9
	v_lshrrev_b32_e32 v9, s18, v9
	v_mul_lo_u32 v10, v9, s16
	v_mul_hi_u32 v11, s20, v9
	v_sub_u32_e32 v7, v7, v10
	v_add_u32_e32 v10, v9, v11
	v_lshrrev_b32_e32 v10, s21, v10
	v_mul_lo_u32 v11, v10, s19
	v_mul_hi_u32 v17, s23, v10
	v_sub_u32_e32 v9, v9, v11
	v_add_u32_e32 v11, v10, v17
	v_mul_lo_u32 v7, v7, s28
	v_mul_lo_u32 v9, v9, s29
	v_lshrrev_b32_e32 v11, s4, v11
	v_add3_u32 v8, v7, v8, v9
	v_mul_lo_u32 v7, v11, s22
	v_mul_hi_u32 v9, s6, v11
	v_sub_u32_e32 v7, v10, v7
	v_add_u32_e32 v9, v11, v9
	v_mul_lo_u32 v10, v7, s30
	v_lshrrev_b32_e32 v7, s7, v9
	s_add_i32 s66, s66, 4
	v_mul_lo_u32 v9, v7, s5
	s_add_u32 s56, s56, 16
	v_sub_u32_e32 v9, v11, v9
	s_addc_u32 s57, s57, 0
	v_mul_lo_u32 v9, v9, s31
	s_cmp_lg_u32 s65, s66
	v_add3_u32 v8, v10, v8, v9
	s_cbranch_scc1 .LBB71_24
; %bb.25:                               ;   in Loop: Header=BB71_9 Depth=1
	s_mov_b32 s6, s65
	s_andn2_b64 vcc, exec, s[52:53]
	s_cbranch_vccz .LBB71_29
	s_branch .LBB71_31
.LBB71_26:                              ;   in Loop: Header=BB71_9 Depth=1
                                        ; implicit-def: $vgpr8
	s_branch .LBB71_32
.LBB71_27:                              ;   in Loop: Header=BB71_9 Depth=1
	v_mov_b32_e32 v8, 0
	s_branch .LBB71_31
.LBB71_28:                              ;   in Loop: Header=BB71_9 Depth=1
	v_mov_b32_e32 v7, v14
	s_andn2_b64 vcc, exec, s[52:53]
	s_cbranch_vccnz .LBB71_31
.LBB71_29:                              ;   in Loop: Header=BB71_9 Depth=1
	s_lshl_b32 s4, s6, 2
	s_add_u32 s4, s40, s4
	s_addc_u32 s5, s41, 0
	s_mul_i32 s6, s6, 12
	s_add_u32 s6, s34, s6
	s_addc_u32 s7, s35, 0
	s_mov_b32 s16, s64
.LBB71_30:                              ;   Parent Loop BB71_9 Depth=1
                                        ; =>  This Inner Loop Header: Depth=2
	s_load_dwordx2 s[18:19], s[6:7], 0x4
	s_load_dword s17, s[6:7], 0xc
	s_load_dword s20, s[4:5], 0x0
	s_add_u32 s6, s6, 12
	s_addc_u32 s7, s7, 0
	s_waitcnt lgkmcnt(0)
	v_mul_hi_u32 v9, s19, v7
	v_add_u32_e32 v9, v7, v9
	v_lshrrev_b32_e32 v9, s17, v9
	s_add_u32 s4, s4, 4
	v_mul_lo_u32 v10, v9, s18
	s_addc_u32 s5, s5, 0
	s_add_i32 s16, s16, -1
	v_sub_u32_e32 v10, v7, v10
	s_cmp_lg_u32 s16, 0
	v_mov_b32_e32 v7, v9
	v_mad_u64_u32 v[8:9], s[18:19], v10, s20, v[8:9]
	s_cbranch_scc1 .LBB71_30
.LBB71_31:                              ;   in Loop: Header=BB71_9 Depth=1
	s_cbranch_execnz .LBB71_34
.LBB71_32:                              ;   in Loop: Header=BB71_9 Depth=1
	v_mul_hi_u32 v7, v14, s10
	v_add_u32_e32 v7, v7, v14
	v_lshrrev_b32_e32 v7, s11, v7
	v_mul_lo_u32 v8, v7, s9
	v_sub_u32_e32 v8, v14, v8
	s_andn2_b64 vcc, exec, s[42:43]
	s_waitcnt lgkmcnt(0)
	v_mul_lo_u32 v8, v8, s44
	s_cbranch_vccnz .LBB71_34
; %bb.33:                               ;   in Loop: Header=BB71_9 Depth=1
	v_mul_hi_u32 v9, s8, v7
	v_add_u32_e32 v9, v7, v9
	v_lshrrev_b32_e32 v9, s14, v9
	v_mul_lo_u32 v9, v9, s12
	v_sub_u32_e32 v7, v7, v9
	v_mad_u64_u32 v[8:9], s[4:5], v7, s45, v[8:9]
.LBB71_34:                              ;   in Loop: Header=BB71_9 Depth=1
	s_waitcnt lgkmcnt(0)
	global_store_byte v8, v0, s[46:47]
.LBB71_35:                              ;   in Loop: Header=BB71_9 Depth=1
	s_or_b64 exec, exec, s[2:3]
	v_mov_b32_e32 v0, s59
	v_add_co_u32_e32 v8, vcc, s33, v14
	v_addc_co_u32_e32 v9, vcc, v15, v0, vcc
	v_cmp_gt_i64_e32 vcc, s[24:25], v[8:9]
	s_and_saveexec_b64 s[2:3], vcc
	s_cbranch_execz .LBB71_51
; %bb.36:                               ;   in Loop: Header=BB71_9 Depth=1
	s_and_b64 vcc, exec, s[0:1]
	s_cbranch_vccnz .LBB71_42
; %bb.37:                               ;   in Loop: Header=BB71_9 Depth=1
	s_andn2_b64 vcc, exec, s[38:39]
	s_cbranch_vccnz .LBB71_43
; %bb.38:                               ;   in Loop: Header=BB71_9 Depth=1
	s_mov_b32 s6, 0
	s_andn2_b64 vcc, exec, s[48:49]
	v_mov_b32_e32 v10, 0
	s_cbranch_vccnz .LBB71_44
; %bb.39:                               ;   in Loop: Header=BB71_9 Depth=1
	s_mov_b32 s66, 0
	v_mov_b32_e32 v10, 0
	s_mov_b64 s[54:55], s[34:35]
	s_mov_b64 s[56:57], s[40:41]
	v_mov_b32_e32 v0, v8
.LBB71_40:                              ;   Parent Loop BB71_9 Depth=1
                                        ; =>  This Inner Loop Header: Depth=2
	s_load_dwordx8 s[16:23], s[54:55], 0x4
	s_load_dwordx4 s[4:7], s[54:55], 0x24
	s_load_dwordx4 s[28:31], s[56:57], 0x0
	s_add_u32 s54, s54, 48
	s_addc_u32 s55, s55, 0
	s_waitcnt lgkmcnt(0)
	v_mul_hi_u32 v7, s17, v0
	v_add_u32_e32 v7, v0, v7
	v_lshrrev_b32_e32 v7, s18, v7
	v_mul_lo_u32 v9, v7, s16
	v_mul_hi_u32 v11, s20, v7
	v_sub_u32_e32 v0, v0, v9
	v_add_u32_e32 v9, v7, v11
	v_lshrrev_b32_e32 v9, s21, v9
	v_mul_lo_u32 v11, v9, s19
	v_mul_hi_u32 v17, s23, v9
	v_sub_u32_e32 v7, v7, v11
	v_add_u32_e32 v11, v9, v17
	v_mul_lo_u32 v0, v0, s28
	v_mul_lo_u32 v7, v7, s29
	v_lshrrev_b32_e32 v11, s4, v11
	v_add3_u32 v7, v0, v10, v7
	v_mul_lo_u32 v0, v11, s22
	v_mul_hi_u32 v10, s6, v11
	v_sub_u32_e32 v0, v9, v0
	v_add_u32_e32 v9, v11, v10
	v_mul_lo_u32 v10, v0, s30
	v_lshrrev_b32_e32 v0, s7, v9
	s_add_i32 s66, s66, 4
	v_mul_lo_u32 v9, v0, s5
	s_add_u32 s56, s56, 16
	v_sub_u32_e32 v9, v11, v9
	s_addc_u32 s57, s57, 0
	v_mul_lo_u32 v9, v9, s31
	s_cmp_eq_u32 s65, s66
	v_add3_u32 v10, v10, v7, v9
	s_cbranch_scc0 .LBB71_40
; %bb.41:                               ;   in Loop: Header=BB71_9 Depth=1
	s_mov_b32 s6, s65
	s_andn2_b64 vcc, exec, s[52:53]
	s_cbranch_vccz .LBB71_45
	s_branch .LBB71_47
.LBB71_42:                              ;   in Loop: Header=BB71_9 Depth=1
                                        ; implicit-def: $vgpr10
	s_branch .LBB71_48
.LBB71_43:                              ;   in Loop: Header=BB71_9 Depth=1
	v_mov_b32_e32 v10, 0
	s_branch .LBB71_47
.LBB71_44:                              ;   in Loop: Header=BB71_9 Depth=1
	v_mov_b32_e32 v0, v8
	s_andn2_b64 vcc, exec, s[52:53]
	s_cbranch_vccnz .LBB71_47
.LBB71_45:                              ;   in Loop: Header=BB71_9 Depth=1
	s_lshl_b32 s4, s6, 2
	s_add_u32 s4, s40, s4
	s_addc_u32 s5, s41, 0
	s_mul_i32 s6, s6, 12
	s_add_u32 s6, s34, s6
	s_addc_u32 s7, s35, 0
	s_mov_b32 s16, s64
.LBB71_46:                              ;   Parent Loop BB71_9 Depth=1
                                        ; =>  This Inner Loop Header: Depth=2
	s_load_dwordx2 s[18:19], s[6:7], 0x4
	s_load_dword s17, s[6:7], 0xc
	s_load_dword s20, s[4:5], 0x0
	s_add_u32 s6, s6, 12
	s_addc_u32 s7, s7, 0
	s_waitcnt lgkmcnt(0)
	v_mul_hi_u32 v7, s19, v0
	v_add_u32_e32 v7, v0, v7
	v_lshrrev_b32_e32 v7, s17, v7
	s_add_u32 s4, s4, 4
	v_mul_lo_u32 v9, v7, s18
	s_addc_u32 s5, s5, 0
	s_add_i32 s16, s16, -1
	v_sub_u32_e32 v9, v0, v9
	s_cmp_lg_u32 s16, 0
	v_mov_b32_e32 v0, v7
	v_mad_u64_u32 v[10:11], s[18:19], v9, s20, v[10:11]
	s_cbranch_scc1 .LBB71_46
.LBB71_47:                              ;   in Loop: Header=BB71_9 Depth=1
	s_cbranch_execnz .LBB71_50
.LBB71_48:                              ;   in Loop: Header=BB71_9 Depth=1
	v_mul_hi_u32 v0, v8, s10
	v_add_u32_e32 v0, v0, v8
	v_lshrrev_b32_e32 v0, s11, v0
	v_mul_lo_u32 v7, v0, s9
	v_sub_u32_e32 v7, v8, v7
	s_andn2_b64 vcc, exec, s[42:43]
	s_waitcnt lgkmcnt(0)
	v_mul_lo_u32 v10, v7, s44
	s_cbranch_vccnz .LBB71_50
; %bb.49:                               ;   in Loop: Header=BB71_9 Depth=1
	v_mul_hi_u32 v7, s8, v0
	v_add_u32_e32 v7, v0, v7
	v_lshrrev_b32_e32 v7, s14, v7
	v_mul_lo_u32 v7, v7, s12
	v_sub_u32_e32 v0, v0, v7
	v_mad_u64_u32 v[10:11], s[4:5], v0, s45, v[10:11]
.LBB71_50:                              ;   in Loop: Header=BB71_9 Depth=1
	s_waitcnt lgkmcnt(0)
	global_store_byte v10, v1, s[46:47]
.LBB71_51:                              ;   in Loop: Header=BB71_9 Depth=1
	s_or_b64 exec, exec, s[2:3]
	v_mov_b32_e32 v1, s15
	v_add_co_u32_e32 v0, vcc, s13, v14
	v_addc_co_u32_e32 v1, vcc, v15, v1, vcc
	v_cmp_gt_i64_e32 vcc, s[24:25], v[0:1]
	s_and_saveexec_b64 s[2:3], vcc
	s_cbranch_execz .LBB71_67
; %bb.52:                               ;   in Loop: Header=BB71_9 Depth=1
	s_and_b64 vcc, exec, s[0:1]
	s_cbranch_vccnz .LBB71_58
; %bb.53:                               ;   in Loop: Header=BB71_9 Depth=1
	s_andn2_b64 vcc, exec, s[38:39]
	s_cbranch_vccnz .LBB71_59
; %bb.54:                               ;   in Loop: Header=BB71_9 Depth=1
	s_mov_b32 s6, 0
	s_andn2_b64 vcc, exec, s[48:49]
	v_mov_b32_e32 v8, 0
	s_cbranch_vccnz .LBB71_60
; %bb.55:                               ;   in Loop: Header=BB71_9 Depth=1
	s_mov_b32 s66, 0
	v_mov_b32_e32 v8, 0
	s_mov_b64 s[54:55], s[34:35]
	s_mov_b64 s[56:57], s[40:41]
	v_mov_b32_e32 v1, v0
.LBB71_56:                              ;   Parent Loop BB71_9 Depth=1
                                        ; =>  This Inner Loop Header: Depth=2
	s_load_dwordx8 s[16:23], s[54:55], 0x4
	s_load_dwordx4 s[4:7], s[54:55], 0x24
	s_load_dwordx4 s[28:31], s[56:57], 0x0
	s_add_u32 s54, s54, 48
	s_addc_u32 s55, s55, 0
	s_waitcnt lgkmcnt(0)
	v_mul_hi_u32 v7, s17, v1
	v_add_u32_e32 v7, v1, v7
	v_lshrrev_b32_e32 v7, s18, v7
	v_mul_lo_u32 v9, v7, s16
	v_mul_hi_u32 v10, s20, v7
	v_sub_u32_e32 v1, v1, v9
	v_add_u32_e32 v9, v7, v10
	v_lshrrev_b32_e32 v9, s21, v9
	v_mul_lo_u32 v10, v9, s19
	v_mul_hi_u32 v11, s23, v9
	v_sub_u32_e32 v7, v7, v10
	v_add_u32_e32 v10, v9, v11
	v_mul_lo_u32 v1, v1, s28
	v_mul_lo_u32 v7, v7, s29
	v_lshrrev_b32_e32 v10, s4, v10
	v_add3_u32 v7, v1, v8, v7
	v_mul_lo_u32 v1, v10, s22
	v_mul_hi_u32 v8, s6, v10
	v_sub_u32_e32 v1, v9, v1
	v_add_u32_e32 v8, v10, v8
	v_mul_lo_u32 v9, v1, s30
	v_lshrrev_b32_e32 v1, s7, v8
	s_add_i32 s66, s66, 4
	v_mul_lo_u32 v8, v1, s5
	s_add_u32 s56, s56, 16
	v_sub_u32_e32 v8, v10, v8
	s_addc_u32 s57, s57, 0
	v_mul_lo_u32 v8, v8, s31
	s_cmp_eq_u32 s65, s66
	v_add3_u32 v8, v9, v7, v8
	s_cbranch_scc0 .LBB71_56
; %bb.57:                               ;   in Loop: Header=BB71_9 Depth=1
	s_mov_b32 s6, s65
	s_andn2_b64 vcc, exec, s[52:53]
	s_cbranch_vccz .LBB71_61
	s_branch .LBB71_63
.LBB71_58:                              ;   in Loop: Header=BB71_9 Depth=1
                                        ; implicit-def: $vgpr8
	s_branch .LBB71_64
.LBB71_59:                              ;   in Loop: Header=BB71_9 Depth=1
	v_mov_b32_e32 v8, 0
	s_branch .LBB71_63
.LBB71_60:                              ;   in Loop: Header=BB71_9 Depth=1
	v_mov_b32_e32 v1, v0
	s_andn2_b64 vcc, exec, s[52:53]
	s_cbranch_vccnz .LBB71_63
.LBB71_61:                              ;   in Loop: Header=BB71_9 Depth=1
	s_lshl_b32 s4, s6, 2
	s_add_u32 s4, s40, s4
	s_addc_u32 s5, s41, 0
	s_mul_i32 s6, s6, 12
	s_add_u32 s6, s34, s6
	s_addc_u32 s7, s35, 0
	s_mov_b32 s16, s64
.LBB71_62:                              ;   Parent Loop BB71_9 Depth=1
                                        ; =>  This Inner Loop Header: Depth=2
	s_load_dwordx2 s[18:19], s[6:7], 0x4
	s_load_dword s17, s[6:7], 0xc
	s_load_dword s20, s[4:5], 0x0
	s_add_u32 s6, s6, 12
	s_addc_u32 s7, s7, 0
	s_waitcnt lgkmcnt(0)
	v_mul_hi_u32 v7, s19, v1
	v_add_u32_e32 v7, v1, v7
	v_lshrrev_b32_e32 v7, s17, v7
	s_add_u32 s4, s4, 4
	v_mul_lo_u32 v9, v7, s18
	s_addc_u32 s5, s5, 0
	s_add_i32 s16, s16, -1
	v_sub_u32_e32 v9, v1, v9
	s_cmp_lg_u32 s16, 0
	v_mov_b32_e32 v1, v7
	v_mad_u64_u32 v[8:9], s[18:19], v9, s20, v[8:9]
	s_cbranch_scc1 .LBB71_62
.LBB71_63:                              ;   in Loop: Header=BB71_9 Depth=1
	s_cbranch_execnz .LBB71_66
.LBB71_64:                              ;   in Loop: Header=BB71_9 Depth=1
	v_mul_hi_u32 v1, v0, s10
	v_add_u32_e32 v1, v1, v0
	v_lshrrev_b32_e32 v1, s11, v1
	v_mul_lo_u32 v7, v1, s9
	v_sub_u32_e32 v0, v0, v7
	s_andn2_b64 vcc, exec, s[42:43]
	s_waitcnt lgkmcnt(0)
	v_mul_lo_u32 v8, v0, s44
	s_cbranch_vccnz .LBB71_66
; %bb.65:                               ;   in Loop: Header=BB71_9 Depth=1
	v_mul_hi_u32 v0, s8, v1
	v_add_u32_e32 v0, v1, v0
	v_lshrrev_b32_e32 v0, s14, v0
	v_mul_lo_u32 v0, v0, s12
	v_sub_u32_e32 v0, v1, v0
	v_mad_u64_u32 v[8:9], s[4:5], v0, s45, v[8:9]
.LBB71_66:                              ;   in Loop: Header=BB71_9 Depth=1
	s_waitcnt lgkmcnt(0)
	global_store_byte v8, v2, s[46:47]
.LBB71_67:                              ;   in Loop: Header=BB71_9 Depth=1
	s_or_b64 exec, exec, s[2:3]
	v_mov_b32_e32 v1, s63
	v_add_co_u32_e32 v0, vcc, s62, v14
	v_addc_co_u32_e32 v1, vcc, v15, v1, vcc
	v_cmp_gt_i64_e32 vcc, s[24:25], v[0:1]
	s_and_saveexec_b64 s[28:29], vcc
	s_cbranch_execz .LBB71_8
; %bb.68:                               ;   in Loop: Header=BB71_9 Depth=1
	s_and_b64 vcc, exec, s[0:1]
	s_cbranch_vccnz .LBB71_74
; %bb.69:                               ;   in Loop: Header=BB71_9 Depth=1
	s_andn2_b64 vcc, exec, s[38:39]
	s_cbranch_vccnz .LBB71_75
; %bb.70:                               ;   in Loop: Header=BB71_9 Depth=1
	s_mov_b32 s2, 0
	s_andn2_b64 vcc, exec, s[48:49]
	v_mov_b32_e32 v8, 0
	s_cbranch_vccnz .LBB71_76
; %bb.71:                               ;   in Loop: Header=BB71_9 Depth=1
	s_mov_b32 s56, 0
	v_mov_b32_e32 v8, 0
	s_mov_b64 s[30:31], s[34:35]
	s_mov_b64 s[54:55], s[40:41]
	v_mov_b32_e32 v1, v0
.LBB71_72:                              ;   Parent Loop BB71_9 Depth=1
                                        ; =>  This Inner Loop Header: Depth=2
	s_load_dwordx8 s[0:7], s[30:31], 0x4
	s_load_dwordx4 s[16:19], s[30:31], 0x24
	s_load_dwordx4 s[20:23], s[54:55], 0x0
	s_add_u32 s30, s30, 48
	s_addc_u32 s31, s31, 0
	s_waitcnt lgkmcnt(0)
	v_mul_hi_u32 v2, s1, v1
	v_add_u32_e32 v2, v1, v2
	v_lshrrev_b32_e32 v2, s2, v2
	v_mul_lo_u32 v7, v2, s0
	v_mul_hi_u32 v9, s4, v2
	v_sub_u32_e32 v1, v1, v7
	v_add_u32_e32 v7, v2, v9
	v_lshrrev_b32_e32 v7, s5, v7
	v_mul_lo_u32 v9, v7, s3
	v_mul_hi_u32 v10, s7, v7
	v_sub_u32_e32 v2, v2, v9
	v_add_u32_e32 v9, v7, v10
	v_mul_lo_u32 v1, v1, s20
	v_mul_lo_u32 v2, v2, s21
	v_lshrrev_b32_e32 v9, s16, v9
	v_add3_u32 v2, v1, v8, v2
	v_mul_lo_u32 v1, v9, s6
	v_mul_hi_u32 v8, s18, v9
	v_sub_u32_e32 v1, v7, v1
	v_add_u32_e32 v7, v9, v8
	v_mul_lo_u32 v8, v1, s22
	v_lshrrev_b32_e32 v1, s19, v7
	s_add_i32 s56, s56, 4
	v_mul_lo_u32 v7, v1, s17
	s_add_u32 s54, s54, 16
	v_sub_u32_e32 v7, v9, v7
	s_addc_u32 s55, s55, 0
	v_mul_lo_u32 v7, v7, s23
	s_cmp_eq_u32 s65, s56
	v_add3_u32 v8, v8, v2, v7
	s_cbranch_scc0 .LBB71_72
; %bb.73:                               ;   in Loop: Header=BB71_9 Depth=1
	s_mov_b32 s2, s65
	s_andn2_b64 vcc, exec, s[52:53]
	s_cbranch_vccz .LBB71_77
	s_branch .LBB71_79
.LBB71_74:                              ;   in Loop: Header=BB71_9 Depth=1
                                        ; implicit-def: $vgpr8
	s_branch .LBB71_80
.LBB71_75:                              ;   in Loop: Header=BB71_9 Depth=1
	v_mov_b32_e32 v8, 0
	s_branch .LBB71_79
.LBB71_76:                              ;   in Loop: Header=BB71_9 Depth=1
	v_mov_b32_e32 v1, v0
	s_andn2_b64 vcc, exec, s[52:53]
	s_cbranch_vccnz .LBB71_79
.LBB71_77:                              ;   in Loop: Header=BB71_9 Depth=1
	s_lshl_b32 s0, s2, 2
	s_add_u32 s0, s40, s0
	s_addc_u32 s1, s41, 0
	s_mul_i32 s2, s2, 12
	s_add_u32 s2, s34, s2
	s_addc_u32 s3, s35, 0
	s_mov_b32 s4, s64
.LBB71_78:                              ;   Parent Loop BB71_9 Depth=1
                                        ; =>  This Inner Loop Header: Depth=2
	s_load_dwordx2 s[6:7], s[2:3], 0x4
	s_load_dword s5, s[2:3], 0xc
	s_load_dword s16, s[0:1], 0x0
	s_add_u32 s2, s2, 12
	s_addc_u32 s3, s3, 0
	s_waitcnt lgkmcnt(0)
	v_mul_hi_u32 v2, s7, v1
	v_add_u32_e32 v2, v1, v2
	v_lshrrev_b32_e32 v2, s5, v2
	s_add_u32 s0, s0, 4
	v_mul_lo_u32 v7, v2, s6
	s_addc_u32 s1, s1, 0
	s_add_i32 s4, s4, -1
	v_sub_u32_e32 v7, v1, v7
	s_cmp_lg_u32 s4, 0
	v_mov_b32_e32 v1, v2
	v_mad_u64_u32 v[8:9], s[6:7], v7, s16, v[8:9]
	s_cbranch_scc1 .LBB71_78
.LBB71_79:                              ;   in Loop: Header=BB71_9 Depth=1
	s_cbranch_execnz .LBB71_7
.LBB71_80:                              ;   in Loop: Header=BB71_9 Depth=1
	v_mul_hi_u32 v1, v0, s10
	v_add_u32_e32 v1, v1, v0
	v_lshrrev_b32_e32 v1, s11, v1
	v_mul_lo_u32 v2, v1, s9
	v_sub_u32_e32 v0, v0, v2
	s_andn2_b64 vcc, exec, s[42:43]
	s_waitcnt lgkmcnt(0)
	v_mul_lo_u32 v8, v0, s44
	s_cbranch_vccnz .LBB71_7
; %bb.81:                               ;   in Loop: Header=BB71_9 Depth=1
	v_mul_hi_u32 v0, s8, v1
	v_add_u32_e32 v0, v1, v0
	v_lshrrev_b32_e32 v0, s14, v0
	v_mul_lo_u32 v0, v0, s12
	v_sub_u32_e32 v0, v1, v0
	v_mad_u64_u32 v[8:9], s[0:1], v0, s45, v[8:9]
	s_branch .LBB71_7
.LBB71_82:
	s_endpgm
.LBB71_83:
                                        ; implicit-def: $sgpr2_sgpr3
	s_andn2_b64 vcc, exec, s[0:1]
	s_cbranch_vccz .LBB71_4
	s_branch .LBB71_5
	.section	.rodata,"a",@progbits
	.p2align	6, 0x0
	.amdhsa_kernel _ZN2at6native12_GLOBAL__N_143distribution_elementwise_grid_stride_kernelIjLi4EZZZNS0_9templates4cuda13random_kernelIPNS_17CUDAGeneratorImplEEEvRNS_18TensorIteratorBaseET_ENKUlvE_clEvENKUlvE_clEvEUlP25hiprandStatePhilox4_32_10E0_ZNS1_27distribution_nullary_kernelIhj15HIP_vector_typeIjLj4EES7_SF_ZZZNS5_IS7_EEvS9_SA_ENKSB_clEvENKSC_clEvEUljE_EEvS9_T2_RKT3_T4_EUlijE0_EEvlNS_15PhiloxCudaStateET1_SK_
		.amdhsa_group_segment_fixed_size 0
		.amdhsa_private_segment_fixed_size 0
		.amdhsa_kernarg_size 584
		.amdhsa_user_sgpr_count 6
		.amdhsa_user_sgpr_private_segment_buffer 1
		.amdhsa_user_sgpr_dispatch_ptr 0
		.amdhsa_user_sgpr_queue_ptr 0
		.amdhsa_user_sgpr_kernarg_segment_ptr 1
		.amdhsa_user_sgpr_dispatch_id 0
		.amdhsa_user_sgpr_flat_scratch_init 0
		.amdhsa_user_sgpr_kernarg_preload_length 0
		.amdhsa_user_sgpr_kernarg_preload_offset 0
		.amdhsa_user_sgpr_private_segment_size 0
		.amdhsa_uses_dynamic_stack 0
		.amdhsa_system_sgpr_private_segment_wavefront_offset 0
		.amdhsa_system_sgpr_workgroup_id_x 1
		.amdhsa_system_sgpr_workgroup_id_y 0
		.amdhsa_system_sgpr_workgroup_id_z 0
		.amdhsa_system_sgpr_workgroup_info 0
		.amdhsa_system_vgpr_workitem_id 0
		.amdhsa_next_free_vgpr 41
		.amdhsa_next_free_sgpr 67
		.amdhsa_accum_offset 44
		.amdhsa_reserve_vcc 1
		.amdhsa_reserve_flat_scratch 0
		.amdhsa_float_round_mode_32 0
		.amdhsa_float_round_mode_16_64 0
		.amdhsa_float_denorm_mode_32 3
		.amdhsa_float_denorm_mode_16_64 3
		.amdhsa_dx10_clamp 1
		.amdhsa_ieee_mode 1
		.amdhsa_fp16_overflow 0
		.amdhsa_tg_split 0
		.amdhsa_exception_fp_ieee_invalid_op 0
		.amdhsa_exception_fp_denorm_src 0
		.amdhsa_exception_fp_ieee_div_zero 0
		.amdhsa_exception_fp_ieee_overflow 0
		.amdhsa_exception_fp_ieee_underflow 0
		.amdhsa_exception_fp_ieee_inexact 0
		.amdhsa_exception_int_div_zero 0
	.end_amdhsa_kernel
	.section	.text._ZN2at6native12_GLOBAL__N_143distribution_elementwise_grid_stride_kernelIjLi4EZZZNS0_9templates4cuda13random_kernelIPNS_17CUDAGeneratorImplEEEvRNS_18TensorIteratorBaseET_ENKUlvE_clEvENKUlvE_clEvEUlP25hiprandStatePhilox4_32_10E0_ZNS1_27distribution_nullary_kernelIhj15HIP_vector_typeIjLj4EES7_SF_ZZZNS5_IS7_EEvS9_SA_ENKSB_clEvENKSC_clEvEUljE_EEvS9_T2_RKT3_T4_EUlijE0_EEvlNS_15PhiloxCudaStateET1_SK_,"axG",@progbits,_ZN2at6native12_GLOBAL__N_143distribution_elementwise_grid_stride_kernelIjLi4EZZZNS0_9templates4cuda13random_kernelIPNS_17CUDAGeneratorImplEEEvRNS_18TensorIteratorBaseET_ENKUlvE_clEvENKUlvE_clEvEUlP25hiprandStatePhilox4_32_10E0_ZNS1_27distribution_nullary_kernelIhj15HIP_vector_typeIjLj4EES7_SF_ZZZNS5_IS7_EEvS9_SA_ENKSB_clEvENKSC_clEvEUljE_EEvS9_T2_RKT3_T4_EUlijE0_EEvlNS_15PhiloxCudaStateET1_SK_,comdat
.Lfunc_end71:
	.size	_ZN2at6native12_GLOBAL__N_143distribution_elementwise_grid_stride_kernelIjLi4EZZZNS0_9templates4cuda13random_kernelIPNS_17CUDAGeneratorImplEEEvRNS_18TensorIteratorBaseET_ENKUlvE_clEvENKUlvE_clEvEUlP25hiprandStatePhilox4_32_10E0_ZNS1_27distribution_nullary_kernelIhj15HIP_vector_typeIjLj4EES7_SF_ZZZNS5_IS7_EEvS9_SA_ENKSB_clEvENKSC_clEvEUljE_EEvS9_T2_RKT3_T4_EUlijE0_EEvlNS_15PhiloxCudaStateET1_SK_, .Lfunc_end71-_ZN2at6native12_GLOBAL__N_143distribution_elementwise_grid_stride_kernelIjLi4EZZZNS0_9templates4cuda13random_kernelIPNS_17CUDAGeneratorImplEEEvRNS_18TensorIteratorBaseET_ENKUlvE_clEvENKUlvE_clEvEUlP25hiprandStatePhilox4_32_10E0_ZNS1_27distribution_nullary_kernelIhj15HIP_vector_typeIjLj4EES7_SF_ZZZNS5_IS7_EEvS9_SA_ENKSB_clEvENKSC_clEvEUljE_EEvS9_T2_RKT3_T4_EUlijE0_EEvlNS_15PhiloxCudaStateET1_SK_
                                        ; -- End function
	.section	.AMDGPU.csdata,"",@progbits
; Kernel info:
; codeLenInByte = 4332
; NumSgprs: 71
; NumVgprs: 41
; NumAgprs: 0
; TotalNumVgprs: 41
; ScratchSize: 0
; MemoryBound: 0
; FloatMode: 240
; IeeeMode: 1
; LDSByteSize: 0 bytes/workgroup (compile time only)
; SGPRBlocks: 8
; VGPRBlocks: 5
; NumSGPRsForWavesPerEU: 71
; NumVGPRsForWavesPerEU: 41
; AccumOffset: 44
; Occupancy: 8
; WaveLimiterHint : 1
; COMPUTE_PGM_RSRC2:SCRATCH_EN: 0
; COMPUTE_PGM_RSRC2:USER_SGPR: 6
; COMPUTE_PGM_RSRC2:TRAP_HANDLER: 0
; COMPUTE_PGM_RSRC2:TGID_X_EN: 1
; COMPUTE_PGM_RSRC2:TGID_Y_EN: 0
; COMPUTE_PGM_RSRC2:TGID_Z_EN: 0
; COMPUTE_PGM_RSRC2:TIDIG_COMP_CNT: 0
; COMPUTE_PGM_RSRC3_GFX90A:ACCUM_OFFSET: 10
; COMPUTE_PGM_RSRC3_GFX90A:TG_SPLIT: 0
	.section	.text._ZN2at6native12_GLOBAL__N_143distribution_elementwise_grid_stride_kernelImLi2EZZZNS0_9templates4cuda13random_kernelIPNS_17CUDAGeneratorImplEEEvRNS_18TensorIteratorBaseET_ENKUlvE_clEvENKUlvE0_clEvEUlP25hiprandStatePhilox4_32_10E_ZNS1_27distribution_nullary_kernelIam15HIP_vector_typeIyLj2EES7_SF_ZZZNS5_IS7_EEvS9_SA_ENKSB_clEvENKSC_clEvEUlmE_EEvS9_T2_RKT3_T4_EUlimE_EEvlNS_15PhiloxCudaStateET1_SK_,"axG",@progbits,_ZN2at6native12_GLOBAL__N_143distribution_elementwise_grid_stride_kernelImLi2EZZZNS0_9templates4cuda13random_kernelIPNS_17CUDAGeneratorImplEEEvRNS_18TensorIteratorBaseET_ENKUlvE_clEvENKUlvE0_clEvEUlP25hiprandStatePhilox4_32_10E_ZNS1_27distribution_nullary_kernelIam15HIP_vector_typeIyLj2EES7_SF_ZZZNS5_IS7_EEvS9_SA_ENKSB_clEvENKSC_clEvEUlmE_EEvS9_T2_RKT3_T4_EUlimE_EEvlNS_15PhiloxCudaStateET1_SK_,comdat
	.globl	_ZN2at6native12_GLOBAL__N_143distribution_elementwise_grid_stride_kernelImLi2EZZZNS0_9templates4cuda13random_kernelIPNS_17CUDAGeneratorImplEEEvRNS_18TensorIteratorBaseET_ENKUlvE_clEvENKUlvE0_clEvEUlP25hiprandStatePhilox4_32_10E_ZNS1_27distribution_nullary_kernelIam15HIP_vector_typeIyLj2EES7_SF_ZZZNS5_IS7_EEvS9_SA_ENKSB_clEvENKSC_clEvEUlmE_EEvS9_T2_RKT3_T4_EUlimE_EEvlNS_15PhiloxCudaStateET1_SK_ ; -- Begin function _ZN2at6native12_GLOBAL__N_143distribution_elementwise_grid_stride_kernelImLi2EZZZNS0_9templates4cuda13random_kernelIPNS_17CUDAGeneratorImplEEEvRNS_18TensorIteratorBaseET_ENKUlvE_clEvENKUlvE0_clEvEUlP25hiprandStatePhilox4_32_10E_ZNS1_27distribution_nullary_kernelIam15HIP_vector_typeIyLj2EES7_SF_ZZZNS5_IS7_EEvS9_SA_ENKSB_clEvENKSC_clEvEUlmE_EEvS9_T2_RKT3_T4_EUlimE_EEvlNS_15PhiloxCudaStateET1_SK_
	.p2align	8
	.type	_ZN2at6native12_GLOBAL__N_143distribution_elementwise_grid_stride_kernelImLi2EZZZNS0_9templates4cuda13random_kernelIPNS_17CUDAGeneratorImplEEEvRNS_18TensorIteratorBaseET_ENKUlvE_clEvENKUlvE0_clEvEUlP25hiprandStatePhilox4_32_10E_ZNS1_27distribution_nullary_kernelIam15HIP_vector_typeIyLj2EES7_SF_ZZZNS5_IS7_EEvS9_SA_ENKSB_clEvENKSC_clEvEUlmE_EEvS9_T2_RKT3_T4_EUlimE_EEvlNS_15PhiloxCudaStateET1_SK_,@function
_ZN2at6native12_GLOBAL__N_143distribution_elementwise_grid_stride_kernelImLi2EZZZNS0_9templates4cuda13random_kernelIPNS_17CUDAGeneratorImplEEEvRNS_18TensorIteratorBaseET_ENKUlvE_clEvENKUlvE0_clEvEUlP25hiprandStatePhilox4_32_10E_ZNS1_27distribution_nullary_kernelIam15HIP_vector_typeIyLj2EES7_SF_ZZZNS5_IS7_EEvS9_SA_ENKSB_clEvENKSC_clEvEUlmE_EEvS9_T2_RKT3_T4_EUlimE_EEvlNS_15PhiloxCudaStateET1_SK_: ; @_ZN2at6native12_GLOBAL__N_143distribution_elementwise_grid_stride_kernelImLi2EZZZNS0_9templates4cuda13random_kernelIPNS_17CUDAGeneratorImplEEEvRNS_18TensorIteratorBaseET_ENKUlvE_clEvENKUlvE0_clEvEUlP25hiprandStatePhilox4_32_10E_ZNS1_27distribution_nullary_kernelIam15HIP_vector_typeIyLj2EES7_SF_ZZZNS5_IS7_EEvS9_SA_ENKSB_clEvENKSC_clEvEUlmE_EEvS9_T2_RKT3_T4_EUlimE_EEvlNS_15PhiloxCudaStateET1_SK_
; %bb.0:
	s_load_dword s7, s[4:5], 0x20
	s_load_dwordx2 s[10:11], s[4:5], 0x10
	s_load_dwordx4 s[0:3], s[4:5], 0x0
	s_mov_b32 s8, 0
	s_waitcnt lgkmcnt(0)
	s_bitcmp0_b32 s7, 0
	v_pk_mov_b32 v[2:3], s[10:11], s[10:11] op_sel:[0,1]
	v_pk_mov_b32 v[12:13], s[2:3], s[2:3] op_sel:[0,1]
	s_cbranch_scc1 .LBB72_2
; %bb.1:
	v_pk_mov_b32 v[2:3], s[10:11], s[10:11] op_sel:[0,1]
	flat_load_dwordx2 v[2:3], v[2:3]
	v_pk_mov_b32 v[4:5], s[2:3], s[2:3] op_sel:[0,1]
	flat_load_dwordx2 v[12:13], v[4:5]
	s_load_dwordx2 s[2:3], s[4:5], 0x18
	s_waitcnt lgkmcnt(0)
	v_mov_b32_e32 v1, s3
	s_waitcnt vmcnt(0)
	v_add_co_u32_e32 v2, vcc, s2, v2
	v_addc_co_u32_e32 v3, vcc, v3, v1, vcc
.LBB72_2:
	s_load_dword s2, s[4:5], 0x4c
	s_load_dword s10, s[4:5], 0x40
	s_waitcnt lgkmcnt(0)
	s_and_b32 s7, s2, 0xffff
	s_add_u32 s11, s0, -1
	s_mul_i32 s12, s10, s7
	s_addc_u32 s9, s1, -1
	s_lshl_b32 s13, s12, 1
	s_cmp_lg_u64 s[8:9], 0
	s_mov_b64 s[2:3], -1
	s_cbranch_scc0 .LBB72_23
; %bb.3:
	v_cvt_f32_u32_e32 v1, s13
	v_cvt_f32_ubyte0_e32 v4, 0
	s_sub_u32 s8, 0, s13
	s_subb_u32 s14, 0, 0
	v_madmk_f32 v1, v4, 0x4f800000, v1
	v_rcp_f32_e32 v1, v1
	v_mul_f32_e32 v1, 0x5f7ffffc, v1
	v_mul_f32_e32 v4, 0x2f800000, v1
	v_trunc_f32_e32 v4, v4
	v_madmk_f32 v1, v4, 0xcf800000, v1
	v_cvt_u32_f32_e32 v4, v4
	v_cvt_u32_f32_e32 v1, v1
	v_readfirstlane_b32 s15, v4
	v_readfirstlane_b32 s16, v1
	s_mul_i32 s17, s8, s15
	s_mul_hi_u32 s19, s8, s16
	s_mul_i32 s18, s14, s16
	s_add_i32 s17, s19, s17
	s_add_i32 s17, s17, s18
	s_mul_i32 s20, s8, s16
	s_mul_hi_u32 s18, s16, s17
	s_mul_i32 s19, s16, s17
	s_mul_hi_u32 s16, s16, s20
	s_add_u32 s16, s16, s19
	s_addc_u32 s18, 0, s18
	s_mul_hi_u32 s21, s15, s20
	s_mul_i32 s20, s15, s20
	s_add_u32 s16, s16, s20
	s_mul_hi_u32 s19, s15, s17
	s_addc_u32 s16, s18, s21
	s_addc_u32 s18, s19, 0
	s_mul_i32 s17, s15, s17
	s_add_u32 s16, s16, s17
	s_addc_u32 s17, 0, s18
	v_add_co_u32_e32 v1, vcc, s16, v1
	s_cmp_lg_u64 vcc, 0
	s_addc_u32 s15, s15, s17
	v_readfirstlane_b32 s17, v1
	s_mul_i32 s16, s8, s15
	s_mul_hi_u32 s18, s8, s17
	s_add_i32 s16, s18, s16
	s_mul_i32 s14, s14, s17
	s_add_i32 s16, s16, s14
	s_mul_i32 s8, s8, s17
	s_mul_hi_u32 s18, s15, s8
	s_mul_i32 s19, s15, s8
	s_mul_i32 s21, s17, s16
	s_mul_hi_u32 s8, s17, s8
	s_mul_hi_u32 s20, s17, s16
	s_add_u32 s8, s8, s21
	s_addc_u32 s17, 0, s20
	s_add_u32 s8, s8, s19
	s_mul_hi_u32 s14, s15, s16
	s_addc_u32 s8, s17, s18
	s_addc_u32 s14, s14, 0
	s_mul_i32 s16, s15, s16
	s_add_u32 s8, s8, s16
	s_addc_u32 s14, 0, s14
	v_add_co_u32_e32 v1, vcc, s8, v1
	s_cmp_lg_u64 vcc, 0
	s_addc_u32 s16, s15, s14
	s_ashr_i32 s14, s9, 31
	s_add_u32 s8, s11, s14
	s_mov_b32 s15, s14
	s_addc_u32 s9, s9, s14
	s_xor_b64 s[8:9], s[8:9], s[14:15]
	v_readfirstlane_b32 s19, v1
	s_mul_i32 s18, s8, s16
	s_mul_hi_u32 s20, s8, s19
	s_mul_hi_u32 s17, s8, s16
	s_add_u32 s18, s20, s18
	s_addc_u32 s17, 0, s17
	s_mul_hi_u32 s21, s9, s19
	s_mul_i32 s19, s9, s19
	s_add_u32 s18, s18, s19
	s_mul_hi_u32 s20, s9, s16
	s_addc_u32 s17, s17, s21
	s_addc_u32 s18, s20, 0
	s_mul_i32 s16, s9, s16
	s_add_u32 s16, s17, s16
	s_addc_u32 s17, 0, s18
	s_add_u32 s18, s16, 1
	s_addc_u32 s19, s17, 0
	s_add_u32 s20, s16, 2
	s_mul_i32 s22, s13, s17
	s_mul_hi_u32 s23, s13, s16
	s_addc_u32 s21, s17, 0
	s_add_i32 s23, s23, s22
	s_mul_i32 s22, s13, s16
	v_mov_b32_e32 v1, s22
	v_sub_co_u32_e32 v1, vcc, s8, v1
	s_cmp_lg_u64 vcc, 0
	s_subb_u32 s8, s9, s23
	v_subrev_co_u32_e32 v4, vcc, s13, v1
	s_cmp_lg_u64 vcc, 0
	s_subb_u32 s9, s8, 0
	v_readfirstlane_b32 s22, v4
	s_cmp_ge_u32 s22, s13
	s_cselect_b32 s22, -1, 0
	s_cmp_eq_u32 s9, 0
	s_cselect_b32 s9, s22, -1
	s_cmp_lg_u32 s9, 0
	s_cselect_b32 s9, s21, s19
	v_readfirstlane_b32 s19, v1
	s_cselect_b32 s18, s20, s18
	s_cmp_ge_u32 s19, s13
	s_cselect_b32 s19, -1, 0
	s_cmp_eq_u32 s8, 0
	s_cselect_b32 s8, s19, -1
	s_cmp_lg_u32 s8, 0
	s_cselect_b32 s9, s9, s17
	s_cselect_b32 s8, s18, s16
	s_xor_b64 s[8:9], s[8:9], s[14:15]
	s_sub_u32 s8, s8, s14
	s_subb_u32 s9, s9, s14
	s_cbranch_execnz .LBB72_5
.LBB72_4:
	v_cvt_f32_u32_e32 v1, s13
	s_sub_i32 s2, 0, s13
	s_mov_b32 s9, 0
	v_rcp_iflag_f32_e32 v1, v1
	v_mul_f32_e32 v1, 0x4f7ffffe, v1
	v_cvt_u32_f32_e32 v1, v1
	v_readfirstlane_b32 s3, v1
	s_mul_i32 s2, s2, s3
	s_mul_hi_u32 s2, s3, s2
	s_add_i32 s3, s3, s2
	s_mul_hi_u32 s2, s11, s3
	s_mul_i32 s8, s2, s13
	s_sub_i32 s8, s11, s8
	s_add_i32 s3, s2, 1
	s_sub_i32 s11, s8, s13
	s_cmp_ge_u32 s8, s13
	s_cselect_b32 s2, s3, s2
	s_cselect_b32 s8, s11, s8
	s_add_i32 s3, s2, 1
	s_cmp_ge_u32 s8, s13
	s_cselect_b32 s8, s3, s2
.LBB72_5:
	v_mov_b32_e32 v1, 0
	v_mov_b32_e32 v4, s6
	v_mad_u64_u32 v[14:15], s[2:3], s7, v4, v[0:1]
	s_add_u32 s2, s8, 1
	s_addc_u32 s3, s9, 0
	s_mul_hi_u32 s8, s10, s7
	s_mul_i32 s3, s12, s3
	s_mul_hi_u32 s9, s12, s2
	s_add_i32 s3, s9, s3
	s_mul_i32 s8, s8, s2
	s_add_i32 s3, s3, s8
	s_mul_i32 s2, s12, s2
	s_lshl_b64 s[2:3], s[2:3], 1
	v_cmp_gt_i64_e32 vcc, s[2:3], v[14:15]
	s_and_saveexec_b64 s[8:9], vcc
	s_cbranch_execz .LBB72_22
; %bb.6:
	s_load_dwordx2 s[8:9], s[4:5], 0x30
	s_load_dword s11, s[4:5], 0x38
	s_mov_b32 s4, 0x5384540f
	v_mov_b32_e32 v4, v13
	v_add_co_u32_e32 v20, vcc, s4, v12
	s_mov_b32 s4, 0x646e171e
	v_add_co_u32_e32 v21, vcc, s4, v4
	s_mov_b32 s4, 0x1715609d
	;; [unrolled: 2-line block ×6, first 2 shown]
	v_alignbit_b32 v27, v3, v2, 2
	s_mov_b32 s15, 0xd2511f53
	v_add_co_u32_e32 v26, vcc, s4, v12
	v_mad_u64_u32 v[6:7], s[4:5], v27, s15, 0
	v_xor_b32_e32 v1, v7, v13
	v_xor_b32_e32 v1, v1, v15
	s_mov_b32 s16, 0xcd9e8d57
	v_mad_u64_u32 v[8:9], s[4:5], v1, s16, 0
	v_xor_b32_e32 v1, v26, v9
	v_mad_u64_u32 v[10:11], s[4:5], v14, s16, 0
	v_and_b32_e32 v16, 3, v2
	v_xor_b32_e32 v1, v1, v10
	v_xor_b32_e32 v2, v12, v11
	v_lshrrev_b32_e32 v28, 2, v3
	v_mad_u64_u32 v[32:33], s[4:5], v1, s15, 0
	v_xor_b32_e32 v2, v2, v28
	v_xor_b32_e32 v1, v25, v33
	v_mad_u64_u32 v[2:3], s[4:5], v2, s15, 0
	v_xor_b32_e32 v1, v1, v2
	v_mad_u64_u32 v[10:11], s[4:5], v1, s16, 0
	s_mov_b32 s4, 0xbb67ae85
	v_add_co_u32_e32 v29, vcc, s4, v4
	v_xor_b32_e32 v2, v29, v3
	v_xor_b32_e32 v2, v2, v6
	v_xor_b32_e32 v1, v24, v11
	v_mad_u64_u32 v[2:3], s[4:5], v2, s16, 0
	v_xor_b32_e32 v1, v1, v2
	v_mad_u64_u32 v[6:7], s[4:5], v1, s15, 0
	s_mov_b32 s4, 0x3c6ef372
	v_add_co_u32_e32 v30, vcc, s4, v12
	v_xor_b32_e32 v2, v30, v3
	;; [unrolled: 8-line block ×6, first 2 shown]
	v_add_co_u32_e32 v19, vcc, 0xdb3d7428, v4
	v_xor_b32_e32 v2, v2, v8
	v_xor_b32_e32 v1, v19, v7
	v_mad_u64_u32 v[2:3], s[4:5], v2, s15, 0
	v_xor_b32_e32 v1, v1, v2
	v_mad_u64_u32 v[8:9], s[4:5], v1, s16, 0
	s_mov_b32 s4, 0x1fd5c5a3
	v_add_co_u32_e32 v35, vcc, s4, v4
	v_xor_b32_e32 v1, v35, v3
	v_xor_b32_e32 v1, v1, v36
	v_mad_u64_u32 v[2:3], s[4:5], v1, s16, 0
	s_mov_b32 s4, 0xf1bbcdc8
	v_add_co_u32_e32 v36, vcc, s4, v12
	v_xor_b32_e32 v1, v36, v3
	v_xor_b32_e32 v1, v1, v10
	v_mad_u64_u32 v[4:5], s[4:5], v1, s15, 0
	s_mul_i32 s4, s6, s7
	v_mov_b32_e32 v3, v4
	v_add_u32_e32 v4, s4, v0
	s_waitcnt lgkmcnt(0)
	s_mul_i32 s4, s10, s11
	s_mul_i32 s4, s4, s7
	s_lshl_b32 s17, s4, 1
	s_add_i32 s4, s6, s10
	s_mul_i32 s4, s4, s7
	s_mov_b32 s14, 0
	v_add_u32_e32 v18, 0x96a522ad, v13
	v_xor_b32_e32 v1, v5, v6
	v_add_u32_e32 v0, s4, v0
	v_add_u32_e32 v17, 0x8ff34781, v12
	v_xor_b32_e32 v2, v18, v1
	v_mov_b32_e32 v1, v8
	v_mul_lo_u32 v37, s11, v4
	v_mul_lo_u32 v38, s11, v0
	s_mov_b64 s[4:5], 0
	s_mov_b32 s18, s14
	v_mov_b32_e32 v39, v14
	v_mov_b32_e32 v40, v15
	s_branch .LBB72_8
.LBB72_7:                               ;   in Loop: Header=BB72_8 Depth=1
	s_or_b64 exec, exec, s[6:7]
	v_add_co_u32_e32 v14, vcc, s13, v14
	v_addc_co_u32_e32 v15, vcc, 0, v15, vcc
	v_mov_b32_e32 v7, v4
	s_add_i32 s18, s18, s17
	v_cmp_le_i64_e32 vcc, s[2:3], v[14:15]
	v_pk_mov_b32 v[0:1], v[4:5], v[4:5] op_sel:[0,1]
	s_or_b64 s[4:5], vcc, s[4:5]
	v_pk_mov_b32 v[2:3], v[6:7], v[6:7] op_sel:[0,1]
	s_barrier
	s_andn2_b64 exec, exec, s[4:5]
	s_cbranch_execz .LBB72_22
.LBB72_8:                               ; =>This Inner Loop Header: Depth=1
	v_add_co_u32_e32 v27, vcc, 1, v27
	v_cndmask_b32_e64 v0, 0, 1, vcc
	v_addc_co_u32_e32 v28, vcc, 0, v28, vcc
	v_cmp_eq_u32_e32 vcc, 0, v28
	v_cndmask_b32_e32 v0, 0, v0, vcc
	v_add_u32_e32 v39, v0, v39
	v_cmp_eq_u32_e32 vcc, 0, v39
	v_cndmask_b32_e32 v0, 0, v0, vcc
	v_mad_u64_u32 v[4:5], s[6:7], v27, s15, 0
	v_add_u32_e32 v40, v0, v40
	v_mad_u64_u32 v[6:7], s[6:7], v39, s16, 0
	v_xor_b32_e32 v5, v5, v13
	v_xor_b32_e32 v0, v7, v12
	v_xor_b32_e32 v5, v40, v5
	v_xor_b32_e32 v0, v28, v0
	v_mad_u64_u32 v[10:11], s[6:7], v5, s16, 0
	v_mad_u64_u32 v[8:9], s[6:7], v0, s15, 0
	v_xor_b32_e32 v0, v26, v11
	v_xor_b32_e32 v0, v0, v6
	v_xor_b32_e32 v5, v29, v9
	v_xor_b32_e32 v6, v5, v4
	v_mad_u64_u32 v[4:5], s[6:7], v0, s15, 0
	;; [unrolled: 6-line block ×9, first 2 shown]
	v_mad_u64_u32 v[4:5], s[6:7], v0, s15, 0
	v_xor_b32_e32 v0, v11, v42
	v_xor_b32_e32 v8, v17, v0
	;; [unrolled: 1-line block ×4, first 2 shown]
	v_mov_b32_e32 v5, v10
	v_mov_b32_e32 v6, v9
	v_cmp_lt_i32_e32 vcc, 1, v16
	s_and_saveexec_b64 s[6:7], vcc
	s_xor_b64 s[6:7], exec, s[6:7]
	s_cbranch_execnz .LBB72_14
; %bb.9:                                ;   in Loop: Header=BB72_8 Depth=1
	s_andn2_saveexec_b64 s[6:7], s[6:7]
	s_cbranch_execnz .LBB72_19
.LBB72_10:                              ;   in Loop: Header=BB72_8 Depth=1
	s_or_b64 exec, exec, s[6:7]
	v_cmp_gt_i64_e32 vcc, s[0:1], v[14:15]
	s_and_saveexec_b64 s[6:7], vcc
	s_cbranch_execz .LBB72_12
.LBB72_11:                              ;   in Loop: Header=BB72_8 Depth=1
	v_add_u32_e32 v0, s18, v37
	v_ashrrev_i32_e32 v2, 31, v0
	v_mov_b32_e32 v7, s9
	v_add_co_u32_e32 v8, vcc, s8, v0
	v_addc_co_u32_e32 v9, vcc, v7, v2, vcc
	v_and_b32_e32 v0, 0x7f, v1
	global_store_byte v[8:9], v0, off
.LBB72_12:                              ;   in Loop: Header=BB72_8 Depth=1
	s_or_b64 exec, exec, s[6:7]
	v_mov_b32_e32 v1, s14
	v_add_co_u32_e32 v0, vcc, s12, v14
	v_addc_co_u32_e32 v1, vcc, v1, v15, vcc
	v_cmp_gt_i64_e32 vcc, s[0:1], v[0:1]
	s_and_saveexec_b64 s[6:7], vcc
	s_cbranch_execz .LBB72_7
; %bb.13:                               ;   in Loop: Header=BB72_8 Depth=1
	v_add_u32_e32 v0, s18, v38
	v_ashrrev_i32_e32 v1, 31, v0
	v_mov_b32_e32 v2, s9
	v_add_co_u32_e32 v0, vcc, s8, v0
	v_addc_co_u32_e32 v1, vcc, v2, v1, vcc
	v_and_b32_e32 v2, 0x7f, v3
	global_store_byte v[0:1], v2, off
	s_branch .LBB72_7
.LBB72_14:                              ;   in Loop: Header=BB72_8 Depth=1
	v_cmp_lt_i32_e32 vcc, 2, v16
	s_and_saveexec_b64 s[10:11], vcc
	s_xor_b64 s[10:11], exec, s[10:11]
; %bb.15:                               ;   in Loop: Header=BB72_8 Depth=1
	v_mov_b32_e32 v7, v8
	v_pk_mov_b32 v[0:1], v[6:7], v[6:7] op_sel:[0,1]
	v_pk_mov_b32 v[2:3], v[8:9], v[8:9] op_sel:[0,1]
                                        ; implicit-def: $vgpr10_vgpr11
; %bb.16:                               ;   in Loop: Header=BB72_8 Depth=1
	s_andn2_saveexec_b64 s[10:11], s[10:11]
; %bb.17:                               ;   in Loop: Header=BB72_8 Depth=1
	v_mov_b32_e32 v1, v3
	v_mov_b32_e32 v3, v10
; %bb.18:                               ;   in Loop: Header=BB72_8 Depth=1
	s_or_b64 exec, exec, s[10:11]
                                        ; implicit-def: $vgpr8_vgpr9_vgpr10_vgpr11
	s_andn2_saveexec_b64 s[6:7], s[6:7]
	s_cbranch_execz .LBB72_10
.LBB72_19:                              ;   in Loop: Header=BB72_8 Depth=1
	v_cmp_eq_u32_e32 vcc, 1, v16
	s_and_saveexec_b64 s[10:11], vcc
; %bb.20:                               ;   in Loop: Header=BB72_8 Depth=1
	v_mov_b32_e32 v1, v2
	v_mov_b32_e32 v3, v8
; %bb.21:                               ;   in Loop: Header=BB72_8 Depth=1
	s_or_b64 exec, exec, s[10:11]
	s_or_b64 exec, exec, s[6:7]
	v_cmp_gt_i64_e32 vcc, s[0:1], v[14:15]
	s_and_saveexec_b64 s[6:7], vcc
	s_cbranch_execnz .LBB72_11
	s_branch .LBB72_12
.LBB72_22:
	s_endpgm
.LBB72_23:
                                        ; implicit-def: $sgpr8_sgpr9
	s_andn2_b64 vcc, exec, s[2:3]
	s_cbranch_vccz .LBB72_4
	s_branch .LBB72_5
	.section	.rodata,"a",@progbits
	.p2align	6, 0x0
	.amdhsa_kernel _ZN2at6native12_GLOBAL__N_143distribution_elementwise_grid_stride_kernelImLi2EZZZNS0_9templates4cuda13random_kernelIPNS_17CUDAGeneratorImplEEEvRNS_18TensorIteratorBaseET_ENKUlvE_clEvENKUlvE0_clEvEUlP25hiprandStatePhilox4_32_10E_ZNS1_27distribution_nullary_kernelIam15HIP_vector_typeIyLj2EES7_SF_ZZZNS5_IS7_EEvS9_SA_ENKSB_clEvENKSC_clEvEUlmE_EEvS9_T2_RKT3_T4_EUlimE_EEvlNS_15PhiloxCudaStateET1_SK_
		.amdhsa_group_segment_fixed_size 0
		.amdhsa_private_segment_fixed_size 0
		.amdhsa_kernarg_size 320
		.amdhsa_user_sgpr_count 6
		.amdhsa_user_sgpr_private_segment_buffer 1
		.amdhsa_user_sgpr_dispatch_ptr 0
		.amdhsa_user_sgpr_queue_ptr 0
		.amdhsa_user_sgpr_kernarg_segment_ptr 1
		.amdhsa_user_sgpr_dispatch_id 0
		.amdhsa_user_sgpr_flat_scratch_init 0
		.amdhsa_user_sgpr_kernarg_preload_length 0
		.amdhsa_user_sgpr_kernarg_preload_offset 0
		.amdhsa_user_sgpr_private_segment_size 0
		.amdhsa_uses_dynamic_stack 0
		.amdhsa_system_sgpr_private_segment_wavefront_offset 0
		.amdhsa_system_sgpr_workgroup_id_x 1
		.amdhsa_system_sgpr_workgroup_id_y 0
		.amdhsa_system_sgpr_workgroup_id_z 0
		.amdhsa_system_sgpr_workgroup_info 0
		.amdhsa_system_vgpr_workitem_id 0
		.amdhsa_next_free_vgpr 44
		.amdhsa_next_free_sgpr 24
		.amdhsa_accum_offset 44
		.amdhsa_reserve_vcc 1
		.amdhsa_reserve_flat_scratch 0
		.amdhsa_float_round_mode_32 0
		.amdhsa_float_round_mode_16_64 0
		.amdhsa_float_denorm_mode_32 3
		.amdhsa_float_denorm_mode_16_64 3
		.amdhsa_dx10_clamp 1
		.amdhsa_ieee_mode 1
		.amdhsa_fp16_overflow 0
		.amdhsa_tg_split 0
		.amdhsa_exception_fp_ieee_invalid_op 0
		.amdhsa_exception_fp_denorm_src 0
		.amdhsa_exception_fp_ieee_div_zero 0
		.amdhsa_exception_fp_ieee_overflow 0
		.amdhsa_exception_fp_ieee_underflow 0
		.amdhsa_exception_fp_ieee_inexact 0
		.amdhsa_exception_int_div_zero 0
	.end_amdhsa_kernel
	.section	.text._ZN2at6native12_GLOBAL__N_143distribution_elementwise_grid_stride_kernelImLi2EZZZNS0_9templates4cuda13random_kernelIPNS_17CUDAGeneratorImplEEEvRNS_18TensorIteratorBaseET_ENKUlvE_clEvENKUlvE0_clEvEUlP25hiprandStatePhilox4_32_10E_ZNS1_27distribution_nullary_kernelIam15HIP_vector_typeIyLj2EES7_SF_ZZZNS5_IS7_EEvS9_SA_ENKSB_clEvENKSC_clEvEUlmE_EEvS9_T2_RKT3_T4_EUlimE_EEvlNS_15PhiloxCudaStateET1_SK_,"axG",@progbits,_ZN2at6native12_GLOBAL__N_143distribution_elementwise_grid_stride_kernelImLi2EZZZNS0_9templates4cuda13random_kernelIPNS_17CUDAGeneratorImplEEEvRNS_18TensorIteratorBaseET_ENKUlvE_clEvENKUlvE0_clEvEUlP25hiprandStatePhilox4_32_10E_ZNS1_27distribution_nullary_kernelIam15HIP_vector_typeIyLj2EES7_SF_ZZZNS5_IS7_EEvS9_SA_ENKSB_clEvENKSC_clEvEUlmE_EEvS9_T2_RKT3_T4_EUlimE_EEvlNS_15PhiloxCudaStateET1_SK_,comdat
.Lfunc_end72:
	.size	_ZN2at6native12_GLOBAL__N_143distribution_elementwise_grid_stride_kernelImLi2EZZZNS0_9templates4cuda13random_kernelIPNS_17CUDAGeneratorImplEEEvRNS_18TensorIteratorBaseET_ENKUlvE_clEvENKUlvE0_clEvEUlP25hiprandStatePhilox4_32_10E_ZNS1_27distribution_nullary_kernelIam15HIP_vector_typeIyLj2EES7_SF_ZZZNS5_IS7_EEvS9_SA_ENKSB_clEvENKSC_clEvEUlmE_EEvS9_T2_RKT3_T4_EUlimE_EEvlNS_15PhiloxCudaStateET1_SK_, .Lfunc_end72-_ZN2at6native12_GLOBAL__N_143distribution_elementwise_grid_stride_kernelImLi2EZZZNS0_9templates4cuda13random_kernelIPNS_17CUDAGeneratorImplEEEvRNS_18TensorIteratorBaseET_ENKUlvE_clEvENKUlvE0_clEvEUlP25hiprandStatePhilox4_32_10E_ZNS1_27distribution_nullary_kernelIam15HIP_vector_typeIyLj2EES7_SF_ZZZNS5_IS7_EEvS9_SA_ENKSB_clEvENKSC_clEvEUlmE_EEvS9_T2_RKT3_T4_EUlimE_EEvlNS_15PhiloxCudaStateET1_SK_
                                        ; -- End function
	.section	.AMDGPU.csdata,"",@progbits
; Kernel info:
; codeLenInByte = 2148
; NumSgprs: 28
; NumVgprs: 44
; NumAgprs: 0
; TotalNumVgprs: 44
; ScratchSize: 0
; MemoryBound: 0
; FloatMode: 240
; IeeeMode: 1
; LDSByteSize: 0 bytes/workgroup (compile time only)
; SGPRBlocks: 3
; VGPRBlocks: 5
; NumSGPRsForWavesPerEU: 28
; NumVGPRsForWavesPerEU: 44
; AccumOffset: 44
; Occupancy: 8
; WaveLimiterHint : 0
; COMPUTE_PGM_RSRC2:SCRATCH_EN: 0
; COMPUTE_PGM_RSRC2:USER_SGPR: 6
; COMPUTE_PGM_RSRC2:TRAP_HANDLER: 0
; COMPUTE_PGM_RSRC2:TGID_X_EN: 1
; COMPUTE_PGM_RSRC2:TGID_Y_EN: 0
; COMPUTE_PGM_RSRC2:TGID_Z_EN: 0
; COMPUTE_PGM_RSRC2:TIDIG_COMP_CNT: 0
; COMPUTE_PGM_RSRC3_GFX90A:ACCUM_OFFSET: 10
; COMPUTE_PGM_RSRC3_GFX90A:TG_SPLIT: 0
	.section	.text._ZN2at6native12_GLOBAL__N_143distribution_elementwise_grid_stride_kernelImLi2EZZZNS0_9templates4cuda13random_kernelIPNS_17CUDAGeneratorImplEEEvRNS_18TensorIteratorBaseET_ENKUlvE_clEvENKUlvE0_clEvEUlP25hiprandStatePhilox4_32_10E_ZNS1_27distribution_nullary_kernelIam15HIP_vector_typeIyLj2EES7_SF_ZZZNS5_IS7_EEvS9_SA_ENKSB_clEvENKSC_clEvEUlmE_EEvS9_T2_RKT3_T4_EUlimE0_EEvlNS_15PhiloxCudaStateET1_SK_,"axG",@progbits,_ZN2at6native12_GLOBAL__N_143distribution_elementwise_grid_stride_kernelImLi2EZZZNS0_9templates4cuda13random_kernelIPNS_17CUDAGeneratorImplEEEvRNS_18TensorIteratorBaseET_ENKUlvE_clEvENKUlvE0_clEvEUlP25hiprandStatePhilox4_32_10E_ZNS1_27distribution_nullary_kernelIam15HIP_vector_typeIyLj2EES7_SF_ZZZNS5_IS7_EEvS9_SA_ENKSB_clEvENKSC_clEvEUlmE_EEvS9_T2_RKT3_T4_EUlimE0_EEvlNS_15PhiloxCudaStateET1_SK_,comdat
	.globl	_ZN2at6native12_GLOBAL__N_143distribution_elementwise_grid_stride_kernelImLi2EZZZNS0_9templates4cuda13random_kernelIPNS_17CUDAGeneratorImplEEEvRNS_18TensorIteratorBaseET_ENKUlvE_clEvENKUlvE0_clEvEUlP25hiprandStatePhilox4_32_10E_ZNS1_27distribution_nullary_kernelIam15HIP_vector_typeIyLj2EES7_SF_ZZZNS5_IS7_EEvS9_SA_ENKSB_clEvENKSC_clEvEUlmE_EEvS9_T2_RKT3_T4_EUlimE0_EEvlNS_15PhiloxCudaStateET1_SK_ ; -- Begin function _ZN2at6native12_GLOBAL__N_143distribution_elementwise_grid_stride_kernelImLi2EZZZNS0_9templates4cuda13random_kernelIPNS_17CUDAGeneratorImplEEEvRNS_18TensorIteratorBaseET_ENKUlvE_clEvENKUlvE0_clEvEUlP25hiprandStatePhilox4_32_10E_ZNS1_27distribution_nullary_kernelIam15HIP_vector_typeIyLj2EES7_SF_ZZZNS5_IS7_EEvS9_SA_ENKSB_clEvENKSC_clEvEUlmE_EEvS9_T2_RKT3_T4_EUlimE0_EEvlNS_15PhiloxCudaStateET1_SK_
	.p2align	8
	.type	_ZN2at6native12_GLOBAL__N_143distribution_elementwise_grid_stride_kernelImLi2EZZZNS0_9templates4cuda13random_kernelIPNS_17CUDAGeneratorImplEEEvRNS_18TensorIteratorBaseET_ENKUlvE_clEvENKUlvE0_clEvEUlP25hiprandStatePhilox4_32_10E_ZNS1_27distribution_nullary_kernelIam15HIP_vector_typeIyLj2EES7_SF_ZZZNS5_IS7_EEvS9_SA_ENKSB_clEvENKSC_clEvEUlmE_EEvS9_T2_RKT3_T4_EUlimE0_EEvlNS_15PhiloxCudaStateET1_SK_,@function
_ZN2at6native12_GLOBAL__N_143distribution_elementwise_grid_stride_kernelImLi2EZZZNS0_9templates4cuda13random_kernelIPNS_17CUDAGeneratorImplEEEvRNS_18TensorIteratorBaseET_ENKUlvE_clEvENKUlvE0_clEvEUlP25hiprandStatePhilox4_32_10E_ZNS1_27distribution_nullary_kernelIam15HIP_vector_typeIyLj2EES7_SF_ZZZNS5_IS7_EEvS9_SA_ENKSB_clEvENKSC_clEvEUlmE_EEvS9_T2_RKT3_T4_EUlimE0_EEvlNS_15PhiloxCudaStateET1_SK_: ; @_ZN2at6native12_GLOBAL__N_143distribution_elementwise_grid_stride_kernelImLi2EZZZNS0_9templates4cuda13random_kernelIPNS_17CUDAGeneratorImplEEEvRNS_18TensorIteratorBaseET_ENKUlvE_clEvENKUlvE0_clEvEUlP25hiprandStatePhilox4_32_10E_ZNS1_27distribution_nullary_kernelIam15HIP_vector_typeIyLj2EES7_SF_ZZZNS5_IS7_EEvS9_SA_ENKSB_clEvENKSC_clEvEUlmE_EEvS9_T2_RKT3_T4_EUlimE0_EEvlNS_15PhiloxCudaStateET1_SK_
; %bb.0:
	s_load_dword s2, s[4:5], 0x20
	s_load_dwordx2 s[0:1], s[4:5], 0x10
	s_load_dwordx4 s[24:27], s[4:5], 0x0
	s_waitcnt lgkmcnt(0)
	s_bitcmp0_b32 s2, 0
	s_mov_b32 s2, 0
	v_pk_mov_b32 v[2:3], s[0:1], s[0:1] op_sel:[0,1]
	v_pk_mov_b32 v[12:13], s[26:27], s[26:27] op_sel:[0,1]
	s_cbranch_scc1 .LBB73_2
; %bb.1:
	v_pk_mov_b32 v[2:3], s[0:1], s[0:1] op_sel:[0,1]
	flat_load_dwordx2 v[2:3], v[2:3]
	v_pk_mov_b32 v[4:5], s[26:27], s[26:27] op_sel:[0,1]
	flat_load_dwordx2 v[12:13], v[4:5]
	s_load_dwordx2 s[0:1], s[4:5], 0x18
	s_waitcnt lgkmcnt(0)
	v_mov_b32_e32 v1, s1
	s_waitcnt vmcnt(0)
	v_add_co_u32_e32 v2, vcc, s0, v2
	v_addc_co_u32_e32 v3, vcc, v3, v1, vcc
.LBB73_2:
	s_load_dword s0, s[4:5], 0x154
	s_load_dword s7, s[4:5], 0x148
	s_waitcnt lgkmcnt(0)
	s_and_b32 s8, s0, 0xffff
	s_add_u32 s9, s24, -1
	s_mul_i32 s33, s7, s8
	s_addc_u32 s3, s25, -1
	s_lshl_b32 s58, s33, 1
	s_cmp_lg_u64 s[2:3], 0
	s_mov_b64 s[0:1], -1
	s_cbranch_scc0 .LBB73_51
; %bb.3:
	v_cvt_f32_u32_e32 v1, s58
	v_cvt_f32_ubyte0_e32 v4, 0
	s_sub_u32 s2, 0, s58
	s_subb_u32 s10, 0, 0
	v_madmk_f32 v1, v4, 0x4f800000, v1
	v_rcp_f32_e32 v1, v1
	v_mul_f32_e32 v1, 0x5f7ffffc, v1
	v_mul_f32_e32 v4, 0x2f800000, v1
	v_trunc_f32_e32 v4, v4
	v_madmk_f32 v1, v4, 0xcf800000, v1
	v_cvt_u32_f32_e32 v4, v4
	v_cvt_u32_f32_e32 v1, v1
	v_readfirstlane_b32 s11, v4
	v_readfirstlane_b32 s12, v1
	s_mul_i32 s13, s2, s11
	s_mul_hi_u32 s15, s2, s12
	s_mul_i32 s14, s10, s12
	s_add_i32 s13, s15, s13
	s_add_i32 s13, s13, s14
	s_mul_i32 s16, s2, s12
	s_mul_hi_u32 s14, s12, s13
	s_mul_i32 s15, s12, s13
	s_mul_hi_u32 s12, s12, s16
	s_add_u32 s12, s12, s15
	s_addc_u32 s14, 0, s14
	s_mul_hi_u32 s17, s11, s16
	s_mul_i32 s16, s11, s16
	s_add_u32 s12, s12, s16
	s_mul_hi_u32 s15, s11, s13
	s_addc_u32 s12, s14, s17
	s_addc_u32 s14, s15, 0
	s_mul_i32 s13, s11, s13
	s_add_u32 s12, s12, s13
	s_addc_u32 s13, 0, s14
	v_add_co_u32_e32 v1, vcc, s12, v1
	s_cmp_lg_u64 vcc, 0
	s_addc_u32 s11, s11, s13
	v_readfirstlane_b32 s13, v1
	s_mul_i32 s12, s2, s11
	s_mul_hi_u32 s14, s2, s13
	s_add_i32 s12, s14, s12
	s_mul_i32 s10, s10, s13
	s_add_i32 s12, s12, s10
	s_mul_i32 s2, s2, s13
	s_mul_hi_u32 s14, s11, s2
	s_mul_i32 s15, s11, s2
	s_mul_i32 s17, s13, s12
	s_mul_hi_u32 s2, s13, s2
	s_mul_hi_u32 s16, s13, s12
	s_add_u32 s2, s2, s17
	s_addc_u32 s13, 0, s16
	s_add_u32 s2, s2, s15
	s_mul_hi_u32 s10, s11, s12
	s_addc_u32 s2, s13, s14
	s_addc_u32 s10, s10, 0
	s_mul_i32 s12, s11, s12
	s_add_u32 s2, s2, s12
	s_addc_u32 s10, 0, s10
	v_add_co_u32_e32 v1, vcc, s2, v1
	s_cmp_lg_u64 vcc, 0
	s_addc_u32 s12, s11, s10
	s_ashr_i32 s10, s3, 31
	s_add_u32 s2, s9, s10
	s_mov_b32 s11, s10
	s_addc_u32 s3, s3, s10
	s_xor_b64 s[2:3], s[2:3], s[10:11]
	v_readfirstlane_b32 s15, v1
	s_mul_i32 s14, s2, s12
	s_mul_hi_u32 s16, s2, s15
	s_mul_hi_u32 s13, s2, s12
	s_add_u32 s14, s16, s14
	s_addc_u32 s13, 0, s13
	s_mul_hi_u32 s17, s3, s15
	s_mul_i32 s15, s3, s15
	s_add_u32 s14, s14, s15
	s_mul_hi_u32 s16, s3, s12
	s_addc_u32 s13, s13, s17
	s_addc_u32 s14, s16, 0
	s_mul_i32 s12, s3, s12
	s_add_u32 s12, s13, s12
	s_addc_u32 s13, 0, s14
	s_add_u32 s14, s12, 1
	s_addc_u32 s15, s13, 0
	s_add_u32 s16, s12, 2
	s_mul_i32 s18, s58, s13
	s_mul_hi_u32 s19, s58, s12
	s_addc_u32 s17, s13, 0
	s_add_i32 s19, s19, s18
	s_mul_i32 s18, s58, s12
	v_mov_b32_e32 v1, s18
	v_sub_co_u32_e32 v1, vcc, s2, v1
	s_cmp_lg_u64 vcc, 0
	s_subb_u32 s2, s3, s19
	v_subrev_co_u32_e32 v4, vcc, s58, v1
	s_cmp_lg_u64 vcc, 0
	s_subb_u32 s3, s2, 0
	v_readfirstlane_b32 s18, v4
	s_cmp_ge_u32 s18, s58
	s_cselect_b32 s18, -1, 0
	s_cmp_eq_u32 s3, 0
	s_cselect_b32 s3, s18, -1
	s_cmp_lg_u32 s3, 0
	s_cselect_b32 s3, s17, s15
	v_readfirstlane_b32 s15, v1
	s_cselect_b32 s14, s16, s14
	s_cmp_ge_u32 s15, s58
	s_cselect_b32 s15, -1, 0
	s_cmp_eq_u32 s2, 0
	s_cselect_b32 s2, s15, -1
	s_cmp_lg_u32 s2, 0
	s_cselect_b32 s3, s3, s13
	s_cselect_b32 s2, s14, s12
	s_xor_b64 s[2:3], s[2:3], s[10:11]
	s_sub_u32 s2, s2, s10
	s_subb_u32 s3, s3, s10
	s_cbranch_execnz .LBB73_5
.LBB73_4:
	v_cvt_f32_u32_e32 v1, s58
	s_sub_i32 s0, 0, s58
	s_mov_b32 s3, 0
	v_rcp_iflag_f32_e32 v1, v1
	v_mul_f32_e32 v1, 0x4f7ffffe, v1
	v_cvt_u32_f32_e32 v1, v1
	v_readfirstlane_b32 s1, v1
	s_mul_i32 s0, s0, s1
	s_mul_hi_u32 s0, s1, s0
	s_add_i32 s1, s1, s0
	s_mul_hi_u32 s0, s9, s1
	s_mul_i32 s2, s0, s58
	s_sub_i32 s2, s9, s2
	s_add_i32 s1, s0, 1
	s_sub_i32 s9, s2, s58
	s_cmp_ge_u32 s2, s58
	s_cselect_b32 s0, s1, s0
	s_cselect_b32 s2, s9, s2
	s_add_i32 s1, s0, 1
	s_cmp_ge_u32 s2, s58
	s_cselect_b32 s2, s1, s0
.LBB73_5:
	v_mov_b32_e32 v1, 0
	v_mov_b32_e32 v4, s6
	v_mad_u64_u32 v[14:15], s[0:1], s8, v4, v[0:1]
	s_add_u32 s0, s2, 1
	s_addc_u32 s1, s3, 0
	s_mul_hi_u32 s2, s7, s8
	s_mul_i32 s1, s33, s1
	s_mul_hi_u32 s3, s33, s0
	s_add_i32 s1, s3, s1
	s_mul_i32 s2, s2, s0
	s_add_i32 s1, s1, s2
	s_mul_i32 s0, s33, s0
	s_lshl_b64 s[26:27], s[0:1], 1
	v_cmp_gt_i64_e32 vcc, s[26:27], v[14:15]
	s_and_saveexec_b64 s[0:1], vcc
	s_cbranch_execz .LBB73_50
; %bb.6:
	s_mov_b32 s0, 0x5384540f
	v_mov_b32_e32 v0, v13
	v_add_co_u32_e32 v20, vcc, s0, v12
	s_mov_b32 s0, 0x646e171e
	v_add_co_u32_e32 v21, vcc, s0, v0
	s_mov_b32 s0, 0x1715609d
	;; [unrolled: 2-line block ×6, first 2 shown]
	v_alignbit_b32 v27, v3, v2, 2
	s_mov_b32 s60, 0xd2511f53
	v_add_co_u32_e32 v26, vcc, s0, v12
	v_mad_u64_u32 v[4:5], s[0:1], v27, s60, 0
	v_xor_b32_e32 v1, v5, v13
	v_xor_b32_e32 v1, v1, v15
	s_mov_b32 s61, 0xcd9e8d57
	v_mad_u64_u32 v[6:7], s[0:1], v1, s61, 0
	v_xor_b32_e32 v1, v26, v7
	v_mad_u64_u32 v[8:9], s[0:1], v14, s61, 0
	v_and_b32_e32 v16, 3, v2
	v_xor_b32_e32 v1, v1, v8
	v_xor_b32_e32 v2, v12, v9
	v_lshrrev_b32_e32 v28, 2, v3
	v_mad_u64_u32 v[10:11], s[0:1], v1, s60, 0
	v_xor_b32_e32 v2, v2, v28
	v_xor_b32_e32 v1, v25, v11
	v_mad_u64_u32 v[2:3], s[0:1], v2, s60, 0
	v_xor_b32_e32 v1, v1, v2
	v_mad_u64_u32 v[8:9], s[0:1], v1, s61, 0
	s_mov_b32 s0, 0xbb67ae85
	v_add_co_u32_e32 v29, vcc, s0, v0
	v_xor_b32_e32 v2, v29, v3
	v_xor_b32_e32 v2, v2, v4
	v_xor_b32_e32 v1, v24, v9
	v_mad_u64_u32 v[2:3], s[0:1], v2, s61, 0
	v_xor_b32_e32 v1, v1, v2
	v_mad_u64_u32 v[4:5], s[0:1], v1, s60, 0
	s_mov_b32 s0, 0x3c6ef372
	v_add_co_u32_e32 v30, vcc, s0, v12
	v_xor_b32_e32 v2, v30, v3
	;; [unrolled: 8-line block ×6, first 2 shown]
	v_add_co_u32_e32 v19, vcc, 0xdb3d7428, v0
	v_xor_b32_e32 v2, v2, v6
	v_xor_b32_e32 v1, v19, v5
	v_mad_u64_u32 v[2:3], s[0:1], v2, s60, 0
	v_xor_b32_e32 v1, v1, v2
	v_mad_u64_u32 v[6:7], s[0:1], v1, s61, 0
	s_mov_b32 s0, 0x1fd5c5a3
	v_add_co_u32_e32 v35, vcc, s0, v0
	v_xor_b32_e32 v0, v35, v3
	v_xor_b32_e32 v0, v0, v10
	v_mad_u64_u32 v[0:1], s[0:1], v0, s61, 0
	s_mov_b32 s0, 0xf1bbcdc8
	s_load_dwordx8 s[8:15], s[4:5], 0x30
	v_add_co_u32_e32 v36, vcc, s0, v12
	v_xor_b32_e32 v0, v36, v1
	v_xor_b32_e32 v0, v0, v8
	s_add_u32 s34, s4, 48
	v_mad_u64_u32 v[0:1], s[0:1], v0, s60, 0
	s_addc_u32 s35, s5, 0
	s_waitcnt lgkmcnt(0)
	s_add_i32 s0, s8, -1
	s_cmp_gt_u32 s0, 1
	s_cselect_b64 s[36:37], -1, 0
	s_cmp_lg_u32 s8, 0
	s_cselect_b64 s[38:39], -1, 0
	s_add_u32 s40, s4, 0xf4
	s_addc_u32 s41, s5, 0
	s_min_u32 s1, s0, 15
	s_cmp_gt_u32 s8, 1
	s_cselect_b64 s[42:43], -1, 0
	s_add_i32 s1, s1, 1
	s_mov_b32 s8, s13
	s_load_dwordx2 s[44:45], s[4:5], 0xf4
	s_load_dwordx2 s[46:47], s[4:5], 0x138
	s_and_b32 s13, s1, 3
	s_cmp_lg_u32 s0, 2
	s_cselect_b64 s[48:49], -1, 0
	s_and_b32 s15, s1, 28
	v_add_u32_e32 v18, 0x96a522ad, v13
	v_xor_b32_e32 v1, v1, v4
	s_cmp_lg_u32 s13, 0
	s_mov_b32 s59, 0
	v_add_u32_e32 v17, 0x8ff34781, v12
	v_xor_b32_e32 v2, v18, v1
	v_mov_b32_e32 v1, v6
	v_mov_b32_e32 v3, v0
	s_mov_b64 s[50:51], 0
	s_cselect_b64 s[52:53], -1, 0
	v_mov_b32_e32 v37, v14
	v_mov_b32_e32 v38, v15
	s_branch .LBB73_9
.LBB73_7:                               ;   in Loop: Header=BB73_9 Depth=1
	v_and_b32_e32 v0, 0x7f, v3
	s_waitcnt lgkmcnt(0)
	global_store_byte v8, v0, s[46:47]
.LBB73_8:                               ;   in Loop: Header=BB73_9 Depth=1
	s_or_b64 exec, exec, s[28:29]
	v_add_co_u32_e32 v14, vcc, s58, v14
	v_addc_co_u32_e32 v15, vcc, 0, v15, vcc
	v_mov_b32_e32 v7, v4
	v_cmp_le_i64_e32 vcc, s[26:27], v[14:15]
	v_pk_mov_b32 v[0:1], v[4:5], v[4:5] op_sel:[0,1]
	s_or_b64 s[50:51], vcc, s[50:51]
	v_pk_mov_b32 v[2:3], v[6:7], v[6:7] op_sel:[0,1]
	s_waitcnt lgkmcnt(0)
	s_barrier
	s_andn2_b64 exec, exec, s[50:51]
	s_cbranch_execz .LBB73_50
.LBB73_9:                               ; =>This Loop Header: Depth=1
                                        ;     Child Loop BB73_24 Depth 2
                                        ;     Child Loop BB73_30 Depth 2
	;; [unrolled: 1-line block ×4, first 2 shown]
	v_add_co_u32_e32 v27, vcc, 1, v27
	v_cndmask_b32_e64 v0, 0, 1, vcc
	v_addc_co_u32_e32 v28, vcc, 0, v28, vcc
	v_cmp_eq_u32_e32 vcc, 0, v28
	v_cndmask_b32_e32 v0, 0, v0, vcc
	v_add_u32_e32 v37, v0, v37
	v_cmp_eq_u32_e32 vcc, 0, v37
	v_cndmask_b32_e32 v0, 0, v0, vcc
	v_mad_u64_u32 v[4:5], s[0:1], v27, s60, 0
	v_add_u32_e32 v38, v0, v38
	v_mad_u64_u32 v[6:7], s[0:1], v37, s61, 0
	v_xor_b32_e32 v5, v5, v13
	v_xor_b32_e32 v0, v7, v12
	v_xor_b32_e32 v5, v38, v5
	v_xor_b32_e32 v0, v28, v0
	v_mad_u64_u32 v[10:11], s[0:1], v5, s61, 0
	v_mad_u64_u32 v[8:9], s[0:1], v0, s60, 0
	v_xor_b32_e32 v0, v26, v11
	v_xor_b32_e32 v0, v0, v6
	v_xor_b32_e32 v5, v29, v9
	v_xor_b32_e32 v6, v5, v4
	v_mad_u64_u32 v[4:5], s[0:1], v0, s60, 0
	;; [unrolled: 6-line block ×9, first 2 shown]
	v_mad_u64_u32 v[4:5], s[0:1], v0, s60, 0
	v_xor_b32_e32 v0, v11, v40
	v_xor_b32_e32 v8, v17, v0
	v_xor_b32_e32 v0, v5, v6
	v_xor_b32_e32 v9, v18, v0
	v_mov_b32_e32 v5, v10
	v_mov_b32_e32 v6, v9
	v_cmp_lt_i32_e32 vcc, 1, v16
	s_and_saveexec_b64 s[0:1], vcc
	s_xor_b64 s[0:1], exec, s[0:1]
	s_cbranch_execz .LBB73_15
; %bb.10:                               ;   in Loop: Header=BB73_9 Depth=1
	v_cmp_lt_i32_e32 vcc, 2, v16
	s_and_saveexec_b64 s[2:3], vcc
	s_xor_b64 s[2:3], exec, s[2:3]
; %bb.11:                               ;   in Loop: Header=BB73_9 Depth=1
	v_mov_b32_e32 v7, v8
	v_pk_mov_b32 v[0:1], v[6:7], v[6:7] op_sel:[0,1]
	v_pk_mov_b32 v[2:3], v[8:9], v[8:9] op_sel:[0,1]
                                        ; implicit-def: $vgpr10_vgpr11
; %bb.12:                               ;   in Loop: Header=BB73_9 Depth=1
	s_andn2_saveexec_b64 s[2:3], s[2:3]
; %bb.13:                               ;   in Loop: Header=BB73_9 Depth=1
	v_mov_b32_e32 v1, v3
	v_mov_b32_e32 v3, v10
; %bb.14:                               ;   in Loop: Header=BB73_9 Depth=1
	s_or_b64 exec, exec, s[2:3]
                                        ; implicit-def: $vgpr8_vgpr9_vgpr10_vgpr11
.LBB73_15:                              ;   in Loop: Header=BB73_9 Depth=1
	s_andn2_saveexec_b64 s[0:1], s[0:1]
	s_cbranch_execz .LBB73_19
; %bb.16:                               ;   in Loop: Header=BB73_9 Depth=1
	v_cmp_eq_u32_e32 vcc, 1, v16
	s_and_saveexec_b64 s[2:3], vcc
; %bb.17:                               ;   in Loop: Header=BB73_9 Depth=1
	v_mov_b32_e32 v1, v2
	v_mov_b32_e32 v3, v8
; %bb.18:                               ;   in Loop: Header=BB73_9 Depth=1
	s_or_b64 exec, exec, s[2:3]
.LBB73_19:                              ;   in Loop: Header=BB73_9 Depth=1
	s_or_b64 exec, exec, s[0:1]
	v_cndmask_b32_e64 v0, 0, 1, s[36:37]
	v_cmp_gt_i64_e32 vcc, s[24:25], v[14:15]
	v_cmp_ne_u32_e64 s[0:1], 1, v0
	s_and_saveexec_b64 s[2:3], vcc
	s_cbranch_execz .LBB73_35
; %bb.20:                               ;   in Loop: Header=BB73_9 Depth=1
	s_and_b64 vcc, exec, s[0:1]
	s_cbranch_vccnz .LBB73_26
; %bb.21:                               ;   in Loop: Header=BB73_9 Depth=1
	s_andn2_b64 vcc, exec, s[38:39]
	s_cbranch_vccnz .LBB73_27
; %bb.22:                               ;   in Loop: Header=BB73_9 Depth=1
	s_mov_b32 s6, 0
	s_andn2_b64 vcc, exec, s[48:49]
	v_mov_b32_e32 v8, 0
	s_cbranch_vccnz .LBB73_28
; %bb.23:                               ;   in Loop: Header=BB73_9 Depth=1
	s_mov_b32 s62, 0
	v_mov_b32_e32 v8, 0
	s_mov_b64 s[54:55], s[34:35]
	s_mov_b64 s[56:57], s[40:41]
	v_mov_b32_e32 v0, v14
.LBB73_24:                              ;   Parent Loop BB73_9 Depth=1
                                        ; =>  This Inner Loop Header: Depth=2
	s_load_dwordx8 s[16:23], s[54:55], 0x4
	s_load_dwordx4 s[4:7], s[54:55], 0x24
	s_load_dwordx4 s[28:31], s[56:57], 0x0
	s_add_u32 s54, s54, 48
	s_addc_u32 s55, s55, 0
	s_waitcnt lgkmcnt(0)
	v_mul_hi_u32 v2, s17, v0
	v_add_u32_e32 v2, v0, v2
	v_lshrrev_b32_e32 v2, s18, v2
	v_mul_lo_u32 v7, v2, s16
	v_mul_hi_u32 v9, s20, v2
	v_sub_u32_e32 v0, v0, v7
	v_add_u32_e32 v7, v2, v9
	v_lshrrev_b32_e32 v7, s21, v7
	v_mul_lo_u32 v9, v7, s19
	v_mul_hi_u32 v10, s23, v7
	v_sub_u32_e32 v2, v2, v9
	v_add_u32_e32 v9, v7, v10
	v_mul_lo_u32 v0, v0, s28
	v_mul_lo_u32 v2, v2, s29
	v_lshrrev_b32_e32 v9, s4, v9
	v_add3_u32 v2, v0, v8, v2
	v_mul_lo_u32 v0, v9, s22
	v_mul_hi_u32 v8, s6, v9
	v_sub_u32_e32 v0, v7, v0
	v_add_u32_e32 v7, v9, v8
	v_mul_lo_u32 v8, v0, s30
	v_lshrrev_b32_e32 v0, s7, v7
	s_add_i32 s62, s62, 4
	v_mul_lo_u32 v7, v0, s5
	s_add_u32 s56, s56, 16
	v_sub_u32_e32 v7, v9, v7
	s_addc_u32 s57, s57, 0
	v_mul_lo_u32 v7, v7, s31
	s_cmp_lg_u32 s15, s62
	v_add3_u32 v8, v8, v2, v7
	s_cbranch_scc1 .LBB73_24
; %bb.25:                               ;   in Loop: Header=BB73_9 Depth=1
	s_mov_b32 s6, s15
	s_andn2_b64 vcc, exec, s[52:53]
	s_cbranch_vccz .LBB73_29
	s_branch .LBB73_31
.LBB73_26:                              ;   in Loop: Header=BB73_9 Depth=1
                                        ; implicit-def: $vgpr8
	s_branch .LBB73_32
.LBB73_27:                              ;   in Loop: Header=BB73_9 Depth=1
	v_mov_b32_e32 v8, 0
	s_branch .LBB73_31
.LBB73_28:                              ;   in Loop: Header=BB73_9 Depth=1
	v_mov_b32_e32 v0, v14
	s_andn2_b64 vcc, exec, s[52:53]
	s_cbranch_vccnz .LBB73_31
.LBB73_29:                              ;   in Loop: Header=BB73_9 Depth=1
	s_lshl_b32 s4, s6, 2
	s_add_u32 s4, s40, s4
	s_addc_u32 s5, s41, 0
	s_mul_i32 s6, s6, 12
	s_add_u32 s6, s34, s6
	s_addc_u32 s7, s35, 0
	s_mov_b32 s16, s13
.LBB73_30:                              ;   Parent Loop BB73_9 Depth=1
                                        ; =>  This Inner Loop Header: Depth=2
	s_load_dwordx2 s[18:19], s[6:7], 0x4
	s_load_dword s17, s[6:7], 0xc
	s_load_dword s20, s[4:5], 0x0
	s_add_u32 s6, s6, 12
	s_addc_u32 s7, s7, 0
	s_waitcnt lgkmcnt(0)
	v_mul_hi_u32 v2, s19, v0
	v_add_u32_e32 v2, v0, v2
	v_lshrrev_b32_e32 v2, s17, v2
	s_add_u32 s4, s4, 4
	v_mul_lo_u32 v7, v2, s18
	s_addc_u32 s5, s5, 0
	s_add_i32 s16, s16, -1
	v_sub_u32_e32 v7, v0, v7
	s_cmp_lg_u32 s16, 0
	v_mov_b32_e32 v0, v2
	v_mad_u64_u32 v[8:9], s[18:19], v7, s20, v[8:9]
	s_cbranch_scc1 .LBB73_30
.LBB73_31:                              ;   in Loop: Header=BB73_9 Depth=1
	s_cbranch_execnz .LBB73_34
.LBB73_32:                              ;   in Loop: Header=BB73_9 Depth=1
	v_mul_hi_u32 v0, v14, s10
	v_add_u32_e32 v0, v0, v14
	v_lshrrev_b32_e32 v0, s11, v0
	v_mul_lo_u32 v2, v0, s9
	v_sub_u32_e32 v2, v14, v2
	s_andn2_b64 vcc, exec, s[42:43]
	s_waitcnt lgkmcnt(0)
	v_mul_lo_u32 v8, v2, s44
	s_cbranch_vccnz .LBB73_34
; %bb.33:                               ;   in Loop: Header=BB73_9 Depth=1
	v_mul_hi_u32 v2, s8, v0
	v_add_u32_e32 v2, v0, v2
	v_lshrrev_b32_e32 v2, s14, v2
	v_mul_lo_u32 v2, v2, s12
	v_sub_u32_e32 v0, v0, v2
	v_mad_u64_u32 v[8:9], s[4:5], v0, s45, v[8:9]
.LBB73_34:                              ;   in Loop: Header=BB73_9 Depth=1
	v_and_b32_e32 v0, 0x7f, v1
	s_waitcnt lgkmcnt(0)
	global_store_byte v8, v0, s[46:47]
.LBB73_35:                              ;   in Loop: Header=BB73_9 Depth=1
	s_or_b64 exec, exec, s[2:3]
	v_mov_b32_e32 v1, s59
	v_add_co_u32_e32 v0, vcc, s33, v14
	v_addc_co_u32_e32 v1, vcc, v15, v1, vcc
	v_cmp_gt_i64_e32 vcc, s[24:25], v[0:1]
	s_and_saveexec_b64 s[28:29], vcc
	s_cbranch_execz .LBB73_8
; %bb.36:                               ;   in Loop: Header=BB73_9 Depth=1
	s_and_b64 vcc, exec, s[0:1]
	s_cbranch_vccnz .LBB73_42
; %bb.37:                               ;   in Loop: Header=BB73_9 Depth=1
	s_andn2_b64 vcc, exec, s[38:39]
	s_cbranch_vccnz .LBB73_43
; %bb.38:                               ;   in Loop: Header=BB73_9 Depth=1
	s_mov_b32 s2, 0
	s_andn2_b64 vcc, exec, s[48:49]
	v_mov_b32_e32 v8, 0
	s_cbranch_vccnz .LBB73_44
; %bb.39:                               ;   in Loop: Header=BB73_9 Depth=1
	s_mov_b32 s56, 0
	v_mov_b32_e32 v8, 0
	s_mov_b64 s[30:31], s[34:35]
	s_mov_b64 s[54:55], s[40:41]
	v_mov_b32_e32 v1, v0
.LBB73_40:                              ;   Parent Loop BB73_9 Depth=1
                                        ; =>  This Inner Loop Header: Depth=2
	s_load_dwordx8 s[0:7], s[30:31], 0x4
	s_load_dwordx4 s[16:19], s[30:31], 0x24
	s_load_dwordx4 s[20:23], s[54:55], 0x0
	s_add_u32 s30, s30, 48
	s_addc_u32 s31, s31, 0
	s_waitcnt lgkmcnt(0)
	v_mul_hi_u32 v2, s1, v1
	v_add_u32_e32 v2, v1, v2
	v_lshrrev_b32_e32 v2, s2, v2
	v_mul_lo_u32 v7, v2, s0
	v_mul_hi_u32 v9, s4, v2
	v_sub_u32_e32 v1, v1, v7
	v_add_u32_e32 v7, v2, v9
	v_lshrrev_b32_e32 v7, s5, v7
	v_mul_lo_u32 v9, v7, s3
	v_mul_hi_u32 v10, s7, v7
	v_sub_u32_e32 v2, v2, v9
	v_add_u32_e32 v9, v7, v10
	v_mul_lo_u32 v1, v1, s20
	v_mul_lo_u32 v2, v2, s21
	v_lshrrev_b32_e32 v9, s16, v9
	v_add3_u32 v2, v1, v8, v2
	v_mul_lo_u32 v1, v9, s6
	v_mul_hi_u32 v8, s18, v9
	v_sub_u32_e32 v1, v7, v1
	v_add_u32_e32 v7, v9, v8
	v_mul_lo_u32 v8, v1, s22
	v_lshrrev_b32_e32 v1, s19, v7
	s_add_i32 s56, s56, 4
	v_mul_lo_u32 v7, v1, s17
	s_add_u32 s54, s54, 16
	v_sub_u32_e32 v7, v9, v7
	s_addc_u32 s55, s55, 0
	v_mul_lo_u32 v7, v7, s23
	s_cmp_eq_u32 s15, s56
	v_add3_u32 v8, v8, v2, v7
	s_cbranch_scc0 .LBB73_40
; %bb.41:                               ;   in Loop: Header=BB73_9 Depth=1
	s_mov_b32 s2, s15
	s_andn2_b64 vcc, exec, s[52:53]
	s_cbranch_vccz .LBB73_45
	s_branch .LBB73_47
.LBB73_42:                              ;   in Loop: Header=BB73_9 Depth=1
                                        ; implicit-def: $vgpr8
	s_branch .LBB73_48
.LBB73_43:                              ;   in Loop: Header=BB73_9 Depth=1
	v_mov_b32_e32 v8, 0
	s_branch .LBB73_47
.LBB73_44:                              ;   in Loop: Header=BB73_9 Depth=1
	v_mov_b32_e32 v1, v0
	s_andn2_b64 vcc, exec, s[52:53]
	s_cbranch_vccnz .LBB73_47
.LBB73_45:                              ;   in Loop: Header=BB73_9 Depth=1
	s_lshl_b32 s0, s2, 2
	s_add_u32 s0, s40, s0
	s_addc_u32 s1, s41, 0
	s_mul_i32 s2, s2, 12
	s_add_u32 s2, s34, s2
	s_addc_u32 s3, s35, 0
	s_mov_b32 s4, s13
.LBB73_46:                              ;   Parent Loop BB73_9 Depth=1
                                        ; =>  This Inner Loop Header: Depth=2
	s_load_dwordx2 s[6:7], s[2:3], 0x4
	s_load_dword s5, s[2:3], 0xc
	s_load_dword s16, s[0:1], 0x0
	s_add_u32 s2, s2, 12
	s_addc_u32 s3, s3, 0
	s_waitcnt lgkmcnt(0)
	v_mul_hi_u32 v2, s7, v1
	v_add_u32_e32 v2, v1, v2
	v_lshrrev_b32_e32 v2, s5, v2
	s_add_u32 s0, s0, 4
	v_mul_lo_u32 v7, v2, s6
	s_addc_u32 s1, s1, 0
	s_add_i32 s4, s4, -1
	v_sub_u32_e32 v7, v1, v7
	s_cmp_lg_u32 s4, 0
	v_mov_b32_e32 v1, v2
	v_mad_u64_u32 v[8:9], s[6:7], v7, s16, v[8:9]
	s_cbranch_scc1 .LBB73_46
.LBB73_47:                              ;   in Loop: Header=BB73_9 Depth=1
	s_cbranch_execnz .LBB73_7
.LBB73_48:                              ;   in Loop: Header=BB73_9 Depth=1
	v_mul_hi_u32 v1, v0, s10
	v_add_u32_e32 v1, v1, v0
	v_lshrrev_b32_e32 v1, s11, v1
	v_mul_lo_u32 v2, v1, s9
	v_sub_u32_e32 v0, v0, v2
	s_andn2_b64 vcc, exec, s[42:43]
	s_waitcnt lgkmcnt(0)
	v_mul_lo_u32 v8, v0, s44
	s_cbranch_vccnz .LBB73_7
; %bb.49:                               ;   in Loop: Header=BB73_9 Depth=1
	v_mul_hi_u32 v0, s8, v1
	v_add_u32_e32 v0, v1, v0
	v_lshrrev_b32_e32 v0, s14, v0
	v_mul_lo_u32 v0, v0, s12
	v_sub_u32_e32 v0, v1, v0
	v_mad_u64_u32 v[8:9], s[0:1], v0, s45, v[8:9]
	s_branch .LBB73_7
.LBB73_50:
	s_endpgm
.LBB73_51:
                                        ; implicit-def: $sgpr2_sgpr3
	s_andn2_b64 vcc, exec, s[0:1]
	s_cbranch_vccz .LBB73_4
	s_branch .LBB73_5
	.section	.rodata,"a",@progbits
	.p2align	6, 0x0
	.amdhsa_kernel _ZN2at6native12_GLOBAL__N_143distribution_elementwise_grid_stride_kernelImLi2EZZZNS0_9templates4cuda13random_kernelIPNS_17CUDAGeneratorImplEEEvRNS_18TensorIteratorBaseET_ENKUlvE_clEvENKUlvE0_clEvEUlP25hiprandStatePhilox4_32_10E_ZNS1_27distribution_nullary_kernelIam15HIP_vector_typeIyLj2EES7_SF_ZZZNS5_IS7_EEvS9_SA_ENKSB_clEvENKSC_clEvEUlmE_EEvS9_T2_RKT3_T4_EUlimE0_EEvlNS_15PhiloxCudaStateET1_SK_
		.amdhsa_group_segment_fixed_size 0
		.amdhsa_private_segment_fixed_size 0
		.amdhsa_kernarg_size 584
		.amdhsa_user_sgpr_count 6
		.amdhsa_user_sgpr_private_segment_buffer 1
		.amdhsa_user_sgpr_dispatch_ptr 0
		.amdhsa_user_sgpr_queue_ptr 0
		.amdhsa_user_sgpr_kernarg_segment_ptr 1
		.amdhsa_user_sgpr_dispatch_id 0
		.amdhsa_user_sgpr_flat_scratch_init 0
		.amdhsa_user_sgpr_kernarg_preload_length 0
		.amdhsa_user_sgpr_kernarg_preload_offset 0
		.amdhsa_user_sgpr_private_segment_size 0
		.amdhsa_uses_dynamic_stack 0
		.amdhsa_system_sgpr_private_segment_wavefront_offset 0
		.amdhsa_system_sgpr_workgroup_id_x 1
		.amdhsa_system_sgpr_workgroup_id_y 0
		.amdhsa_system_sgpr_workgroup_id_z 0
		.amdhsa_system_sgpr_workgroup_info 0
		.amdhsa_system_vgpr_workitem_id 0
		.amdhsa_next_free_vgpr 42
		.amdhsa_next_free_sgpr 63
		.amdhsa_accum_offset 44
		.amdhsa_reserve_vcc 1
		.amdhsa_reserve_flat_scratch 0
		.amdhsa_float_round_mode_32 0
		.amdhsa_float_round_mode_16_64 0
		.amdhsa_float_denorm_mode_32 3
		.amdhsa_float_denorm_mode_16_64 3
		.amdhsa_dx10_clamp 1
		.amdhsa_ieee_mode 1
		.amdhsa_fp16_overflow 0
		.amdhsa_tg_split 0
		.amdhsa_exception_fp_ieee_invalid_op 0
		.amdhsa_exception_fp_denorm_src 0
		.amdhsa_exception_fp_ieee_div_zero 0
		.amdhsa_exception_fp_ieee_overflow 0
		.amdhsa_exception_fp_ieee_underflow 0
		.amdhsa_exception_fp_ieee_inexact 0
		.amdhsa_exception_int_div_zero 0
	.end_amdhsa_kernel
	.section	.text._ZN2at6native12_GLOBAL__N_143distribution_elementwise_grid_stride_kernelImLi2EZZZNS0_9templates4cuda13random_kernelIPNS_17CUDAGeneratorImplEEEvRNS_18TensorIteratorBaseET_ENKUlvE_clEvENKUlvE0_clEvEUlP25hiprandStatePhilox4_32_10E_ZNS1_27distribution_nullary_kernelIam15HIP_vector_typeIyLj2EES7_SF_ZZZNS5_IS7_EEvS9_SA_ENKSB_clEvENKSC_clEvEUlmE_EEvS9_T2_RKT3_T4_EUlimE0_EEvlNS_15PhiloxCudaStateET1_SK_,"axG",@progbits,_ZN2at6native12_GLOBAL__N_143distribution_elementwise_grid_stride_kernelImLi2EZZZNS0_9templates4cuda13random_kernelIPNS_17CUDAGeneratorImplEEEvRNS_18TensorIteratorBaseET_ENKUlvE_clEvENKUlvE0_clEvEUlP25hiprandStatePhilox4_32_10E_ZNS1_27distribution_nullary_kernelIam15HIP_vector_typeIyLj2EES7_SF_ZZZNS5_IS7_EEvS9_SA_ENKSB_clEvENKSC_clEvEUlmE_EEvS9_T2_RKT3_T4_EUlimE0_EEvlNS_15PhiloxCudaStateET1_SK_,comdat
.Lfunc_end73:
	.size	_ZN2at6native12_GLOBAL__N_143distribution_elementwise_grid_stride_kernelImLi2EZZZNS0_9templates4cuda13random_kernelIPNS_17CUDAGeneratorImplEEEvRNS_18TensorIteratorBaseET_ENKUlvE_clEvENKUlvE0_clEvEUlP25hiprandStatePhilox4_32_10E_ZNS1_27distribution_nullary_kernelIam15HIP_vector_typeIyLj2EES7_SF_ZZZNS5_IS7_EEvS9_SA_ENKSB_clEvENKSC_clEvEUlmE_EEvS9_T2_RKT3_T4_EUlimE0_EEvlNS_15PhiloxCudaStateET1_SK_, .Lfunc_end73-_ZN2at6native12_GLOBAL__N_143distribution_elementwise_grid_stride_kernelImLi2EZZZNS0_9templates4cuda13random_kernelIPNS_17CUDAGeneratorImplEEEvRNS_18TensorIteratorBaseET_ENKUlvE_clEvENKUlvE0_clEvEUlP25hiprandStatePhilox4_32_10E_ZNS1_27distribution_nullary_kernelIam15HIP_vector_typeIyLj2EES7_SF_ZZZNS5_IS7_EEvS9_SA_ENKSB_clEvENKSC_clEvEUlmE_EEvS9_T2_RKT3_T4_EUlimE0_EEvlNS_15PhiloxCudaStateET1_SK_
                                        ; -- End function
	.section	.AMDGPU.csdata,"",@progbits
; Kernel info:
; codeLenInByte = 3184
; NumSgprs: 67
; NumVgprs: 42
; NumAgprs: 0
; TotalNumVgprs: 42
; ScratchSize: 0
; MemoryBound: 0
; FloatMode: 240
; IeeeMode: 1
; LDSByteSize: 0 bytes/workgroup (compile time only)
; SGPRBlocks: 8
; VGPRBlocks: 5
; NumSGPRsForWavesPerEU: 67
; NumVGPRsForWavesPerEU: 42
; AccumOffset: 44
; Occupancy: 8
; WaveLimiterHint : 1
; COMPUTE_PGM_RSRC2:SCRATCH_EN: 0
; COMPUTE_PGM_RSRC2:USER_SGPR: 6
; COMPUTE_PGM_RSRC2:TRAP_HANDLER: 0
; COMPUTE_PGM_RSRC2:TGID_X_EN: 1
; COMPUTE_PGM_RSRC2:TGID_Y_EN: 0
; COMPUTE_PGM_RSRC2:TGID_Z_EN: 0
; COMPUTE_PGM_RSRC2:TIDIG_COMP_CNT: 0
; COMPUTE_PGM_RSRC3_GFX90A:ACCUM_OFFSET: 10
; COMPUTE_PGM_RSRC3_GFX90A:TG_SPLIT: 0
	.section	.text._ZN2at6native12_GLOBAL__N_143distribution_elementwise_grid_stride_kernelIjLi4EZZZNS0_9templates4cuda13random_kernelIPNS_17CUDAGeneratorImplEEEvRNS_18TensorIteratorBaseET_ENKUlvE_clEvENKUlvE0_clEvEUlP25hiprandStatePhilox4_32_10E0_ZNS1_27distribution_nullary_kernelIaj15HIP_vector_typeIjLj4EES7_SF_ZZZNS5_IS7_EEvS9_SA_ENKSB_clEvENKSC_clEvEUljE_EEvS9_T2_RKT3_T4_EUlijE_EEvlNS_15PhiloxCudaStateET1_SK_,"axG",@progbits,_ZN2at6native12_GLOBAL__N_143distribution_elementwise_grid_stride_kernelIjLi4EZZZNS0_9templates4cuda13random_kernelIPNS_17CUDAGeneratorImplEEEvRNS_18TensorIteratorBaseET_ENKUlvE_clEvENKUlvE0_clEvEUlP25hiprandStatePhilox4_32_10E0_ZNS1_27distribution_nullary_kernelIaj15HIP_vector_typeIjLj4EES7_SF_ZZZNS5_IS7_EEvS9_SA_ENKSB_clEvENKSC_clEvEUljE_EEvS9_T2_RKT3_T4_EUlijE_EEvlNS_15PhiloxCudaStateET1_SK_,comdat
	.globl	_ZN2at6native12_GLOBAL__N_143distribution_elementwise_grid_stride_kernelIjLi4EZZZNS0_9templates4cuda13random_kernelIPNS_17CUDAGeneratorImplEEEvRNS_18TensorIteratorBaseET_ENKUlvE_clEvENKUlvE0_clEvEUlP25hiprandStatePhilox4_32_10E0_ZNS1_27distribution_nullary_kernelIaj15HIP_vector_typeIjLj4EES7_SF_ZZZNS5_IS7_EEvS9_SA_ENKSB_clEvENKSC_clEvEUljE_EEvS9_T2_RKT3_T4_EUlijE_EEvlNS_15PhiloxCudaStateET1_SK_ ; -- Begin function _ZN2at6native12_GLOBAL__N_143distribution_elementwise_grid_stride_kernelIjLi4EZZZNS0_9templates4cuda13random_kernelIPNS_17CUDAGeneratorImplEEEvRNS_18TensorIteratorBaseET_ENKUlvE_clEvENKUlvE0_clEvEUlP25hiprandStatePhilox4_32_10E0_ZNS1_27distribution_nullary_kernelIaj15HIP_vector_typeIjLj4EES7_SF_ZZZNS5_IS7_EEvS9_SA_ENKSB_clEvENKSC_clEvEUljE_EEvS9_T2_RKT3_T4_EUlijE_EEvlNS_15PhiloxCudaStateET1_SK_
	.p2align	8
	.type	_ZN2at6native12_GLOBAL__N_143distribution_elementwise_grid_stride_kernelIjLi4EZZZNS0_9templates4cuda13random_kernelIPNS_17CUDAGeneratorImplEEEvRNS_18TensorIteratorBaseET_ENKUlvE_clEvENKUlvE0_clEvEUlP25hiprandStatePhilox4_32_10E0_ZNS1_27distribution_nullary_kernelIaj15HIP_vector_typeIjLj4EES7_SF_ZZZNS5_IS7_EEvS9_SA_ENKSB_clEvENKSC_clEvEUljE_EEvS9_T2_RKT3_T4_EUlijE_EEvlNS_15PhiloxCudaStateET1_SK_,@function
_ZN2at6native12_GLOBAL__N_143distribution_elementwise_grid_stride_kernelIjLi4EZZZNS0_9templates4cuda13random_kernelIPNS_17CUDAGeneratorImplEEEvRNS_18TensorIteratorBaseET_ENKUlvE_clEvENKUlvE0_clEvEUlP25hiprandStatePhilox4_32_10E0_ZNS1_27distribution_nullary_kernelIaj15HIP_vector_typeIjLj4EES7_SF_ZZZNS5_IS7_EEvS9_SA_ENKSB_clEvENKSC_clEvEUljE_EEvS9_T2_RKT3_T4_EUlijE_EEvlNS_15PhiloxCudaStateET1_SK_: ; @_ZN2at6native12_GLOBAL__N_143distribution_elementwise_grid_stride_kernelIjLi4EZZZNS0_9templates4cuda13random_kernelIPNS_17CUDAGeneratorImplEEEvRNS_18TensorIteratorBaseET_ENKUlvE_clEvENKUlvE0_clEvEUlP25hiprandStatePhilox4_32_10E0_ZNS1_27distribution_nullary_kernelIaj15HIP_vector_typeIjLj4EES7_SF_ZZZNS5_IS7_EEvS9_SA_ENKSB_clEvENKSC_clEvEUljE_EEvS9_T2_RKT3_T4_EUlijE_EEvlNS_15PhiloxCudaStateET1_SK_
; %bb.0:
	s_load_dword s7, s[4:5], 0x20
	s_load_dwordx2 s[10:11], s[4:5], 0x10
	s_load_dwordx4 s[0:3], s[4:5], 0x0
	s_mov_b32 s8, 0
	s_waitcnt lgkmcnt(0)
	s_bitcmp0_b32 s7, 0
	v_pk_mov_b32 v[2:3], s[10:11], s[10:11] op_sel:[0,1]
	v_pk_mov_b32 v[14:15], s[2:3], s[2:3] op_sel:[0,1]
	s_cbranch_scc1 .LBB74_2
; %bb.1:
	v_pk_mov_b32 v[2:3], s[10:11], s[10:11] op_sel:[0,1]
	flat_load_dwordx2 v[2:3], v[2:3]
	v_pk_mov_b32 v[4:5], s[2:3], s[2:3] op_sel:[0,1]
	flat_load_dwordx2 v[14:15], v[4:5]
	s_load_dwordx2 s[2:3], s[4:5], 0x18
	s_waitcnt lgkmcnt(0)
	v_mov_b32_e32 v1, s3
	s_waitcnt vmcnt(0)
	v_add_co_u32_e32 v2, vcc, s2, v2
	v_addc_co_u32_e32 v3, vcc, v3, v1, vcc
.LBB74_2:
	s_load_dword s2, s[4:5], 0x4c
	s_load_dword s10, s[4:5], 0x40
	s_waitcnt lgkmcnt(0)
	s_and_b32 s7, s2, 0xffff
	s_add_u32 s11, s0, -1
	s_mul_i32 s12, s10, s7
	s_addc_u32 s9, s1, -1
	s_lshl_b32 s13, s12, 2
	s_cmp_lg_u64 s[8:9], 0
	s_mov_b64 s[2:3], -1
	s_cbranch_scc0 .LBB74_27
; %bb.3:
	v_cvt_f32_u32_e32 v1, s13
	v_cvt_f32_ubyte0_e32 v4, 0
	s_sub_u32 s8, 0, s13
	s_subb_u32 s14, 0, 0
	v_madmk_f32 v1, v4, 0x4f800000, v1
	v_rcp_f32_e32 v1, v1
	v_mul_f32_e32 v1, 0x5f7ffffc, v1
	v_mul_f32_e32 v4, 0x2f800000, v1
	v_trunc_f32_e32 v4, v4
	v_madmk_f32 v1, v4, 0xcf800000, v1
	v_cvt_u32_f32_e32 v4, v4
	v_cvt_u32_f32_e32 v1, v1
	v_readfirstlane_b32 s15, v4
	v_readfirstlane_b32 s16, v1
	s_mul_i32 s17, s8, s15
	s_mul_hi_u32 s19, s8, s16
	s_mul_i32 s18, s14, s16
	s_add_i32 s17, s19, s17
	s_add_i32 s17, s17, s18
	s_mul_i32 s20, s8, s16
	s_mul_hi_u32 s18, s16, s17
	s_mul_i32 s19, s16, s17
	s_mul_hi_u32 s16, s16, s20
	s_add_u32 s16, s16, s19
	s_addc_u32 s18, 0, s18
	s_mul_hi_u32 s21, s15, s20
	s_mul_i32 s20, s15, s20
	s_add_u32 s16, s16, s20
	s_mul_hi_u32 s19, s15, s17
	s_addc_u32 s16, s18, s21
	s_addc_u32 s18, s19, 0
	s_mul_i32 s17, s15, s17
	s_add_u32 s16, s16, s17
	s_addc_u32 s17, 0, s18
	v_add_co_u32_e32 v1, vcc, s16, v1
	s_cmp_lg_u64 vcc, 0
	s_addc_u32 s15, s15, s17
	v_readfirstlane_b32 s17, v1
	s_mul_i32 s16, s8, s15
	s_mul_hi_u32 s18, s8, s17
	s_add_i32 s16, s18, s16
	s_mul_i32 s14, s14, s17
	s_add_i32 s16, s16, s14
	s_mul_i32 s8, s8, s17
	s_mul_hi_u32 s18, s15, s8
	s_mul_i32 s19, s15, s8
	s_mul_i32 s21, s17, s16
	s_mul_hi_u32 s8, s17, s8
	s_mul_hi_u32 s20, s17, s16
	s_add_u32 s8, s8, s21
	s_addc_u32 s17, 0, s20
	s_add_u32 s8, s8, s19
	s_mul_hi_u32 s14, s15, s16
	s_addc_u32 s8, s17, s18
	s_addc_u32 s14, s14, 0
	s_mul_i32 s16, s15, s16
	s_add_u32 s8, s8, s16
	s_addc_u32 s14, 0, s14
	v_add_co_u32_e32 v1, vcc, s8, v1
	s_cmp_lg_u64 vcc, 0
	s_addc_u32 s16, s15, s14
	s_ashr_i32 s14, s9, 31
	s_add_u32 s8, s11, s14
	s_mov_b32 s15, s14
	s_addc_u32 s9, s9, s14
	s_xor_b64 s[8:9], s[8:9], s[14:15]
	v_readfirstlane_b32 s19, v1
	s_mul_i32 s18, s8, s16
	s_mul_hi_u32 s20, s8, s19
	s_mul_hi_u32 s17, s8, s16
	s_add_u32 s18, s20, s18
	s_addc_u32 s17, 0, s17
	s_mul_hi_u32 s21, s9, s19
	s_mul_i32 s19, s9, s19
	s_add_u32 s18, s18, s19
	s_mul_hi_u32 s20, s9, s16
	s_addc_u32 s17, s17, s21
	s_addc_u32 s18, s20, 0
	s_mul_i32 s16, s9, s16
	s_add_u32 s16, s17, s16
	s_addc_u32 s17, 0, s18
	s_add_u32 s18, s16, 1
	s_addc_u32 s19, s17, 0
	s_add_u32 s20, s16, 2
	s_mul_i32 s22, s13, s17
	s_mul_hi_u32 s23, s13, s16
	s_addc_u32 s21, s17, 0
	s_add_i32 s23, s23, s22
	s_mul_i32 s22, s13, s16
	v_mov_b32_e32 v1, s22
	v_sub_co_u32_e32 v1, vcc, s8, v1
	s_cmp_lg_u64 vcc, 0
	s_subb_u32 s8, s9, s23
	v_subrev_co_u32_e32 v4, vcc, s13, v1
	s_cmp_lg_u64 vcc, 0
	s_subb_u32 s9, s8, 0
	v_readfirstlane_b32 s22, v4
	s_cmp_ge_u32 s22, s13
	s_cselect_b32 s22, -1, 0
	s_cmp_eq_u32 s9, 0
	s_cselect_b32 s9, s22, -1
	s_cmp_lg_u32 s9, 0
	s_cselect_b32 s9, s21, s19
	v_readfirstlane_b32 s19, v1
	s_cselect_b32 s18, s20, s18
	s_cmp_ge_u32 s19, s13
	s_cselect_b32 s19, -1, 0
	s_cmp_eq_u32 s8, 0
	s_cselect_b32 s8, s19, -1
	s_cmp_lg_u32 s8, 0
	s_cselect_b32 s9, s9, s17
	s_cselect_b32 s8, s18, s16
	s_xor_b64 s[8:9], s[8:9], s[14:15]
	s_sub_u32 s8, s8, s14
	s_subb_u32 s9, s9, s14
	s_cbranch_execnz .LBB74_5
.LBB74_4:
	v_cvt_f32_u32_e32 v1, s13
	s_sub_i32 s2, 0, s13
	s_mov_b32 s9, 0
	v_rcp_iflag_f32_e32 v1, v1
	v_mul_f32_e32 v1, 0x4f7ffffe, v1
	v_cvt_u32_f32_e32 v1, v1
	v_readfirstlane_b32 s3, v1
	s_mul_i32 s2, s2, s3
	s_mul_hi_u32 s2, s3, s2
	s_add_i32 s3, s3, s2
	s_mul_hi_u32 s2, s11, s3
	s_mul_i32 s8, s2, s13
	s_sub_i32 s8, s11, s8
	s_add_i32 s3, s2, 1
	s_sub_i32 s11, s8, s13
	s_cmp_ge_u32 s8, s13
	s_cselect_b32 s2, s3, s2
	s_cselect_b32 s8, s11, s8
	s_add_i32 s3, s2, 1
	s_cmp_ge_u32 s8, s13
	s_cselect_b32 s8, s3, s2
.LBB74_5:
	v_mov_b32_e32 v1, 0
	v_mov_b32_e32 v4, s6
	v_mad_u64_u32 v[16:17], s[2:3], s7, v4, v[0:1]
	s_add_u32 s2, s8, 1
	s_addc_u32 s3, s9, 0
	s_mul_hi_u32 s8, s10, s7
	s_mul_i32 s3, s12, s3
	s_mul_hi_u32 s9, s12, s2
	s_add_i32 s3, s9, s3
	s_mul_i32 s8, s8, s2
	s_add_i32 s3, s3, s8
	s_mul_i32 s2, s12, s2
	s_lshl_b64 s[2:3], s[2:3], 2
	v_cmp_gt_i64_e32 vcc, s[2:3], v[16:17]
	s_and_saveexec_b64 s[8:9], vcc
	s_cbranch_execz .LBB74_26
; %bb.6:
	s_load_dwordx2 s[8:9], s[4:5], 0x30
	s_load_dword s11, s[4:5], 0x38
	s_mov_b32 s4, 0x5384540f
	v_mov_b32_e32 v4, v15
	v_add_co_u32_e32 v22, vcc, s4, v14
	s_mov_b32 s4, 0x646e171e
	v_add_co_u32_e32 v23, vcc, s4, v4
	s_mov_b32 s4, 0x1715609d
	;; [unrolled: 2-line block ×6, first 2 shown]
	v_alignbit_b32 v29, v3, v2, 2
	s_mov_b32 s15, 0xd2511f53
	v_add_co_u32_e32 v28, vcc, s4, v14
	v_mad_u64_u32 v[6:7], s[4:5], v29, s15, 0
	v_xor_b32_e32 v1, v7, v15
	v_xor_b32_e32 v1, v1, v17
	s_mov_b32 s16, 0xcd9e8d57
	v_mad_u64_u32 v[8:9], s[4:5], v1, s16, 0
	v_xor_b32_e32 v1, v28, v9
	v_mad_u64_u32 v[10:11], s[4:5], v16, s16, 0
	v_and_b32_e32 v18, 3, v2
	v_xor_b32_e32 v1, v1, v10
	v_xor_b32_e32 v2, v14, v11
	v_lshrrev_b32_e32 v30, 2, v3
	v_mad_u64_u32 v[12:13], s[4:5], v1, s15, 0
	v_xor_b32_e32 v2, v2, v30
	v_xor_b32_e32 v1, v27, v13
	v_mad_u64_u32 v[2:3], s[4:5], v2, s15, 0
	v_xor_b32_e32 v1, v1, v2
	v_mad_u64_u32 v[10:11], s[4:5], v1, s16, 0
	s_mov_b32 s4, 0xbb67ae85
	v_add_co_u32_e32 v31, vcc, s4, v4
	v_xor_b32_e32 v2, v31, v3
	v_xor_b32_e32 v2, v2, v6
	v_xor_b32_e32 v1, v26, v11
	v_mad_u64_u32 v[2:3], s[4:5], v2, s16, 0
	v_xor_b32_e32 v1, v1, v2
	v_mad_u64_u32 v[6:7], s[4:5], v1, s15, 0
	s_mov_b32 s4, 0x3c6ef372
	v_add_co_u32_e32 v32, vcc, s4, v14
	v_xor_b32_e32 v2, v32, v3
	;; [unrolled: 8-line block ×6, first 2 shown]
	v_add_co_u32_e32 v21, vcc, 0xdb3d7428, v4
	v_xor_b32_e32 v2, v2, v8
	v_xor_b32_e32 v1, v21, v7
	v_mad_u64_u32 v[2:3], s[4:5], v2, s15, 0
	v_xor_b32_e32 v1, v1, v2
	v_mad_u64_u32 v[8:9], s[4:5], v1, s16, 0
	s_mov_b32 s4, 0x1fd5c5a3
	v_add_co_u32_e32 v37, vcc, s4, v4
	v_xor_b32_e32 v1, v37, v3
	v_xor_b32_e32 v1, v1, v12
	v_mad_u64_u32 v[2:3], s[4:5], v1, s16, 0
	s_mov_b32 s4, 0xf1bbcdc8
	v_add_u32_e32 v19, 0x8ff34781, v14
	v_xor_b32_e32 v1, v9, v2
	v_add_co_u32_e32 v38, vcc, s4, v14
	v_xor_b32_e32 v2, v19, v1
	v_xor_b32_e32 v1, v38, v3
	;; [unrolled: 1-line block ×3, first 2 shown]
	v_mad_u64_u32 v[10:11], s[4:5], v1, s15, 0
	v_add_u32_e32 v20, 0x96a522ad, v15
	v_xor_b32_e32 v1, v11, v6
	s_mul_i32 s4, s6, s7
	v_xor_b32_e32 v4, v20, v1
	v_add_u32_e32 v1, s4, v0
	s_waitcnt lgkmcnt(0)
	s_mul_i32 s4, s10, s11
	s_mul_i32 s4, s4, s7
	s_lshl_b32 s21, s4, 2
	s_mul_i32 s4, s10, 3
	s_add_i32 s4, s6, s4
	s_mul_i32 s4, s4, s7
	v_mul_lo_u32 v39, s11, v1
	v_add_u32_e32 v1, s4, v0
	s_lshl_b32 s4, s10, 1
	s_add_i32 s4, s6, s4
	s_mul_i32 s4, s4, s7
	v_mul_lo_u32 v40, s11, v1
	v_add_u32_e32 v1, s4, v0
	s_add_i32 s4, s6, s10
	s_mul_i32 s4, s4, s7
	s_mov_b32 s14, 0
	v_add_u32_e32 v0, s4, v0
	v_mov_b32_e32 v3, v8
	v_mov_b32_e32 v5, v10
	s_lshl_b32 s17, s12, 1
	s_mov_b32 s18, s14
	s_mul_i32 s19, s12, 3
	s_mov_b32 s20, s14
	v_mul_lo_u32 v41, s11, v1
	v_mul_lo_u32 v42, s11, v0
	s_mov_b64 s[4:5], 0
	s_mov_b32 s22, s14
	v_mov_b32_e32 v43, v16
	v_mov_b32_e32 v44, v17
	s_branch .LBB74_8
.LBB74_7:                               ;   in Loop: Header=BB74_8 Depth=1
	s_or_b64 exec, exec, s[6:7]
	v_add_co_u32_e32 v16, vcc, s13, v16
	v_addc_co_u32_e32 v17, vcc, 0, v17, vcc
	v_mov_b32_e32 v9, v0
	s_add_i32 s22, s22, s21
	v_cmp_le_i64_e32 vcc, s[2:3], v[16:17]
	v_pk_mov_b32 v[2:3], v[6:7], v[6:7] op_sel:[0,1]
	s_or_b64 s[4:5], vcc, s[4:5]
	v_pk_mov_b32 v[4:5], v[8:9], v[8:9] op_sel:[0,1]
	s_barrier
	s_andn2_b64 exec, exec, s[4:5]
	s_cbranch_execz .LBB74_26
.LBB74_8:                               ; =>This Inner Loop Header: Depth=1
	v_add_co_u32_e32 v29, vcc, 1, v29
	v_cndmask_b32_e64 v0, 0, 1, vcc
	v_addc_co_u32_e32 v30, vcc, 0, v30, vcc
	v_cmp_eq_u32_e32 vcc, 0, v30
	v_cndmask_b32_e32 v0, 0, v0, vcc
	v_add_u32_e32 v43, v0, v43
	v_cmp_eq_u32_e32 vcc, 0, v43
	v_cndmask_b32_e32 v0, 0, v0, vcc
	v_add_u32_e32 v44, v0, v44
	v_mad_u64_u32 v[0:1], s[6:7], v29, s15, 0
	v_mad_u64_u32 v[6:7], s[6:7], v43, s16, 0
	v_xor_b32_e32 v1, v1, v15
	v_xor_b32_e32 v7, v7, v14
	v_xor_b32_e32 v1, v44, v1
	v_xor_b32_e32 v7, v30, v7
	v_mad_u64_u32 v[10:11], s[6:7], v1, s16, 0
	v_mad_u64_u32 v[8:9], s[6:7], v7, s15, 0
	v_xor_b32_e32 v1, v28, v11
	v_xor_b32_e32 v1, v1, v6
	v_xor_b32_e32 v6, v31, v9
	v_xor_b32_e32 v6, v6, v0
	;; [unrolled: 6-line block ×10, first 2 shown]
	v_mov_b32_e32 v7, v12
	v_mov_b32_e32 v8, v13
	v_cmp_lt_i32_e32 vcc, 1, v18
	s_and_saveexec_b64 s[6:7], vcc
	s_xor_b64 s[6:7], exec, s[6:7]
	s_cbranch_execnz .LBB74_18
; %bb.9:                                ;   in Loop: Header=BB74_8 Depth=1
	s_andn2_saveexec_b64 s[6:7], s[6:7]
	s_cbranch_execnz .LBB74_23
.LBB74_10:                              ;   in Loop: Header=BB74_8 Depth=1
	s_or_b64 exec, exec, s[6:7]
	v_cmp_gt_i64_e32 vcc, s[0:1], v[16:17]
	s_and_saveexec_b64 s[6:7], vcc
	s_cbranch_execz .LBB74_12
.LBB74_11:                              ;   in Loop: Header=BB74_8 Depth=1
	v_add_u32_e32 v1, s22, v39
	v_ashrrev_i32_e32 v9, 31, v1
	v_mov_b32_e32 v11, s9
	v_add_co_u32_e32 v10, vcc, s8, v1
	v_addc_co_u32_e32 v11, vcc, v11, v9, vcc
	v_and_b32_e32 v1, 0x7f, v2
	global_store_byte v[10:11], v1, off
.LBB74_12:                              ;   in Loop: Header=BB74_8 Depth=1
	s_or_b64 exec, exec, s[6:7]
	v_mov_b32_e32 v1, s14
	v_add_co_u32_e32 v10, vcc, s12, v16
	v_addc_co_u32_e32 v11, vcc, v1, v17, vcc
	v_cmp_gt_i64_e32 vcc, s[0:1], v[10:11]
	s_and_saveexec_b64 s[6:7], vcc
	s_cbranch_execz .LBB74_14
; %bb.13:                               ;   in Loop: Header=BB74_8 Depth=1
	v_add_u32_e32 v1, s22, v42
	v_ashrrev_i32_e32 v2, 31, v1
	v_mov_b32_e32 v9, s9
	v_add_co_u32_e32 v10, vcc, s8, v1
	v_addc_co_u32_e32 v11, vcc, v9, v2, vcc
	v_and_b32_e32 v1, 0x7f, v3
	global_store_byte v[10:11], v1, off
.LBB74_14:                              ;   in Loop: Header=BB74_8 Depth=1
	s_or_b64 exec, exec, s[6:7]
	v_mov_b32_e32 v1, s18
	v_add_co_u32_e32 v2, vcc, s17, v16
	v_addc_co_u32_e32 v3, vcc, v1, v17, vcc
	v_cmp_gt_i64_e32 vcc, s[0:1], v[2:3]
	s_and_saveexec_b64 s[6:7], vcc
	s_cbranch_execz .LBB74_16
; %bb.15:                               ;   in Loop: Header=BB74_8 Depth=1
	v_add_u32_e32 v1, s22, v41
	v_ashrrev_i32_e32 v3, 31, v1
	v_mov_b32_e32 v9, s9
	v_add_co_u32_e32 v2, vcc, s8, v1
	v_addc_co_u32_e32 v3, vcc, v9, v3, vcc
	v_and_b32_e32 v1, 0x7f, v4
	global_store_byte v[2:3], v1, off
.LBB74_16:                              ;   in Loop: Header=BB74_8 Depth=1
	s_or_b64 exec, exec, s[6:7]
	v_mov_b32_e32 v1, s20
	v_add_co_u32_e32 v2, vcc, s19, v16
	v_addc_co_u32_e32 v3, vcc, v1, v17, vcc
	v_cmp_gt_i64_e32 vcc, s[0:1], v[2:3]
	s_and_saveexec_b64 s[6:7], vcc
	s_cbranch_execz .LBB74_7
; %bb.17:                               ;   in Loop: Header=BB74_8 Depth=1
	v_add_u32_e32 v1, s22, v40
	v_ashrrev_i32_e32 v3, 31, v1
	v_mov_b32_e32 v4, s9
	v_add_co_u32_e32 v2, vcc, s8, v1
	v_addc_co_u32_e32 v3, vcc, v4, v3, vcc
	v_and_b32_e32 v1, 0x7f, v5
	global_store_byte v[2:3], v1, off
	s_branch .LBB74_7
.LBB74_18:                              ;   in Loop: Header=BB74_8 Depth=1
	v_cmp_lt_i32_e32 vcc, 2, v18
	s_and_saveexec_b64 s[10:11], vcc
	s_xor_b64 s[10:11], exec, s[10:11]
; %bb.19:                               ;   in Loop: Header=BB74_8 Depth=1
	v_mov_b32_e32 v10, v5
	v_mov_b32_e32 v11, v6
	v_pk_mov_b32 v[2:3], v[10:11], v[10:11] op_sel:[0,1]
	v_pk_mov_b32 v[4:5], v[12:13], v[12:13] op_sel:[0,1]
                                        ; implicit-def: $vgpr12_vgpr13
; %bb.20:                               ;   in Loop: Header=BB74_8 Depth=1
	s_andn2_saveexec_b64 s[10:11], s[10:11]
; %bb.21:                               ;   in Loop: Header=BB74_8 Depth=1
	v_mov_b32_e32 v2, v4
	v_mov_b32_e32 v3, v5
	;; [unrolled: 1-line block ×4, first 2 shown]
; %bb.22:                               ;   in Loop: Header=BB74_8 Depth=1
	s_or_b64 exec, exec, s[10:11]
	s_andn2_saveexec_b64 s[6:7], s[6:7]
	s_cbranch_execz .LBB74_10
.LBB74_23:                              ;   in Loop: Header=BB74_8 Depth=1
	v_cmp_eq_u32_e32 vcc, 1, v18
	s_and_saveexec_b64 s[10:11], vcc
; %bb.24:                               ;   in Loop: Header=BB74_8 Depth=1
	v_mov_b32_e32 v2, v3
	v_mov_b32_e32 v3, v4
	;; [unrolled: 1-line block ×4, first 2 shown]
; %bb.25:                               ;   in Loop: Header=BB74_8 Depth=1
	s_or_b64 exec, exec, s[10:11]
	s_or_b64 exec, exec, s[6:7]
	v_cmp_gt_i64_e32 vcc, s[0:1], v[16:17]
	s_and_saveexec_b64 s[6:7], vcc
	s_cbranch_execnz .LBB74_11
	s_branch .LBB74_12
.LBB74_26:
	s_endpgm
.LBB74_27:
                                        ; implicit-def: $sgpr8_sgpr9
	s_andn2_b64 vcc, exec, s[2:3]
	s_cbranch_vccz .LBB74_4
	s_branch .LBB74_5
	.section	.rodata,"a",@progbits
	.p2align	6, 0x0
	.amdhsa_kernel _ZN2at6native12_GLOBAL__N_143distribution_elementwise_grid_stride_kernelIjLi4EZZZNS0_9templates4cuda13random_kernelIPNS_17CUDAGeneratorImplEEEvRNS_18TensorIteratorBaseET_ENKUlvE_clEvENKUlvE0_clEvEUlP25hiprandStatePhilox4_32_10E0_ZNS1_27distribution_nullary_kernelIaj15HIP_vector_typeIjLj4EES7_SF_ZZZNS5_IS7_EEvS9_SA_ENKSB_clEvENKSC_clEvEUljE_EEvS9_T2_RKT3_T4_EUlijE_EEvlNS_15PhiloxCudaStateET1_SK_
		.amdhsa_group_segment_fixed_size 0
		.amdhsa_private_segment_fixed_size 0
		.amdhsa_kernarg_size 320
		.amdhsa_user_sgpr_count 6
		.amdhsa_user_sgpr_private_segment_buffer 1
		.amdhsa_user_sgpr_dispatch_ptr 0
		.amdhsa_user_sgpr_queue_ptr 0
		.amdhsa_user_sgpr_kernarg_segment_ptr 1
		.amdhsa_user_sgpr_dispatch_id 0
		.amdhsa_user_sgpr_flat_scratch_init 0
		.amdhsa_user_sgpr_kernarg_preload_length 0
		.amdhsa_user_sgpr_kernarg_preload_offset 0
		.amdhsa_user_sgpr_private_segment_size 0
		.amdhsa_uses_dynamic_stack 0
		.amdhsa_system_sgpr_private_segment_wavefront_offset 0
		.amdhsa_system_sgpr_workgroup_id_x 1
		.amdhsa_system_sgpr_workgroup_id_y 0
		.amdhsa_system_sgpr_workgroup_id_z 0
		.amdhsa_system_sgpr_workgroup_info 0
		.amdhsa_system_vgpr_workitem_id 0
		.amdhsa_next_free_vgpr 48
		.amdhsa_next_free_sgpr 24
		.amdhsa_accum_offset 48
		.amdhsa_reserve_vcc 1
		.amdhsa_reserve_flat_scratch 0
		.amdhsa_float_round_mode_32 0
		.amdhsa_float_round_mode_16_64 0
		.amdhsa_float_denorm_mode_32 3
		.amdhsa_float_denorm_mode_16_64 3
		.amdhsa_dx10_clamp 1
		.amdhsa_ieee_mode 1
		.amdhsa_fp16_overflow 0
		.amdhsa_tg_split 0
		.amdhsa_exception_fp_ieee_invalid_op 0
		.amdhsa_exception_fp_denorm_src 0
		.amdhsa_exception_fp_ieee_div_zero 0
		.amdhsa_exception_fp_ieee_overflow 0
		.amdhsa_exception_fp_ieee_underflow 0
		.amdhsa_exception_fp_ieee_inexact 0
		.amdhsa_exception_int_div_zero 0
	.end_amdhsa_kernel
	.section	.text._ZN2at6native12_GLOBAL__N_143distribution_elementwise_grid_stride_kernelIjLi4EZZZNS0_9templates4cuda13random_kernelIPNS_17CUDAGeneratorImplEEEvRNS_18TensorIteratorBaseET_ENKUlvE_clEvENKUlvE0_clEvEUlP25hiprandStatePhilox4_32_10E0_ZNS1_27distribution_nullary_kernelIaj15HIP_vector_typeIjLj4EES7_SF_ZZZNS5_IS7_EEvS9_SA_ENKSB_clEvENKSC_clEvEUljE_EEvS9_T2_RKT3_T4_EUlijE_EEvlNS_15PhiloxCudaStateET1_SK_,"axG",@progbits,_ZN2at6native12_GLOBAL__N_143distribution_elementwise_grid_stride_kernelIjLi4EZZZNS0_9templates4cuda13random_kernelIPNS_17CUDAGeneratorImplEEEvRNS_18TensorIteratorBaseET_ENKUlvE_clEvENKUlvE0_clEvEUlP25hiprandStatePhilox4_32_10E0_ZNS1_27distribution_nullary_kernelIaj15HIP_vector_typeIjLj4EES7_SF_ZZZNS5_IS7_EEvS9_SA_ENKSB_clEvENKSC_clEvEUljE_EEvS9_T2_RKT3_T4_EUlijE_EEvlNS_15PhiloxCudaStateET1_SK_,comdat
.Lfunc_end74:
	.size	_ZN2at6native12_GLOBAL__N_143distribution_elementwise_grid_stride_kernelIjLi4EZZZNS0_9templates4cuda13random_kernelIPNS_17CUDAGeneratorImplEEEvRNS_18TensorIteratorBaseET_ENKUlvE_clEvENKUlvE0_clEvEUlP25hiprandStatePhilox4_32_10E0_ZNS1_27distribution_nullary_kernelIaj15HIP_vector_typeIjLj4EES7_SF_ZZZNS5_IS7_EEvS9_SA_ENKSB_clEvENKSC_clEvEUljE_EEvS9_T2_RKT3_T4_EUlijE_EEvlNS_15PhiloxCudaStateET1_SK_, .Lfunc_end74-_ZN2at6native12_GLOBAL__N_143distribution_elementwise_grid_stride_kernelIjLi4EZZZNS0_9templates4cuda13random_kernelIPNS_17CUDAGeneratorImplEEEvRNS_18TensorIteratorBaseET_ENKUlvE_clEvENKUlvE0_clEvEUlP25hiprandStatePhilox4_32_10E0_ZNS1_27distribution_nullary_kernelIaj15HIP_vector_typeIjLj4EES7_SF_ZZZNS5_IS7_EEvS9_SA_ENKSB_clEvENKSC_clEvEUljE_EEvS9_T2_RKT3_T4_EUlijE_EEvlNS_15PhiloxCudaStateET1_SK_
                                        ; -- End function
	.section	.AMDGPU.csdata,"",@progbits
; Kernel info:
; codeLenInByte = 2368
; NumSgprs: 28
; NumVgprs: 48
; NumAgprs: 0
; TotalNumVgprs: 48
; ScratchSize: 0
; MemoryBound: 0
; FloatMode: 240
; IeeeMode: 1
; LDSByteSize: 0 bytes/workgroup (compile time only)
; SGPRBlocks: 3
; VGPRBlocks: 5
; NumSGPRsForWavesPerEU: 28
; NumVGPRsForWavesPerEU: 48
; AccumOffset: 48
; Occupancy: 8
; WaveLimiterHint : 0
; COMPUTE_PGM_RSRC2:SCRATCH_EN: 0
; COMPUTE_PGM_RSRC2:USER_SGPR: 6
; COMPUTE_PGM_RSRC2:TRAP_HANDLER: 0
; COMPUTE_PGM_RSRC2:TGID_X_EN: 1
; COMPUTE_PGM_RSRC2:TGID_Y_EN: 0
; COMPUTE_PGM_RSRC2:TGID_Z_EN: 0
; COMPUTE_PGM_RSRC2:TIDIG_COMP_CNT: 0
; COMPUTE_PGM_RSRC3_GFX90A:ACCUM_OFFSET: 11
; COMPUTE_PGM_RSRC3_GFX90A:TG_SPLIT: 0
	.section	.text._ZN2at6native12_GLOBAL__N_143distribution_elementwise_grid_stride_kernelIjLi4EZZZNS0_9templates4cuda13random_kernelIPNS_17CUDAGeneratorImplEEEvRNS_18TensorIteratorBaseET_ENKUlvE_clEvENKUlvE0_clEvEUlP25hiprandStatePhilox4_32_10E0_ZNS1_27distribution_nullary_kernelIaj15HIP_vector_typeIjLj4EES7_SF_ZZZNS5_IS7_EEvS9_SA_ENKSB_clEvENKSC_clEvEUljE_EEvS9_T2_RKT3_T4_EUlijE0_EEvlNS_15PhiloxCudaStateET1_SK_,"axG",@progbits,_ZN2at6native12_GLOBAL__N_143distribution_elementwise_grid_stride_kernelIjLi4EZZZNS0_9templates4cuda13random_kernelIPNS_17CUDAGeneratorImplEEEvRNS_18TensorIteratorBaseET_ENKUlvE_clEvENKUlvE0_clEvEUlP25hiprandStatePhilox4_32_10E0_ZNS1_27distribution_nullary_kernelIaj15HIP_vector_typeIjLj4EES7_SF_ZZZNS5_IS7_EEvS9_SA_ENKSB_clEvENKSC_clEvEUljE_EEvS9_T2_RKT3_T4_EUlijE0_EEvlNS_15PhiloxCudaStateET1_SK_,comdat
	.globl	_ZN2at6native12_GLOBAL__N_143distribution_elementwise_grid_stride_kernelIjLi4EZZZNS0_9templates4cuda13random_kernelIPNS_17CUDAGeneratorImplEEEvRNS_18TensorIteratorBaseET_ENKUlvE_clEvENKUlvE0_clEvEUlP25hiprandStatePhilox4_32_10E0_ZNS1_27distribution_nullary_kernelIaj15HIP_vector_typeIjLj4EES7_SF_ZZZNS5_IS7_EEvS9_SA_ENKSB_clEvENKSC_clEvEUljE_EEvS9_T2_RKT3_T4_EUlijE0_EEvlNS_15PhiloxCudaStateET1_SK_ ; -- Begin function _ZN2at6native12_GLOBAL__N_143distribution_elementwise_grid_stride_kernelIjLi4EZZZNS0_9templates4cuda13random_kernelIPNS_17CUDAGeneratorImplEEEvRNS_18TensorIteratorBaseET_ENKUlvE_clEvENKUlvE0_clEvEUlP25hiprandStatePhilox4_32_10E0_ZNS1_27distribution_nullary_kernelIaj15HIP_vector_typeIjLj4EES7_SF_ZZZNS5_IS7_EEvS9_SA_ENKSB_clEvENKSC_clEvEUljE_EEvS9_T2_RKT3_T4_EUlijE0_EEvlNS_15PhiloxCudaStateET1_SK_
	.p2align	8
	.type	_ZN2at6native12_GLOBAL__N_143distribution_elementwise_grid_stride_kernelIjLi4EZZZNS0_9templates4cuda13random_kernelIPNS_17CUDAGeneratorImplEEEvRNS_18TensorIteratorBaseET_ENKUlvE_clEvENKUlvE0_clEvEUlP25hiprandStatePhilox4_32_10E0_ZNS1_27distribution_nullary_kernelIaj15HIP_vector_typeIjLj4EES7_SF_ZZZNS5_IS7_EEvS9_SA_ENKSB_clEvENKSC_clEvEUljE_EEvS9_T2_RKT3_T4_EUlijE0_EEvlNS_15PhiloxCudaStateET1_SK_,@function
_ZN2at6native12_GLOBAL__N_143distribution_elementwise_grid_stride_kernelIjLi4EZZZNS0_9templates4cuda13random_kernelIPNS_17CUDAGeneratorImplEEEvRNS_18TensorIteratorBaseET_ENKUlvE_clEvENKUlvE0_clEvEUlP25hiprandStatePhilox4_32_10E0_ZNS1_27distribution_nullary_kernelIaj15HIP_vector_typeIjLj4EES7_SF_ZZZNS5_IS7_EEvS9_SA_ENKSB_clEvENKSC_clEvEUljE_EEvS9_T2_RKT3_T4_EUlijE0_EEvlNS_15PhiloxCudaStateET1_SK_: ; @_ZN2at6native12_GLOBAL__N_143distribution_elementwise_grid_stride_kernelIjLi4EZZZNS0_9templates4cuda13random_kernelIPNS_17CUDAGeneratorImplEEEvRNS_18TensorIteratorBaseET_ENKUlvE_clEvENKUlvE0_clEvEUlP25hiprandStatePhilox4_32_10E0_ZNS1_27distribution_nullary_kernelIaj15HIP_vector_typeIjLj4EES7_SF_ZZZNS5_IS7_EEvS9_SA_ENKSB_clEvENKSC_clEvEUljE_EEvS9_T2_RKT3_T4_EUlijE0_EEvlNS_15PhiloxCudaStateET1_SK_
; %bb.0:
	s_load_dword s2, s[4:5], 0x20
	s_load_dwordx2 s[0:1], s[4:5], 0x10
	s_load_dwordx4 s[24:27], s[4:5], 0x0
	s_waitcnt lgkmcnt(0)
	s_bitcmp0_b32 s2, 0
	s_mov_b32 s2, 0
	v_pk_mov_b32 v[2:3], s[0:1], s[0:1] op_sel:[0,1]
	v_pk_mov_b32 v[12:13], s[26:27], s[26:27] op_sel:[0,1]
	s_cbranch_scc1 .LBB75_2
; %bb.1:
	v_pk_mov_b32 v[2:3], s[0:1], s[0:1] op_sel:[0,1]
	flat_load_dwordx2 v[2:3], v[2:3]
	v_pk_mov_b32 v[4:5], s[26:27], s[26:27] op_sel:[0,1]
	flat_load_dwordx2 v[12:13], v[4:5]
	s_load_dwordx2 s[0:1], s[4:5], 0x18
	s_waitcnt lgkmcnt(0)
	v_mov_b32_e32 v1, s1
	s_waitcnt vmcnt(0)
	v_add_co_u32_e32 v2, vcc, s0, v2
	v_addc_co_u32_e32 v3, vcc, v3, v1, vcc
.LBB75_2:
	s_load_dword s0, s[4:5], 0x154
	s_load_dword s7, s[4:5], 0x148
	s_waitcnt lgkmcnt(0)
	s_and_b32 s8, s0, 0xffff
	s_add_u32 s9, s24, -1
	s_mul_i32 s33, s7, s8
	s_addc_u32 s3, s25, -1
	s_lshl_b32 s58, s33, 2
	s_cmp_lg_u64 s[2:3], 0
	s_mov_b64 s[0:1], -1
	s_cbranch_scc0 .LBB75_83
; %bb.3:
	v_cvt_f32_u32_e32 v1, s58
	v_cvt_f32_ubyte0_e32 v4, 0
	s_sub_u32 s2, 0, s58
	s_subb_u32 s10, 0, 0
	v_madmk_f32 v1, v4, 0x4f800000, v1
	v_rcp_f32_e32 v1, v1
	v_mul_f32_e32 v1, 0x5f7ffffc, v1
	v_mul_f32_e32 v4, 0x2f800000, v1
	v_trunc_f32_e32 v4, v4
	v_madmk_f32 v1, v4, 0xcf800000, v1
	v_cvt_u32_f32_e32 v4, v4
	v_cvt_u32_f32_e32 v1, v1
	v_readfirstlane_b32 s11, v4
	v_readfirstlane_b32 s12, v1
	s_mul_i32 s13, s2, s11
	s_mul_hi_u32 s15, s2, s12
	s_mul_i32 s14, s10, s12
	s_add_i32 s13, s15, s13
	s_add_i32 s13, s13, s14
	s_mul_i32 s16, s2, s12
	s_mul_hi_u32 s14, s12, s13
	s_mul_i32 s15, s12, s13
	s_mul_hi_u32 s12, s12, s16
	s_add_u32 s12, s12, s15
	s_addc_u32 s14, 0, s14
	s_mul_hi_u32 s17, s11, s16
	s_mul_i32 s16, s11, s16
	s_add_u32 s12, s12, s16
	s_mul_hi_u32 s15, s11, s13
	s_addc_u32 s12, s14, s17
	s_addc_u32 s14, s15, 0
	s_mul_i32 s13, s11, s13
	s_add_u32 s12, s12, s13
	s_addc_u32 s13, 0, s14
	v_add_co_u32_e32 v1, vcc, s12, v1
	s_cmp_lg_u64 vcc, 0
	s_addc_u32 s11, s11, s13
	v_readfirstlane_b32 s13, v1
	s_mul_i32 s12, s2, s11
	s_mul_hi_u32 s14, s2, s13
	s_add_i32 s12, s14, s12
	s_mul_i32 s10, s10, s13
	s_add_i32 s12, s12, s10
	s_mul_i32 s2, s2, s13
	s_mul_hi_u32 s14, s11, s2
	s_mul_i32 s15, s11, s2
	s_mul_i32 s17, s13, s12
	s_mul_hi_u32 s2, s13, s2
	s_mul_hi_u32 s16, s13, s12
	s_add_u32 s2, s2, s17
	s_addc_u32 s13, 0, s16
	s_add_u32 s2, s2, s15
	s_mul_hi_u32 s10, s11, s12
	s_addc_u32 s2, s13, s14
	s_addc_u32 s10, s10, 0
	s_mul_i32 s12, s11, s12
	s_add_u32 s2, s2, s12
	s_addc_u32 s10, 0, s10
	v_add_co_u32_e32 v1, vcc, s2, v1
	s_cmp_lg_u64 vcc, 0
	s_addc_u32 s12, s11, s10
	s_ashr_i32 s10, s3, 31
	s_add_u32 s2, s9, s10
	s_mov_b32 s11, s10
	s_addc_u32 s3, s3, s10
	s_xor_b64 s[2:3], s[2:3], s[10:11]
	v_readfirstlane_b32 s15, v1
	s_mul_i32 s14, s2, s12
	s_mul_hi_u32 s16, s2, s15
	s_mul_hi_u32 s13, s2, s12
	s_add_u32 s14, s16, s14
	s_addc_u32 s13, 0, s13
	s_mul_hi_u32 s17, s3, s15
	s_mul_i32 s15, s3, s15
	s_add_u32 s14, s14, s15
	s_mul_hi_u32 s16, s3, s12
	s_addc_u32 s13, s13, s17
	s_addc_u32 s14, s16, 0
	s_mul_i32 s12, s3, s12
	s_add_u32 s12, s13, s12
	s_addc_u32 s13, 0, s14
	s_add_u32 s14, s12, 1
	s_addc_u32 s15, s13, 0
	s_add_u32 s16, s12, 2
	s_mul_i32 s18, s58, s13
	s_mul_hi_u32 s19, s58, s12
	s_addc_u32 s17, s13, 0
	s_add_i32 s19, s19, s18
	s_mul_i32 s18, s58, s12
	v_mov_b32_e32 v1, s18
	v_sub_co_u32_e32 v1, vcc, s2, v1
	s_cmp_lg_u64 vcc, 0
	s_subb_u32 s2, s3, s19
	v_subrev_co_u32_e32 v4, vcc, s58, v1
	s_cmp_lg_u64 vcc, 0
	s_subb_u32 s3, s2, 0
	v_readfirstlane_b32 s18, v4
	s_cmp_ge_u32 s18, s58
	s_cselect_b32 s18, -1, 0
	s_cmp_eq_u32 s3, 0
	s_cselect_b32 s3, s18, -1
	s_cmp_lg_u32 s3, 0
	s_cselect_b32 s3, s17, s15
	v_readfirstlane_b32 s15, v1
	s_cselect_b32 s14, s16, s14
	s_cmp_ge_u32 s15, s58
	s_cselect_b32 s15, -1, 0
	s_cmp_eq_u32 s2, 0
	s_cselect_b32 s2, s15, -1
	s_cmp_lg_u32 s2, 0
	s_cselect_b32 s3, s3, s13
	s_cselect_b32 s2, s14, s12
	s_xor_b64 s[2:3], s[2:3], s[10:11]
	s_sub_u32 s2, s2, s10
	s_subb_u32 s3, s3, s10
	s_cbranch_execnz .LBB75_5
.LBB75_4:
	v_cvt_f32_u32_e32 v1, s58
	s_sub_i32 s0, 0, s58
	s_mov_b32 s3, 0
	v_rcp_iflag_f32_e32 v1, v1
	v_mul_f32_e32 v1, 0x4f7ffffe, v1
	v_cvt_u32_f32_e32 v1, v1
	v_readfirstlane_b32 s1, v1
	s_mul_i32 s0, s0, s1
	s_mul_hi_u32 s0, s1, s0
	s_add_i32 s1, s1, s0
	s_mul_hi_u32 s0, s9, s1
	s_mul_i32 s2, s0, s58
	s_sub_i32 s2, s9, s2
	s_add_i32 s1, s0, 1
	s_sub_i32 s9, s2, s58
	s_cmp_ge_u32 s2, s58
	s_cselect_b32 s0, s1, s0
	s_cselect_b32 s2, s9, s2
	s_add_i32 s1, s0, 1
	s_cmp_ge_u32 s2, s58
	s_cselect_b32 s2, s1, s0
.LBB75_5:
	v_mov_b32_e32 v1, 0
	v_mov_b32_e32 v4, s6
	v_mad_u64_u32 v[14:15], s[0:1], s8, v4, v[0:1]
	s_add_u32 s0, s2, 1
	s_addc_u32 s1, s3, 0
	s_mul_hi_u32 s2, s7, s8
	s_mul_i32 s1, s33, s1
	s_mul_hi_u32 s3, s33, s0
	s_add_i32 s1, s3, s1
	s_mul_i32 s2, s2, s0
	s_add_i32 s1, s1, s2
	s_mul_i32 s0, s33, s0
	s_lshl_b64 s[26:27], s[0:1], 2
	v_cmp_gt_i64_e32 vcc, s[26:27], v[14:15]
	s_and_saveexec_b64 s[0:1], vcc
	s_cbranch_execz .LBB75_82
; %bb.6:
	s_mov_b32 s0, 0x5384540f
	v_mov_b32_e32 v0, v13
	v_add_co_u32_e32 v22, vcc, s0, v12
	s_mov_b32 s0, 0x646e171e
	v_add_co_u32_e32 v23, vcc, s0, v0
	s_mov_b32 s0, 0x1715609d
	;; [unrolled: 2-line block ×6, first 2 shown]
	v_alignbit_b32 v29, v3, v2, 2
	s_mov_b32 s60, 0xd2511f53
	v_add_co_u32_e32 v28, vcc, s0, v12
	v_mad_u64_u32 v[4:5], s[0:1], v29, s60, 0
	v_xor_b32_e32 v1, v5, v13
	v_xor_b32_e32 v1, v1, v15
	s_mov_b32 s61, 0xcd9e8d57
	v_mad_u64_u32 v[6:7], s[0:1], v1, s61, 0
	v_xor_b32_e32 v1, v28, v7
	v_mad_u64_u32 v[8:9], s[0:1], v14, s61, 0
	v_and_b32_e32 v18, 3, v2
	v_xor_b32_e32 v1, v1, v8
	v_xor_b32_e32 v2, v12, v9
	v_lshrrev_b32_e32 v30, 2, v3
	v_mad_u64_u32 v[10:11], s[0:1], v1, s60, 0
	v_xor_b32_e32 v2, v2, v30
	v_xor_b32_e32 v1, v27, v11
	v_mad_u64_u32 v[2:3], s[0:1], v2, s60, 0
	v_xor_b32_e32 v1, v1, v2
	v_mad_u64_u32 v[8:9], s[0:1], v1, s61, 0
	s_mov_b32 s0, 0xbb67ae85
	v_add_co_u32_e32 v31, vcc, s0, v0
	v_xor_b32_e32 v2, v31, v3
	v_xor_b32_e32 v2, v2, v4
	v_xor_b32_e32 v1, v26, v9
	v_mad_u64_u32 v[2:3], s[0:1], v2, s61, 0
	v_xor_b32_e32 v1, v1, v2
	v_mad_u64_u32 v[4:5], s[0:1], v1, s60, 0
	s_mov_b32 s0, 0x3c6ef372
	v_add_co_u32_e32 v32, vcc, s0, v12
	v_xor_b32_e32 v2, v32, v3
	;; [unrolled: 8-line block ×6, first 2 shown]
	v_add_co_u32_e32 v21, vcc, 0xdb3d7428, v0
	v_xor_b32_e32 v2, v2, v6
	v_xor_b32_e32 v1, v21, v5
	v_mad_u64_u32 v[2:3], s[0:1], v2, s60, 0
	v_xor_b32_e32 v1, v1, v2
	v_mad_u64_u32 v[6:7], s[0:1], v1, s61, 0
	s_mov_b32 s0, 0x1fd5c5a3
	v_add_co_u32_e32 v37, vcc, s0, v0
	v_xor_b32_e32 v0, v37, v3
	v_xor_b32_e32 v0, v0, v10
	v_mad_u64_u32 v[0:1], s[0:1], v0, s61, 0
	s_mov_b32 s0, 0xf1bbcdc8
	s_load_dwordx8 s[8:15], s[4:5], 0x30
	v_add_co_u32_e32 v38, vcc, s0, v12
	v_xor_b32_e32 v1, v38, v1
	v_xor_b32_e32 v1, v1, v8
	s_add_u32 s34, s4, 48
	v_mad_u64_u32 v[8:9], s[0:1], v1, s60, 0
	s_addc_u32 s35, s5, 0
	s_waitcnt lgkmcnt(0)
	s_add_i32 s0, s8, -1
	s_cmp_gt_u32 s0, 1
	s_cselect_b64 s[36:37], -1, 0
	s_cmp_lg_u32 s8, 0
	s_cselect_b64 s[38:39], -1, 0
	s_add_u32 s40, s4, 0xf4
	s_addc_u32 s41, s5, 0
	s_min_u32 s1, s0, 15
	s_cmp_gt_u32 s8, 1
	s_cselect_b64 s[42:43], -1, 0
	s_add_i32 s1, s1, 1
	s_mov_b32 s8, s13
	s_load_dwordx2 s[44:45], s[4:5], 0xf4
	s_load_dwordx2 s[46:47], s[4:5], 0x138
	s_lshl_b32 s13, s33, 1
	s_and_b32 s64, s1, 3
	s_cmp_lg_u32 s0, 2
	s_cselect_b64 s[48:49], -1, 0
	s_and_b32 s65, s1, 28
	s_mov_b32 s59, 0
	v_add_u32_e32 v19, 0x8ff34781, v12
	v_add_u32_e32 v20, 0x96a522ad, v13
	v_xor_b32_e32 v0, v7, v0
	v_xor_b32_e32 v1, v9, v4
	s_cmp_lg_u32 s64, 0
	v_xor_b32_e32 v0, v19, v0
	v_xor_b32_e32 v2, v20, v1
	v_mov_b32_e32 v1, v6
	v_mov_b32_e32 v3, v8
	s_mov_b32 s15, s59
	s_mul_i32 s62, s33, 3
	s_mov_b32 s63, s59
	s_mov_b64 s[50:51], 0
	s_cselect_b64 s[52:53], -1, 0
	v_mov_b32_e32 v39, v14
	v_mov_b32_e32 v40, v15
	s_branch .LBB75_9
.LBB75_7:                               ;   in Loop: Header=BB75_9 Depth=1
	v_and_b32_e32 v0, 0x7f, v3
	s_waitcnt lgkmcnt(0)
	global_store_byte v8, v0, s[46:47]
.LBB75_8:                               ;   in Loop: Header=BB75_9 Depth=1
	s_or_b64 exec, exec, s[28:29]
	v_add_co_u32_e32 v14, vcc, s58, v14
	v_addc_co_u32_e32 v15, vcc, 0, v15, vcc
	v_mov_b32_e32 v7, v16
	v_cmp_le_i64_e32 vcc, s[26:27], v[14:15]
	v_pk_mov_b32 v[0:1], v[4:5], v[4:5] op_sel:[0,1]
	s_or_b64 s[50:51], vcc, s[50:51]
	v_pk_mov_b32 v[2:3], v[6:7], v[6:7] op_sel:[0,1]
	s_waitcnt lgkmcnt(0)
	s_barrier
	s_andn2_b64 exec, exec, s[50:51]
	s_cbranch_execz .LBB75_82
.LBB75_9:                               ; =>This Loop Header: Depth=1
                                        ;     Child Loop BB75_24 Depth 2
                                        ;     Child Loop BB75_30 Depth 2
	;; [unrolled: 1-line block ×8, first 2 shown]
	v_add_co_u32_e32 v29, vcc, 1, v29
	v_cndmask_b32_e64 v4, 0, 1, vcc
	v_addc_co_u32_e32 v30, vcc, 0, v30, vcc
	v_cmp_eq_u32_e32 vcc, 0, v30
	v_cndmask_b32_e32 v4, 0, v4, vcc
	v_add_u32_e32 v39, v4, v39
	v_cmp_eq_u32_e32 vcc, 0, v39
	v_cndmask_b32_e32 v4, 0, v4, vcc
	v_add_u32_e32 v40, v4, v40
	v_mad_u64_u32 v[4:5], s[0:1], v29, s60, 0
	v_mad_u64_u32 v[6:7], s[0:1], v39, s61, 0
	v_xor_b32_e32 v5, v5, v13
	v_xor_b32_e32 v7, v7, v12
	v_xor_b32_e32 v5, v40, v5
	v_xor_b32_e32 v7, v30, v7
	v_mad_u64_u32 v[10:11], s[0:1], v5, s61, 0
	v_mad_u64_u32 v[8:9], s[0:1], v7, s60, 0
	v_xor_b32_e32 v5, v28, v11
	v_xor_b32_e32 v5, v5, v6
	v_xor_b32_e32 v6, v31, v9
	v_xor_b32_e32 v6, v6, v4
	;; [unrolled: 6-line block ×10, first 2 shown]
	v_mov_b32_e32 v5, v10
	v_mov_b32_e32 v6, v11
	v_cmp_lt_i32_e32 vcc, 1, v18
	s_and_saveexec_b64 s[0:1], vcc
	s_xor_b64 s[0:1], exec, s[0:1]
	s_cbranch_execz .LBB75_15
; %bb.10:                               ;   in Loop: Header=BB75_9 Depth=1
	v_cmp_lt_i32_e32 vcc, 2, v18
	s_and_saveexec_b64 s[2:3], vcc
	s_xor_b64 s[2:3], exec, s[2:3]
; %bb.11:                               ;   in Loop: Header=BB75_9 Depth=1
	v_mov_b32_e32 v8, v3
	v_mov_b32_e32 v9, v4
	v_pk_mov_b32 v[0:1], v[8:9], v[8:9] op_sel:[0,1]
	v_pk_mov_b32 v[2:3], v[10:11], v[10:11] op_sel:[0,1]
                                        ; implicit-def: $vgpr10_vgpr11
; %bb.12:                               ;   in Loop: Header=BB75_9 Depth=1
	s_andn2_saveexec_b64 s[2:3], s[2:3]
; %bb.13:                               ;   in Loop: Header=BB75_9 Depth=1
	v_mov_b32_e32 v0, v2
	v_mov_b32_e32 v1, v3
	;; [unrolled: 1-line block ×4, first 2 shown]
; %bb.14:                               ;   in Loop: Header=BB75_9 Depth=1
	s_or_b64 exec, exec, s[2:3]
.LBB75_15:                              ;   in Loop: Header=BB75_9 Depth=1
	s_andn2_saveexec_b64 s[0:1], s[0:1]
	s_cbranch_execz .LBB75_19
; %bb.16:                               ;   in Loop: Header=BB75_9 Depth=1
	v_cmp_eq_u32_e32 vcc, 1, v18
	s_and_saveexec_b64 s[2:3], vcc
; %bb.17:                               ;   in Loop: Header=BB75_9 Depth=1
	v_mov_b32_e32 v0, v1
	v_mov_b32_e32 v1, v2
	;; [unrolled: 1-line block ×4, first 2 shown]
; %bb.18:                               ;   in Loop: Header=BB75_9 Depth=1
	s_or_b64 exec, exec, s[2:3]
.LBB75_19:                              ;   in Loop: Header=BB75_9 Depth=1
	s_or_b64 exec, exec, s[0:1]
	v_cndmask_b32_e64 v7, 0, 1, s[36:37]
	v_cmp_gt_i64_e32 vcc, s[24:25], v[14:15]
	v_cmp_ne_u32_e64 s[0:1], 1, v7
	s_and_saveexec_b64 s[2:3], vcc
	s_cbranch_execz .LBB75_35
; %bb.20:                               ;   in Loop: Header=BB75_9 Depth=1
	s_and_b64 vcc, exec, s[0:1]
	s_cbranch_vccnz .LBB75_26
; %bb.21:                               ;   in Loop: Header=BB75_9 Depth=1
	s_andn2_b64 vcc, exec, s[38:39]
	s_cbranch_vccnz .LBB75_27
; %bb.22:                               ;   in Loop: Header=BB75_9 Depth=1
	s_mov_b32 s6, 0
	s_andn2_b64 vcc, exec, s[48:49]
	v_mov_b32_e32 v8, 0
	s_cbranch_vccnz .LBB75_28
; %bb.23:                               ;   in Loop: Header=BB75_9 Depth=1
	s_mov_b32 s66, 0
	v_mov_b32_e32 v8, 0
	s_mov_b64 s[54:55], s[34:35]
	s_mov_b64 s[56:57], s[40:41]
	v_mov_b32_e32 v7, v14
.LBB75_24:                              ;   Parent Loop BB75_9 Depth=1
                                        ; =>  This Inner Loop Header: Depth=2
	s_load_dwordx8 s[16:23], s[54:55], 0x4
	s_load_dwordx4 s[4:7], s[54:55], 0x24
	s_load_dwordx4 s[28:31], s[56:57], 0x0
	s_add_u32 s54, s54, 48
	s_addc_u32 s55, s55, 0
	s_waitcnt lgkmcnt(0)
	v_mul_hi_u32 v9, s17, v7
	v_add_u32_e32 v9, v7, v9
	v_lshrrev_b32_e32 v9, s18, v9
	v_mul_lo_u32 v10, v9, s16
	v_mul_hi_u32 v11, s20, v9
	v_sub_u32_e32 v7, v7, v10
	v_add_u32_e32 v10, v9, v11
	v_lshrrev_b32_e32 v10, s21, v10
	v_mul_lo_u32 v11, v10, s19
	v_mul_hi_u32 v17, s23, v10
	v_sub_u32_e32 v9, v9, v11
	v_add_u32_e32 v11, v10, v17
	v_mul_lo_u32 v7, v7, s28
	v_mul_lo_u32 v9, v9, s29
	v_lshrrev_b32_e32 v11, s4, v11
	v_add3_u32 v8, v7, v8, v9
	v_mul_lo_u32 v7, v11, s22
	v_mul_hi_u32 v9, s6, v11
	v_sub_u32_e32 v7, v10, v7
	v_add_u32_e32 v9, v11, v9
	v_mul_lo_u32 v10, v7, s30
	v_lshrrev_b32_e32 v7, s7, v9
	s_add_i32 s66, s66, 4
	v_mul_lo_u32 v9, v7, s5
	s_add_u32 s56, s56, 16
	v_sub_u32_e32 v9, v11, v9
	s_addc_u32 s57, s57, 0
	v_mul_lo_u32 v9, v9, s31
	s_cmp_lg_u32 s65, s66
	v_add3_u32 v8, v10, v8, v9
	s_cbranch_scc1 .LBB75_24
; %bb.25:                               ;   in Loop: Header=BB75_9 Depth=1
	s_mov_b32 s6, s65
	s_andn2_b64 vcc, exec, s[52:53]
	s_cbranch_vccz .LBB75_29
	s_branch .LBB75_31
.LBB75_26:                              ;   in Loop: Header=BB75_9 Depth=1
                                        ; implicit-def: $vgpr8
	s_branch .LBB75_32
.LBB75_27:                              ;   in Loop: Header=BB75_9 Depth=1
	v_mov_b32_e32 v8, 0
	s_branch .LBB75_31
.LBB75_28:                              ;   in Loop: Header=BB75_9 Depth=1
	v_mov_b32_e32 v7, v14
	s_andn2_b64 vcc, exec, s[52:53]
	s_cbranch_vccnz .LBB75_31
.LBB75_29:                              ;   in Loop: Header=BB75_9 Depth=1
	s_lshl_b32 s4, s6, 2
	s_add_u32 s4, s40, s4
	s_addc_u32 s5, s41, 0
	s_mul_i32 s6, s6, 12
	s_add_u32 s6, s34, s6
	s_addc_u32 s7, s35, 0
	s_mov_b32 s16, s64
.LBB75_30:                              ;   Parent Loop BB75_9 Depth=1
                                        ; =>  This Inner Loop Header: Depth=2
	s_load_dwordx2 s[18:19], s[6:7], 0x4
	s_load_dword s17, s[6:7], 0xc
	s_load_dword s20, s[4:5], 0x0
	s_add_u32 s6, s6, 12
	s_addc_u32 s7, s7, 0
	s_waitcnt lgkmcnt(0)
	v_mul_hi_u32 v9, s19, v7
	v_add_u32_e32 v9, v7, v9
	v_lshrrev_b32_e32 v9, s17, v9
	s_add_u32 s4, s4, 4
	v_mul_lo_u32 v10, v9, s18
	s_addc_u32 s5, s5, 0
	s_add_i32 s16, s16, -1
	v_sub_u32_e32 v10, v7, v10
	s_cmp_lg_u32 s16, 0
	v_mov_b32_e32 v7, v9
	v_mad_u64_u32 v[8:9], s[18:19], v10, s20, v[8:9]
	s_cbranch_scc1 .LBB75_30
.LBB75_31:                              ;   in Loop: Header=BB75_9 Depth=1
	s_cbranch_execnz .LBB75_34
.LBB75_32:                              ;   in Loop: Header=BB75_9 Depth=1
	v_mul_hi_u32 v7, v14, s10
	v_add_u32_e32 v7, v7, v14
	v_lshrrev_b32_e32 v7, s11, v7
	v_mul_lo_u32 v8, v7, s9
	v_sub_u32_e32 v8, v14, v8
	s_andn2_b64 vcc, exec, s[42:43]
	s_waitcnt lgkmcnt(0)
	v_mul_lo_u32 v8, v8, s44
	s_cbranch_vccnz .LBB75_34
; %bb.33:                               ;   in Loop: Header=BB75_9 Depth=1
	v_mul_hi_u32 v9, s8, v7
	v_add_u32_e32 v9, v7, v9
	v_lshrrev_b32_e32 v9, s14, v9
	v_mul_lo_u32 v9, v9, s12
	v_sub_u32_e32 v7, v7, v9
	v_mad_u64_u32 v[8:9], s[4:5], v7, s45, v[8:9]
.LBB75_34:                              ;   in Loop: Header=BB75_9 Depth=1
	v_and_b32_e32 v0, 0x7f, v0
	s_waitcnt lgkmcnt(0)
	global_store_byte v8, v0, s[46:47]
.LBB75_35:                              ;   in Loop: Header=BB75_9 Depth=1
	s_or_b64 exec, exec, s[2:3]
	v_mov_b32_e32 v0, s59
	v_add_co_u32_e32 v8, vcc, s33, v14
	v_addc_co_u32_e32 v9, vcc, v15, v0, vcc
	v_cmp_gt_i64_e32 vcc, s[24:25], v[8:9]
	s_and_saveexec_b64 s[2:3], vcc
	s_cbranch_execz .LBB75_51
; %bb.36:                               ;   in Loop: Header=BB75_9 Depth=1
	s_and_b64 vcc, exec, s[0:1]
	s_cbranch_vccnz .LBB75_42
; %bb.37:                               ;   in Loop: Header=BB75_9 Depth=1
	s_andn2_b64 vcc, exec, s[38:39]
	s_cbranch_vccnz .LBB75_43
; %bb.38:                               ;   in Loop: Header=BB75_9 Depth=1
	s_mov_b32 s6, 0
	s_andn2_b64 vcc, exec, s[48:49]
	v_mov_b32_e32 v10, 0
	s_cbranch_vccnz .LBB75_44
; %bb.39:                               ;   in Loop: Header=BB75_9 Depth=1
	s_mov_b32 s66, 0
	v_mov_b32_e32 v10, 0
	s_mov_b64 s[54:55], s[34:35]
	s_mov_b64 s[56:57], s[40:41]
	v_mov_b32_e32 v0, v8
.LBB75_40:                              ;   Parent Loop BB75_9 Depth=1
                                        ; =>  This Inner Loop Header: Depth=2
	s_load_dwordx8 s[16:23], s[54:55], 0x4
	s_load_dwordx4 s[4:7], s[54:55], 0x24
	s_load_dwordx4 s[28:31], s[56:57], 0x0
	s_add_u32 s54, s54, 48
	s_addc_u32 s55, s55, 0
	s_waitcnt lgkmcnt(0)
	v_mul_hi_u32 v7, s17, v0
	v_add_u32_e32 v7, v0, v7
	v_lshrrev_b32_e32 v7, s18, v7
	v_mul_lo_u32 v9, v7, s16
	v_mul_hi_u32 v11, s20, v7
	v_sub_u32_e32 v0, v0, v9
	v_add_u32_e32 v9, v7, v11
	v_lshrrev_b32_e32 v9, s21, v9
	v_mul_lo_u32 v11, v9, s19
	v_mul_hi_u32 v17, s23, v9
	v_sub_u32_e32 v7, v7, v11
	v_add_u32_e32 v11, v9, v17
	v_mul_lo_u32 v0, v0, s28
	v_mul_lo_u32 v7, v7, s29
	v_lshrrev_b32_e32 v11, s4, v11
	v_add3_u32 v7, v0, v10, v7
	v_mul_lo_u32 v0, v11, s22
	v_mul_hi_u32 v10, s6, v11
	v_sub_u32_e32 v0, v9, v0
	v_add_u32_e32 v9, v11, v10
	v_mul_lo_u32 v10, v0, s30
	v_lshrrev_b32_e32 v0, s7, v9
	s_add_i32 s66, s66, 4
	v_mul_lo_u32 v9, v0, s5
	s_add_u32 s56, s56, 16
	v_sub_u32_e32 v9, v11, v9
	s_addc_u32 s57, s57, 0
	v_mul_lo_u32 v9, v9, s31
	s_cmp_eq_u32 s65, s66
	v_add3_u32 v10, v10, v7, v9
	s_cbranch_scc0 .LBB75_40
; %bb.41:                               ;   in Loop: Header=BB75_9 Depth=1
	s_mov_b32 s6, s65
	s_andn2_b64 vcc, exec, s[52:53]
	s_cbranch_vccz .LBB75_45
	s_branch .LBB75_47
.LBB75_42:                              ;   in Loop: Header=BB75_9 Depth=1
                                        ; implicit-def: $vgpr10
	s_branch .LBB75_48
.LBB75_43:                              ;   in Loop: Header=BB75_9 Depth=1
	v_mov_b32_e32 v10, 0
	s_branch .LBB75_47
.LBB75_44:                              ;   in Loop: Header=BB75_9 Depth=1
	v_mov_b32_e32 v0, v8
	s_andn2_b64 vcc, exec, s[52:53]
	s_cbranch_vccnz .LBB75_47
.LBB75_45:                              ;   in Loop: Header=BB75_9 Depth=1
	s_lshl_b32 s4, s6, 2
	s_add_u32 s4, s40, s4
	s_addc_u32 s5, s41, 0
	s_mul_i32 s6, s6, 12
	s_add_u32 s6, s34, s6
	s_addc_u32 s7, s35, 0
	s_mov_b32 s16, s64
.LBB75_46:                              ;   Parent Loop BB75_9 Depth=1
                                        ; =>  This Inner Loop Header: Depth=2
	s_load_dwordx2 s[18:19], s[6:7], 0x4
	s_load_dword s17, s[6:7], 0xc
	s_load_dword s20, s[4:5], 0x0
	s_add_u32 s6, s6, 12
	s_addc_u32 s7, s7, 0
	s_waitcnt lgkmcnt(0)
	v_mul_hi_u32 v7, s19, v0
	v_add_u32_e32 v7, v0, v7
	v_lshrrev_b32_e32 v7, s17, v7
	s_add_u32 s4, s4, 4
	v_mul_lo_u32 v9, v7, s18
	s_addc_u32 s5, s5, 0
	s_add_i32 s16, s16, -1
	v_sub_u32_e32 v9, v0, v9
	s_cmp_lg_u32 s16, 0
	v_mov_b32_e32 v0, v7
	v_mad_u64_u32 v[10:11], s[18:19], v9, s20, v[10:11]
	s_cbranch_scc1 .LBB75_46
.LBB75_47:                              ;   in Loop: Header=BB75_9 Depth=1
	s_cbranch_execnz .LBB75_50
.LBB75_48:                              ;   in Loop: Header=BB75_9 Depth=1
	v_mul_hi_u32 v0, v8, s10
	v_add_u32_e32 v0, v0, v8
	v_lshrrev_b32_e32 v0, s11, v0
	v_mul_lo_u32 v7, v0, s9
	v_sub_u32_e32 v7, v8, v7
	s_andn2_b64 vcc, exec, s[42:43]
	s_waitcnt lgkmcnt(0)
	v_mul_lo_u32 v10, v7, s44
	s_cbranch_vccnz .LBB75_50
; %bb.49:                               ;   in Loop: Header=BB75_9 Depth=1
	v_mul_hi_u32 v7, s8, v0
	v_add_u32_e32 v7, v0, v7
	v_lshrrev_b32_e32 v7, s14, v7
	v_mul_lo_u32 v7, v7, s12
	v_sub_u32_e32 v0, v0, v7
	v_mad_u64_u32 v[10:11], s[4:5], v0, s45, v[10:11]
.LBB75_50:                              ;   in Loop: Header=BB75_9 Depth=1
	v_and_b32_e32 v0, 0x7f, v1
	s_waitcnt lgkmcnt(0)
	global_store_byte v10, v0, s[46:47]
.LBB75_51:                              ;   in Loop: Header=BB75_9 Depth=1
	s_or_b64 exec, exec, s[2:3]
	v_mov_b32_e32 v1, s15
	v_add_co_u32_e32 v0, vcc, s13, v14
	v_addc_co_u32_e32 v1, vcc, v15, v1, vcc
	v_cmp_gt_i64_e32 vcc, s[24:25], v[0:1]
	s_and_saveexec_b64 s[2:3], vcc
	s_cbranch_execz .LBB75_67
; %bb.52:                               ;   in Loop: Header=BB75_9 Depth=1
	s_and_b64 vcc, exec, s[0:1]
	s_cbranch_vccnz .LBB75_58
; %bb.53:                               ;   in Loop: Header=BB75_9 Depth=1
	s_andn2_b64 vcc, exec, s[38:39]
	s_cbranch_vccnz .LBB75_59
; %bb.54:                               ;   in Loop: Header=BB75_9 Depth=1
	s_mov_b32 s6, 0
	s_andn2_b64 vcc, exec, s[48:49]
	v_mov_b32_e32 v8, 0
	s_cbranch_vccnz .LBB75_60
; %bb.55:                               ;   in Loop: Header=BB75_9 Depth=1
	s_mov_b32 s66, 0
	v_mov_b32_e32 v8, 0
	s_mov_b64 s[54:55], s[34:35]
	s_mov_b64 s[56:57], s[40:41]
	v_mov_b32_e32 v1, v0
.LBB75_56:                              ;   Parent Loop BB75_9 Depth=1
                                        ; =>  This Inner Loop Header: Depth=2
	s_load_dwordx8 s[16:23], s[54:55], 0x4
	s_load_dwordx4 s[4:7], s[54:55], 0x24
	s_load_dwordx4 s[28:31], s[56:57], 0x0
	s_add_u32 s54, s54, 48
	s_addc_u32 s55, s55, 0
	s_waitcnt lgkmcnt(0)
	v_mul_hi_u32 v7, s17, v1
	v_add_u32_e32 v7, v1, v7
	v_lshrrev_b32_e32 v7, s18, v7
	v_mul_lo_u32 v9, v7, s16
	v_mul_hi_u32 v10, s20, v7
	v_sub_u32_e32 v1, v1, v9
	v_add_u32_e32 v9, v7, v10
	v_lshrrev_b32_e32 v9, s21, v9
	v_mul_lo_u32 v10, v9, s19
	v_mul_hi_u32 v11, s23, v9
	v_sub_u32_e32 v7, v7, v10
	v_add_u32_e32 v10, v9, v11
	v_mul_lo_u32 v1, v1, s28
	v_mul_lo_u32 v7, v7, s29
	v_lshrrev_b32_e32 v10, s4, v10
	v_add3_u32 v7, v1, v8, v7
	v_mul_lo_u32 v1, v10, s22
	v_mul_hi_u32 v8, s6, v10
	v_sub_u32_e32 v1, v9, v1
	v_add_u32_e32 v8, v10, v8
	v_mul_lo_u32 v9, v1, s30
	v_lshrrev_b32_e32 v1, s7, v8
	s_add_i32 s66, s66, 4
	v_mul_lo_u32 v8, v1, s5
	s_add_u32 s56, s56, 16
	v_sub_u32_e32 v8, v10, v8
	s_addc_u32 s57, s57, 0
	v_mul_lo_u32 v8, v8, s31
	s_cmp_eq_u32 s65, s66
	v_add3_u32 v8, v9, v7, v8
	s_cbranch_scc0 .LBB75_56
; %bb.57:                               ;   in Loop: Header=BB75_9 Depth=1
	s_mov_b32 s6, s65
	s_andn2_b64 vcc, exec, s[52:53]
	s_cbranch_vccz .LBB75_61
	s_branch .LBB75_63
.LBB75_58:                              ;   in Loop: Header=BB75_9 Depth=1
                                        ; implicit-def: $vgpr8
	s_branch .LBB75_64
.LBB75_59:                              ;   in Loop: Header=BB75_9 Depth=1
	v_mov_b32_e32 v8, 0
	s_branch .LBB75_63
.LBB75_60:                              ;   in Loop: Header=BB75_9 Depth=1
	v_mov_b32_e32 v1, v0
	s_andn2_b64 vcc, exec, s[52:53]
	s_cbranch_vccnz .LBB75_63
.LBB75_61:                              ;   in Loop: Header=BB75_9 Depth=1
	s_lshl_b32 s4, s6, 2
	s_add_u32 s4, s40, s4
	s_addc_u32 s5, s41, 0
	s_mul_i32 s6, s6, 12
	s_add_u32 s6, s34, s6
	s_addc_u32 s7, s35, 0
	s_mov_b32 s16, s64
.LBB75_62:                              ;   Parent Loop BB75_9 Depth=1
                                        ; =>  This Inner Loop Header: Depth=2
	s_load_dwordx2 s[18:19], s[6:7], 0x4
	s_load_dword s17, s[6:7], 0xc
	s_load_dword s20, s[4:5], 0x0
	s_add_u32 s6, s6, 12
	s_addc_u32 s7, s7, 0
	s_waitcnt lgkmcnt(0)
	v_mul_hi_u32 v7, s19, v1
	v_add_u32_e32 v7, v1, v7
	v_lshrrev_b32_e32 v7, s17, v7
	s_add_u32 s4, s4, 4
	v_mul_lo_u32 v9, v7, s18
	s_addc_u32 s5, s5, 0
	s_add_i32 s16, s16, -1
	v_sub_u32_e32 v9, v1, v9
	s_cmp_lg_u32 s16, 0
	v_mov_b32_e32 v1, v7
	v_mad_u64_u32 v[8:9], s[18:19], v9, s20, v[8:9]
	s_cbranch_scc1 .LBB75_62
.LBB75_63:                              ;   in Loop: Header=BB75_9 Depth=1
	s_cbranch_execnz .LBB75_66
.LBB75_64:                              ;   in Loop: Header=BB75_9 Depth=1
	v_mul_hi_u32 v1, v0, s10
	v_add_u32_e32 v1, v1, v0
	v_lshrrev_b32_e32 v1, s11, v1
	v_mul_lo_u32 v7, v1, s9
	v_sub_u32_e32 v0, v0, v7
	s_andn2_b64 vcc, exec, s[42:43]
	s_waitcnt lgkmcnt(0)
	v_mul_lo_u32 v8, v0, s44
	s_cbranch_vccnz .LBB75_66
; %bb.65:                               ;   in Loop: Header=BB75_9 Depth=1
	v_mul_hi_u32 v0, s8, v1
	v_add_u32_e32 v0, v1, v0
	v_lshrrev_b32_e32 v0, s14, v0
	v_mul_lo_u32 v0, v0, s12
	v_sub_u32_e32 v0, v1, v0
	v_mad_u64_u32 v[8:9], s[4:5], v0, s45, v[8:9]
.LBB75_66:                              ;   in Loop: Header=BB75_9 Depth=1
	v_and_b32_e32 v0, 0x7f, v2
	s_waitcnt lgkmcnt(0)
	global_store_byte v8, v0, s[46:47]
.LBB75_67:                              ;   in Loop: Header=BB75_9 Depth=1
	s_or_b64 exec, exec, s[2:3]
	v_mov_b32_e32 v1, s63
	v_add_co_u32_e32 v0, vcc, s62, v14
	v_addc_co_u32_e32 v1, vcc, v15, v1, vcc
	v_cmp_gt_i64_e32 vcc, s[24:25], v[0:1]
	s_and_saveexec_b64 s[28:29], vcc
	s_cbranch_execz .LBB75_8
; %bb.68:                               ;   in Loop: Header=BB75_9 Depth=1
	s_and_b64 vcc, exec, s[0:1]
	s_cbranch_vccnz .LBB75_74
; %bb.69:                               ;   in Loop: Header=BB75_9 Depth=1
	s_andn2_b64 vcc, exec, s[38:39]
	s_cbranch_vccnz .LBB75_75
; %bb.70:                               ;   in Loop: Header=BB75_9 Depth=1
	s_mov_b32 s2, 0
	s_andn2_b64 vcc, exec, s[48:49]
	v_mov_b32_e32 v8, 0
	s_cbranch_vccnz .LBB75_76
; %bb.71:                               ;   in Loop: Header=BB75_9 Depth=1
	s_mov_b32 s56, 0
	v_mov_b32_e32 v8, 0
	s_mov_b64 s[30:31], s[34:35]
	s_mov_b64 s[54:55], s[40:41]
	v_mov_b32_e32 v1, v0
.LBB75_72:                              ;   Parent Loop BB75_9 Depth=1
                                        ; =>  This Inner Loop Header: Depth=2
	s_load_dwordx8 s[0:7], s[30:31], 0x4
	s_load_dwordx4 s[16:19], s[30:31], 0x24
	s_load_dwordx4 s[20:23], s[54:55], 0x0
	s_add_u32 s30, s30, 48
	s_addc_u32 s31, s31, 0
	s_waitcnt lgkmcnt(0)
	v_mul_hi_u32 v2, s1, v1
	v_add_u32_e32 v2, v1, v2
	v_lshrrev_b32_e32 v2, s2, v2
	v_mul_lo_u32 v7, v2, s0
	v_mul_hi_u32 v9, s4, v2
	v_sub_u32_e32 v1, v1, v7
	v_add_u32_e32 v7, v2, v9
	v_lshrrev_b32_e32 v7, s5, v7
	v_mul_lo_u32 v9, v7, s3
	v_mul_hi_u32 v10, s7, v7
	v_sub_u32_e32 v2, v2, v9
	v_add_u32_e32 v9, v7, v10
	v_mul_lo_u32 v1, v1, s20
	v_mul_lo_u32 v2, v2, s21
	v_lshrrev_b32_e32 v9, s16, v9
	v_add3_u32 v2, v1, v8, v2
	v_mul_lo_u32 v1, v9, s6
	v_mul_hi_u32 v8, s18, v9
	v_sub_u32_e32 v1, v7, v1
	v_add_u32_e32 v7, v9, v8
	v_mul_lo_u32 v8, v1, s22
	v_lshrrev_b32_e32 v1, s19, v7
	s_add_i32 s56, s56, 4
	v_mul_lo_u32 v7, v1, s17
	s_add_u32 s54, s54, 16
	v_sub_u32_e32 v7, v9, v7
	s_addc_u32 s55, s55, 0
	v_mul_lo_u32 v7, v7, s23
	s_cmp_eq_u32 s65, s56
	v_add3_u32 v8, v8, v2, v7
	s_cbranch_scc0 .LBB75_72
; %bb.73:                               ;   in Loop: Header=BB75_9 Depth=1
	s_mov_b32 s2, s65
	s_andn2_b64 vcc, exec, s[52:53]
	s_cbranch_vccz .LBB75_77
	s_branch .LBB75_79
.LBB75_74:                              ;   in Loop: Header=BB75_9 Depth=1
                                        ; implicit-def: $vgpr8
	s_branch .LBB75_80
.LBB75_75:                              ;   in Loop: Header=BB75_9 Depth=1
	v_mov_b32_e32 v8, 0
	s_branch .LBB75_79
.LBB75_76:                              ;   in Loop: Header=BB75_9 Depth=1
	v_mov_b32_e32 v1, v0
	s_andn2_b64 vcc, exec, s[52:53]
	s_cbranch_vccnz .LBB75_79
.LBB75_77:                              ;   in Loop: Header=BB75_9 Depth=1
	s_lshl_b32 s0, s2, 2
	s_add_u32 s0, s40, s0
	s_addc_u32 s1, s41, 0
	s_mul_i32 s2, s2, 12
	s_add_u32 s2, s34, s2
	s_addc_u32 s3, s35, 0
	s_mov_b32 s4, s64
.LBB75_78:                              ;   Parent Loop BB75_9 Depth=1
                                        ; =>  This Inner Loop Header: Depth=2
	s_load_dwordx2 s[6:7], s[2:3], 0x4
	s_load_dword s5, s[2:3], 0xc
	s_load_dword s16, s[0:1], 0x0
	s_add_u32 s2, s2, 12
	s_addc_u32 s3, s3, 0
	s_waitcnt lgkmcnt(0)
	v_mul_hi_u32 v2, s7, v1
	v_add_u32_e32 v2, v1, v2
	v_lshrrev_b32_e32 v2, s5, v2
	s_add_u32 s0, s0, 4
	v_mul_lo_u32 v7, v2, s6
	s_addc_u32 s1, s1, 0
	s_add_i32 s4, s4, -1
	v_sub_u32_e32 v7, v1, v7
	s_cmp_lg_u32 s4, 0
	v_mov_b32_e32 v1, v2
	v_mad_u64_u32 v[8:9], s[6:7], v7, s16, v[8:9]
	s_cbranch_scc1 .LBB75_78
.LBB75_79:                              ;   in Loop: Header=BB75_9 Depth=1
	s_cbranch_execnz .LBB75_7
.LBB75_80:                              ;   in Loop: Header=BB75_9 Depth=1
	v_mul_hi_u32 v1, v0, s10
	v_add_u32_e32 v1, v1, v0
	v_lshrrev_b32_e32 v1, s11, v1
	v_mul_lo_u32 v2, v1, s9
	v_sub_u32_e32 v0, v0, v2
	s_andn2_b64 vcc, exec, s[42:43]
	s_waitcnt lgkmcnt(0)
	v_mul_lo_u32 v8, v0, s44
	s_cbranch_vccnz .LBB75_7
; %bb.81:                               ;   in Loop: Header=BB75_9 Depth=1
	v_mul_hi_u32 v0, s8, v1
	v_add_u32_e32 v0, v1, v0
	v_lshrrev_b32_e32 v0, s14, v0
	v_mul_lo_u32 v0, v0, s12
	v_sub_u32_e32 v0, v1, v0
	v_mad_u64_u32 v[8:9], s[0:1], v0, s45, v[8:9]
	s_branch .LBB75_7
.LBB75_82:
	s_endpgm
.LBB75_83:
                                        ; implicit-def: $sgpr2_sgpr3
	s_andn2_b64 vcc, exec, s[0:1]
	s_cbranch_vccz .LBB75_4
	s_branch .LBB75_5
	.section	.rodata,"a",@progbits
	.p2align	6, 0x0
	.amdhsa_kernel _ZN2at6native12_GLOBAL__N_143distribution_elementwise_grid_stride_kernelIjLi4EZZZNS0_9templates4cuda13random_kernelIPNS_17CUDAGeneratorImplEEEvRNS_18TensorIteratorBaseET_ENKUlvE_clEvENKUlvE0_clEvEUlP25hiprandStatePhilox4_32_10E0_ZNS1_27distribution_nullary_kernelIaj15HIP_vector_typeIjLj4EES7_SF_ZZZNS5_IS7_EEvS9_SA_ENKSB_clEvENKSC_clEvEUljE_EEvS9_T2_RKT3_T4_EUlijE0_EEvlNS_15PhiloxCudaStateET1_SK_
		.amdhsa_group_segment_fixed_size 0
		.amdhsa_private_segment_fixed_size 0
		.amdhsa_kernarg_size 584
		.amdhsa_user_sgpr_count 6
		.amdhsa_user_sgpr_private_segment_buffer 1
		.amdhsa_user_sgpr_dispatch_ptr 0
		.amdhsa_user_sgpr_queue_ptr 0
		.amdhsa_user_sgpr_kernarg_segment_ptr 1
		.amdhsa_user_sgpr_dispatch_id 0
		.amdhsa_user_sgpr_flat_scratch_init 0
		.amdhsa_user_sgpr_kernarg_preload_length 0
		.amdhsa_user_sgpr_kernarg_preload_offset 0
		.amdhsa_user_sgpr_private_segment_size 0
		.amdhsa_uses_dynamic_stack 0
		.amdhsa_system_sgpr_private_segment_wavefront_offset 0
		.amdhsa_system_sgpr_workgroup_id_x 1
		.amdhsa_system_sgpr_workgroup_id_y 0
		.amdhsa_system_sgpr_workgroup_id_z 0
		.amdhsa_system_sgpr_workgroup_info 0
		.amdhsa_system_vgpr_workitem_id 0
		.amdhsa_next_free_vgpr 41
		.amdhsa_next_free_sgpr 67
		.amdhsa_accum_offset 44
		.amdhsa_reserve_vcc 1
		.amdhsa_reserve_flat_scratch 0
		.amdhsa_float_round_mode_32 0
		.amdhsa_float_round_mode_16_64 0
		.amdhsa_float_denorm_mode_32 3
		.amdhsa_float_denorm_mode_16_64 3
		.amdhsa_dx10_clamp 1
		.amdhsa_ieee_mode 1
		.amdhsa_fp16_overflow 0
		.amdhsa_tg_split 0
		.amdhsa_exception_fp_ieee_invalid_op 0
		.amdhsa_exception_fp_denorm_src 0
		.amdhsa_exception_fp_ieee_div_zero 0
		.amdhsa_exception_fp_ieee_overflow 0
		.amdhsa_exception_fp_ieee_underflow 0
		.amdhsa_exception_fp_ieee_inexact 0
		.amdhsa_exception_int_div_zero 0
	.end_amdhsa_kernel
	.section	.text._ZN2at6native12_GLOBAL__N_143distribution_elementwise_grid_stride_kernelIjLi4EZZZNS0_9templates4cuda13random_kernelIPNS_17CUDAGeneratorImplEEEvRNS_18TensorIteratorBaseET_ENKUlvE_clEvENKUlvE0_clEvEUlP25hiprandStatePhilox4_32_10E0_ZNS1_27distribution_nullary_kernelIaj15HIP_vector_typeIjLj4EES7_SF_ZZZNS5_IS7_EEvS9_SA_ENKSB_clEvENKSC_clEvEUljE_EEvS9_T2_RKT3_T4_EUlijE0_EEvlNS_15PhiloxCudaStateET1_SK_,"axG",@progbits,_ZN2at6native12_GLOBAL__N_143distribution_elementwise_grid_stride_kernelIjLi4EZZZNS0_9templates4cuda13random_kernelIPNS_17CUDAGeneratorImplEEEvRNS_18TensorIteratorBaseET_ENKUlvE_clEvENKUlvE0_clEvEUlP25hiprandStatePhilox4_32_10E0_ZNS1_27distribution_nullary_kernelIaj15HIP_vector_typeIjLj4EES7_SF_ZZZNS5_IS7_EEvS9_SA_ENKSB_clEvENKSC_clEvEUljE_EEvS9_T2_RKT3_T4_EUlijE0_EEvlNS_15PhiloxCudaStateET1_SK_,comdat
.Lfunc_end75:
	.size	_ZN2at6native12_GLOBAL__N_143distribution_elementwise_grid_stride_kernelIjLi4EZZZNS0_9templates4cuda13random_kernelIPNS_17CUDAGeneratorImplEEEvRNS_18TensorIteratorBaseET_ENKUlvE_clEvENKUlvE0_clEvEUlP25hiprandStatePhilox4_32_10E0_ZNS1_27distribution_nullary_kernelIaj15HIP_vector_typeIjLj4EES7_SF_ZZZNS5_IS7_EEvS9_SA_ENKSB_clEvENKSC_clEvEUljE_EEvS9_T2_RKT3_T4_EUlijE0_EEvlNS_15PhiloxCudaStateET1_SK_, .Lfunc_end75-_ZN2at6native12_GLOBAL__N_143distribution_elementwise_grid_stride_kernelIjLi4EZZZNS0_9templates4cuda13random_kernelIPNS_17CUDAGeneratorImplEEEvRNS_18TensorIteratorBaseET_ENKUlvE_clEvENKUlvE0_clEvEUlP25hiprandStatePhilox4_32_10E0_ZNS1_27distribution_nullary_kernelIaj15HIP_vector_typeIjLj4EES7_SF_ZZZNS5_IS7_EEvS9_SA_ENKSB_clEvENKSC_clEvEUljE_EEvS9_T2_RKT3_T4_EUlijE0_EEvlNS_15PhiloxCudaStateET1_SK_
                                        ; -- End function
	.section	.AMDGPU.csdata,"",@progbits
; Kernel info:
; codeLenInByte = 4364
; NumSgprs: 71
; NumVgprs: 41
; NumAgprs: 0
; TotalNumVgprs: 41
; ScratchSize: 0
; MemoryBound: 0
; FloatMode: 240
; IeeeMode: 1
; LDSByteSize: 0 bytes/workgroup (compile time only)
; SGPRBlocks: 8
; VGPRBlocks: 5
; NumSGPRsForWavesPerEU: 71
; NumVGPRsForWavesPerEU: 41
; AccumOffset: 44
; Occupancy: 8
; WaveLimiterHint : 1
; COMPUTE_PGM_RSRC2:SCRATCH_EN: 0
; COMPUTE_PGM_RSRC2:USER_SGPR: 6
; COMPUTE_PGM_RSRC2:TRAP_HANDLER: 0
; COMPUTE_PGM_RSRC2:TGID_X_EN: 1
; COMPUTE_PGM_RSRC2:TGID_Y_EN: 0
; COMPUTE_PGM_RSRC2:TGID_Z_EN: 0
; COMPUTE_PGM_RSRC2:TIDIG_COMP_CNT: 0
; COMPUTE_PGM_RSRC3_GFX90A:ACCUM_OFFSET: 10
; COMPUTE_PGM_RSRC3_GFX90A:TG_SPLIT: 0
	.section	.text._ZN2at6native12_GLOBAL__N_143distribution_elementwise_grid_stride_kernelImLi2EZZZNS0_9templates4cuda13random_kernelIPNS_17CUDAGeneratorImplEEEvRNS_18TensorIteratorBaseET_ENKUlvE_clEvENKUlvE1_clEvEUlP25hiprandStatePhilox4_32_10E_ZNS1_27distribution_nullary_kernelIim15HIP_vector_typeIyLj2EES7_SF_ZZZNS5_IS7_EEvS9_SA_ENKSB_clEvENKSC_clEvEUlmE_EEvS9_T2_RKT3_T4_EUlimE_EEvlNS_15PhiloxCudaStateET1_SK_,"axG",@progbits,_ZN2at6native12_GLOBAL__N_143distribution_elementwise_grid_stride_kernelImLi2EZZZNS0_9templates4cuda13random_kernelIPNS_17CUDAGeneratorImplEEEvRNS_18TensorIteratorBaseET_ENKUlvE_clEvENKUlvE1_clEvEUlP25hiprandStatePhilox4_32_10E_ZNS1_27distribution_nullary_kernelIim15HIP_vector_typeIyLj2EES7_SF_ZZZNS5_IS7_EEvS9_SA_ENKSB_clEvENKSC_clEvEUlmE_EEvS9_T2_RKT3_T4_EUlimE_EEvlNS_15PhiloxCudaStateET1_SK_,comdat
	.globl	_ZN2at6native12_GLOBAL__N_143distribution_elementwise_grid_stride_kernelImLi2EZZZNS0_9templates4cuda13random_kernelIPNS_17CUDAGeneratorImplEEEvRNS_18TensorIteratorBaseET_ENKUlvE_clEvENKUlvE1_clEvEUlP25hiprandStatePhilox4_32_10E_ZNS1_27distribution_nullary_kernelIim15HIP_vector_typeIyLj2EES7_SF_ZZZNS5_IS7_EEvS9_SA_ENKSB_clEvENKSC_clEvEUlmE_EEvS9_T2_RKT3_T4_EUlimE_EEvlNS_15PhiloxCudaStateET1_SK_ ; -- Begin function _ZN2at6native12_GLOBAL__N_143distribution_elementwise_grid_stride_kernelImLi2EZZZNS0_9templates4cuda13random_kernelIPNS_17CUDAGeneratorImplEEEvRNS_18TensorIteratorBaseET_ENKUlvE_clEvENKUlvE1_clEvEUlP25hiprandStatePhilox4_32_10E_ZNS1_27distribution_nullary_kernelIim15HIP_vector_typeIyLj2EES7_SF_ZZZNS5_IS7_EEvS9_SA_ENKSB_clEvENKSC_clEvEUlmE_EEvS9_T2_RKT3_T4_EUlimE_EEvlNS_15PhiloxCudaStateET1_SK_
	.p2align	8
	.type	_ZN2at6native12_GLOBAL__N_143distribution_elementwise_grid_stride_kernelImLi2EZZZNS0_9templates4cuda13random_kernelIPNS_17CUDAGeneratorImplEEEvRNS_18TensorIteratorBaseET_ENKUlvE_clEvENKUlvE1_clEvEUlP25hiprandStatePhilox4_32_10E_ZNS1_27distribution_nullary_kernelIim15HIP_vector_typeIyLj2EES7_SF_ZZZNS5_IS7_EEvS9_SA_ENKSB_clEvENKSC_clEvEUlmE_EEvS9_T2_RKT3_T4_EUlimE_EEvlNS_15PhiloxCudaStateET1_SK_,@function
_ZN2at6native12_GLOBAL__N_143distribution_elementwise_grid_stride_kernelImLi2EZZZNS0_9templates4cuda13random_kernelIPNS_17CUDAGeneratorImplEEEvRNS_18TensorIteratorBaseET_ENKUlvE_clEvENKUlvE1_clEvEUlP25hiprandStatePhilox4_32_10E_ZNS1_27distribution_nullary_kernelIim15HIP_vector_typeIyLj2EES7_SF_ZZZNS5_IS7_EEvS9_SA_ENKSB_clEvENKSC_clEvEUlmE_EEvS9_T2_RKT3_T4_EUlimE_EEvlNS_15PhiloxCudaStateET1_SK_: ; @_ZN2at6native12_GLOBAL__N_143distribution_elementwise_grid_stride_kernelImLi2EZZZNS0_9templates4cuda13random_kernelIPNS_17CUDAGeneratorImplEEEvRNS_18TensorIteratorBaseET_ENKUlvE_clEvENKUlvE1_clEvEUlP25hiprandStatePhilox4_32_10E_ZNS1_27distribution_nullary_kernelIim15HIP_vector_typeIyLj2EES7_SF_ZZZNS5_IS7_EEvS9_SA_ENKSB_clEvENKSC_clEvEUlmE_EEvS9_T2_RKT3_T4_EUlimE_EEvlNS_15PhiloxCudaStateET1_SK_
; %bb.0:
	s_load_dword s7, s[4:5], 0x20
	s_load_dwordx2 s[10:11], s[4:5], 0x10
	s_load_dwordx4 s[0:3], s[4:5], 0x0
	s_mov_b32 s8, 0
	s_waitcnt lgkmcnt(0)
	s_bitcmp0_b32 s7, 0
	v_pk_mov_b32 v[2:3], s[10:11], s[10:11] op_sel:[0,1]
	v_pk_mov_b32 v[12:13], s[2:3], s[2:3] op_sel:[0,1]
	s_cbranch_scc1 .LBB76_2
; %bb.1:
	v_pk_mov_b32 v[2:3], s[10:11], s[10:11] op_sel:[0,1]
	flat_load_dwordx2 v[2:3], v[2:3]
	v_pk_mov_b32 v[4:5], s[2:3], s[2:3] op_sel:[0,1]
	flat_load_dwordx2 v[12:13], v[4:5]
	s_load_dwordx2 s[2:3], s[4:5], 0x18
	s_waitcnt lgkmcnt(0)
	v_mov_b32_e32 v1, s3
	s_waitcnt vmcnt(0)
	v_add_co_u32_e32 v2, vcc, s2, v2
	v_addc_co_u32_e32 v3, vcc, v3, v1, vcc
.LBB76_2:
	s_load_dword s2, s[4:5], 0x4c
	s_load_dword s10, s[4:5], 0x40
	s_waitcnt lgkmcnt(0)
	s_and_b32 s7, s2, 0xffff
	s_add_u32 s11, s0, -1
	s_mul_i32 s12, s10, s7
	s_addc_u32 s9, s1, -1
	s_lshl_b32 s13, s12, 1
	s_cmp_lg_u64 s[8:9], 0
	s_mov_b64 s[2:3], -1
	s_cbranch_scc0 .LBB76_23
; %bb.3:
	v_cvt_f32_u32_e32 v1, s13
	v_cvt_f32_ubyte0_e32 v4, 0
	s_sub_u32 s8, 0, s13
	s_subb_u32 s14, 0, 0
	v_madmk_f32 v1, v4, 0x4f800000, v1
	v_rcp_f32_e32 v1, v1
	v_mul_f32_e32 v1, 0x5f7ffffc, v1
	v_mul_f32_e32 v4, 0x2f800000, v1
	v_trunc_f32_e32 v4, v4
	v_madmk_f32 v1, v4, 0xcf800000, v1
	v_cvt_u32_f32_e32 v4, v4
	v_cvt_u32_f32_e32 v1, v1
	v_readfirstlane_b32 s15, v4
	v_readfirstlane_b32 s16, v1
	s_mul_i32 s17, s8, s15
	s_mul_hi_u32 s19, s8, s16
	s_mul_i32 s18, s14, s16
	s_add_i32 s17, s19, s17
	s_add_i32 s17, s17, s18
	s_mul_i32 s20, s8, s16
	s_mul_hi_u32 s18, s16, s17
	s_mul_i32 s19, s16, s17
	s_mul_hi_u32 s16, s16, s20
	s_add_u32 s16, s16, s19
	s_addc_u32 s18, 0, s18
	s_mul_hi_u32 s21, s15, s20
	s_mul_i32 s20, s15, s20
	s_add_u32 s16, s16, s20
	s_mul_hi_u32 s19, s15, s17
	s_addc_u32 s16, s18, s21
	s_addc_u32 s18, s19, 0
	s_mul_i32 s17, s15, s17
	s_add_u32 s16, s16, s17
	s_addc_u32 s17, 0, s18
	v_add_co_u32_e32 v1, vcc, s16, v1
	s_cmp_lg_u64 vcc, 0
	s_addc_u32 s15, s15, s17
	v_readfirstlane_b32 s17, v1
	s_mul_i32 s16, s8, s15
	s_mul_hi_u32 s18, s8, s17
	s_add_i32 s16, s18, s16
	s_mul_i32 s14, s14, s17
	s_add_i32 s16, s16, s14
	s_mul_i32 s8, s8, s17
	s_mul_hi_u32 s18, s15, s8
	s_mul_i32 s19, s15, s8
	s_mul_i32 s21, s17, s16
	s_mul_hi_u32 s8, s17, s8
	s_mul_hi_u32 s20, s17, s16
	s_add_u32 s8, s8, s21
	s_addc_u32 s17, 0, s20
	s_add_u32 s8, s8, s19
	s_mul_hi_u32 s14, s15, s16
	s_addc_u32 s8, s17, s18
	s_addc_u32 s14, s14, 0
	s_mul_i32 s16, s15, s16
	s_add_u32 s8, s8, s16
	s_addc_u32 s14, 0, s14
	v_add_co_u32_e32 v1, vcc, s8, v1
	s_cmp_lg_u64 vcc, 0
	s_addc_u32 s16, s15, s14
	s_ashr_i32 s14, s9, 31
	s_add_u32 s8, s11, s14
	s_mov_b32 s15, s14
	s_addc_u32 s9, s9, s14
	s_xor_b64 s[8:9], s[8:9], s[14:15]
	v_readfirstlane_b32 s19, v1
	s_mul_i32 s18, s8, s16
	s_mul_hi_u32 s20, s8, s19
	s_mul_hi_u32 s17, s8, s16
	s_add_u32 s18, s20, s18
	s_addc_u32 s17, 0, s17
	s_mul_hi_u32 s21, s9, s19
	s_mul_i32 s19, s9, s19
	s_add_u32 s18, s18, s19
	s_mul_hi_u32 s20, s9, s16
	s_addc_u32 s17, s17, s21
	s_addc_u32 s18, s20, 0
	s_mul_i32 s16, s9, s16
	s_add_u32 s16, s17, s16
	s_addc_u32 s17, 0, s18
	s_add_u32 s18, s16, 1
	s_addc_u32 s19, s17, 0
	s_add_u32 s20, s16, 2
	s_mul_i32 s22, s13, s17
	s_mul_hi_u32 s23, s13, s16
	s_addc_u32 s21, s17, 0
	s_add_i32 s23, s23, s22
	s_mul_i32 s22, s13, s16
	v_mov_b32_e32 v1, s22
	v_sub_co_u32_e32 v1, vcc, s8, v1
	s_cmp_lg_u64 vcc, 0
	s_subb_u32 s8, s9, s23
	v_subrev_co_u32_e32 v4, vcc, s13, v1
	s_cmp_lg_u64 vcc, 0
	s_subb_u32 s9, s8, 0
	v_readfirstlane_b32 s22, v4
	s_cmp_ge_u32 s22, s13
	s_cselect_b32 s22, -1, 0
	s_cmp_eq_u32 s9, 0
	s_cselect_b32 s9, s22, -1
	s_cmp_lg_u32 s9, 0
	s_cselect_b32 s9, s21, s19
	v_readfirstlane_b32 s19, v1
	s_cselect_b32 s18, s20, s18
	s_cmp_ge_u32 s19, s13
	s_cselect_b32 s19, -1, 0
	s_cmp_eq_u32 s8, 0
	s_cselect_b32 s8, s19, -1
	s_cmp_lg_u32 s8, 0
	s_cselect_b32 s9, s9, s17
	s_cselect_b32 s8, s18, s16
	s_xor_b64 s[8:9], s[8:9], s[14:15]
	s_sub_u32 s8, s8, s14
	s_subb_u32 s9, s9, s14
	s_cbranch_execnz .LBB76_5
.LBB76_4:
	v_cvt_f32_u32_e32 v1, s13
	s_sub_i32 s2, 0, s13
	s_mov_b32 s9, 0
	v_rcp_iflag_f32_e32 v1, v1
	v_mul_f32_e32 v1, 0x4f7ffffe, v1
	v_cvt_u32_f32_e32 v1, v1
	v_readfirstlane_b32 s3, v1
	s_mul_i32 s2, s2, s3
	s_mul_hi_u32 s2, s3, s2
	s_add_i32 s3, s3, s2
	s_mul_hi_u32 s2, s11, s3
	s_mul_i32 s8, s2, s13
	s_sub_i32 s8, s11, s8
	s_add_i32 s3, s2, 1
	s_sub_i32 s11, s8, s13
	s_cmp_ge_u32 s8, s13
	s_cselect_b32 s2, s3, s2
	s_cselect_b32 s8, s11, s8
	s_add_i32 s3, s2, 1
	s_cmp_ge_u32 s8, s13
	s_cselect_b32 s8, s3, s2
.LBB76_5:
	v_mov_b32_e32 v1, 0
	v_mov_b32_e32 v4, s6
	v_mad_u64_u32 v[14:15], s[2:3], s7, v4, v[0:1]
	s_add_u32 s2, s8, 1
	s_addc_u32 s3, s9, 0
	s_mul_hi_u32 s8, s10, s7
	s_mul_i32 s3, s12, s3
	s_mul_hi_u32 s9, s12, s2
	s_add_i32 s3, s9, s3
	s_mul_i32 s8, s8, s2
	s_add_i32 s3, s3, s8
	s_mul_i32 s2, s12, s2
	s_lshl_b64 s[2:3], s[2:3], 1
	v_cmp_gt_i64_e32 vcc, s[2:3], v[14:15]
	s_and_saveexec_b64 s[8:9], vcc
	s_cbranch_execz .LBB76_22
; %bb.6:
	s_load_dwordx2 s[8:9], s[4:5], 0x30
	s_load_dword s11, s[4:5], 0x38
	s_mov_b32 s4, 0x5384540f
	v_mov_b32_e32 v4, v13
	v_add_co_u32_e32 v20, vcc, s4, v12
	s_mov_b32 s4, 0x646e171e
	v_add_co_u32_e32 v21, vcc, s4, v4
	s_mov_b32 s4, 0x1715609d
	;; [unrolled: 2-line block ×6, first 2 shown]
	v_alignbit_b32 v27, v3, v2, 2
	s_mov_b32 s15, 0xd2511f53
	v_add_co_u32_e32 v26, vcc, s4, v12
	v_mad_u64_u32 v[6:7], s[4:5], v27, s15, 0
	v_xor_b32_e32 v1, v7, v13
	v_xor_b32_e32 v1, v1, v15
	s_mov_b32 s16, 0xcd9e8d57
	v_mad_u64_u32 v[8:9], s[4:5], v1, s16, 0
	v_xor_b32_e32 v1, v26, v9
	v_mad_u64_u32 v[10:11], s[4:5], v14, s16, 0
	v_and_b32_e32 v16, 3, v2
	v_xor_b32_e32 v1, v1, v10
	v_xor_b32_e32 v2, v12, v11
	v_lshrrev_b32_e32 v28, 2, v3
	v_mad_u64_u32 v[32:33], s[4:5], v1, s15, 0
	v_xor_b32_e32 v2, v2, v28
	v_xor_b32_e32 v1, v25, v33
	v_mad_u64_u32 v[2:3], s[4:5], v2, s15, 0
	v_xor_b32_e32 v1, v1, v2
	v_mad_u64_u32 v[10:11], s[4:5], v1, s16, 0
	s_mov_b32 s4, 0xbb67ae85
	v_add_co_u32_e32 v29, vcc, s4, v4
	v_xor_b32_e32 v2, v29, v3
	v_xor_b32_e32 v2, v2, v6
	v_xor_b32_e32 v1, v24, v11
	v_mad_u64_u32 v[2:3], s[4:5], v2, s16, 0
	v_xor_b32_e32 v1, v1, v2
	v_mad_u64_u32 v[6:7], s[4:5], v1, s15, 0
	s_mov_b32 s4, 0x3c6ef372
	v_add_co_u32_e32 v30, vcc, s4, v12
	v_xor_b32_e32 v2, v30, v3
	v_xor_b32_e32 v2, v2, v8
	v_xor_b32_e32 v1, v23, v7
	v_mad_u64_u32 v[2:3], s[4:5], v2, s15, 0
	v_xor_b32_e32 v1, v1, v2
	v_mad_u64_u32 v[8:9], s[4:5], v1, s16, 0
	s_mov_b32 s4, 0x32370b8f
	v_add_co_u32_e32 v31, vcc, s4, v4
	v_xor_b32_e32 v2, v31, v3
	v_xor_b32_e32 v2, v2, v32
	v_xor_b32_e32 v1, v22, v9
	v_mad_u64_u32 v[2:3], s[4:5], v2, s16, 0
	v_xor_b32_e32 v1, v1, v2
	v_mad_u64_u32 v[36:37], s[4:5], v1, s15, 0
	s_mov_b32 s4, 0x78dde6e4
	v_add_co_u32_e32 v32, vcc, s4, v12
	v_xor_b32_e32 v2, v32, v3
	v_xor_b32_e32 v2, v2, v10
	v_xor_b32_e32 v1, v21, v37
	v_mad_u64_u32 v[2:3], s[4:5], v2, s15, 0
	v_xor_b32_e32 v1, v1, v2
	v_mad_u64_u32 v[10:11], s[4:5], v1, s16, 0
	s_mov_b32 s4, 0xa9066899
	v_add_co_u32_e32 v33, vcc, s4, v4
	v_xor_b32_e32 v2, v33, v3
	v_xor_b32_e32 v2, v2, v6
	v_xor_b32_e32 v1, v20, v11
	v_mad_u64_u32 v[2:3], s[4:5], v2, s16, 0
	v_xor_b32_e32 v1, v1, v2
	v_mad_u64_u32 v[6:7], s[4:5], v1, s15, 0
	s_mov_b32 s4, 0xb54cda56
	v_add_co_u32_e32 v34, vcc, s4, v12
	v_xor_b32_e32 v2, v34, v3
	v_add_co_u32_e32 v19, vcc, 0xdb3d7428, v4
	v_xor_b32_e32 v2, v2, v8
	v_xor_b32_e32 v1, v19, v7
	v_mad_u64_u32 v[2:3], s[4:5], v2, s15, 0
	v_xor_b32_e32 v1, v1, v2
	v_mad_u64_u32 v[8:9], s[4:5], v1, s16, 0
	s_mov_b32 s4, 0x1fd5c5a3
	v_add_co_u32_e32 v35, vcc, s4, v4
	v_xor_b32_e32 v1, v35, v3
	v_xor_b32_e32 v1, v1, v36
	v_mad_u64_u32 v[2:3], s[4:5], v1, s16, 0
	s_mov_b32 s4, 0xf1bbcdc8
	v_add_co_u32_e32 v36, vcc, s4, v12
	v_xor_b32_e32 v1, v36, v3
	v_xor_b32_e32 v1, v1, v10
	v_mad_u64_u32 v[4:5], s[4:5], v1, s15, 0
	s_mul_i32 s4, s6, s7
	v_mov_b32_e32 v3, v4
	v_add_u32_e32 v4, s4, v0
	s_waitcnt lgkmcnt(0)
	s_mul_i32 s4, s10, s11
	s_mul_i32 s4, s4, s7
	s_lshl_b32 s17, s4, 1
	s_add_i32 s4, s6, s10
	s_mul_i32 s4, s4, s7
	s_mov_b32 s14, 0
	v_add_u32_e32 v18, 0x96a522ad, v13
	v_xor_b32_e32 v1, v5, v6
	v_add_u32_e32 v0, s4, v0
	v_add_u32_e32 v17, 0x8ff34781, v12
	v_xor_b32_e32 v2, v18, v1
	v_mov_b32_e32 v1, v8
	v_mul_lo_u32 v37, s11, v4
	v_mul_lo_u32 v38, s11, v0
	s_mov_b64 s[4:5], 0
	s_mov_b32 s18, s14
	v_mov_b32_e32 v39, v14
	v_mov_b32_e32 v40, v15
	s_branch .LBB76_8
.LBB76_7:                               ;   in Loop: Header=BB76_8 Depth=1
	s_or_b64 exec, exec, s[6:7]
	v_add_co_u32_e32 v14, vcc, s13, v14
	v_addc_co_u32_e32 v15, vcc, 0, v15, vcc
	v_mov_b32_e32 v7, v4
	s_add_i32 s18, s18, s17
	v_cmp_le_i64_e32 vcc, s[2:3], v[14:15]
	v_pk_mov_b32 v[0:1], v[4:5], v[4:5] op_sel:[0,1]
	s_or_b64 s[4:5], vcc, s[4:5]
	v_pk_mov_b32 v[2:3], v[6:7], v[6:7] op_sel:[0,1]
	s_barrier
	s_andn2_b64 exec, exec, s[4:5]
	s_cbranch_execz .LBB76_22
.LBB76_8:                               ; =>This Inner Loop Header: Depth=1
	v_add_co_u32_e32 v27, vcc, 1, v27
	v_cndmask_b32_e64 v0, 0, 1, vcc
	v_addc_co_u32_e32 v28, vcc, 0, v28, vcc
	v_cmp_eq_u32_e32 vcc, 0, v28
	v_cndmask_b32_e32 v0, 0, v0, vcc
	v_add_u32_e32 v39, v0, v39
	v_cmp_eq_u32_e32 vcc, 0, v39
	v_cndmask_b32_e32 v0, 0, v0, vcc
	v_mad_u64_u32 v[4:5], s[6:7], v27, s15, 0
	v_add_u32_e32 v40, v0, v40
	v_mad_u64_u32 v[6:7], s[6:7], v39, s16, 0
	v_xor_b32_e32 v5, v5, v13
	v_xor_b32_e32 v0, v7, v12
	v_xor_b32_e32 v5, v40, v5
	v_xor_b32_e32 v0, v28, v0
	v_mad_u64_u32 v[10:11], s[6:7], v5, s16, 0
	v_mad_u64_u32 v[8:9], s[6:7], v0, s15, 0
	v_xor_b32_e32 v0, v26, v11
	v_xor_b32_e32 v0, v0, v6
	v_xor_b32_e32 v5, v29, v9
	v_xor_b32_e32 v6, v5, v4
	v_mad_u64_u32 v[4:5], s[6:7], v0, s15, 0
	;; [unrolled: 6-line block ×9, first 2 shown]
	v_mad_u64_u32 v[4:5], s[6:7], v0, s15, 0
	v_xor_b32_e32 v0, v11, v42
	v_xor_b32_e32 v8, v17, v0
	;; [unrolled: 1-line block ×4, first 2 shown]
	v_mov_b32_e32 v5, v10
	v_mov_b32_e32 v6, v9
	v_cmp_lt_i32_e32 vcc, 1, v16
	s_and_saveexec_b64 s[6:7], vcc
	s_xor_b64 s[6:7], exec, s[6:7]
	s_cbranch_execnz .LBB76_14
; %bb.9:                                ;   in Loop: Header=BB76_8 Depth=1
	s_andn2_saveexec_b64 s[6:7], s[6:7]
	s_cbranch_execnz .LBB76_19
.LBB76_10:                              ;   in Loop: Header=BB76_8 Depth=1
	s_or_b64 exec, exec, s[6:7]
	v_cmp_gt_i64_e32 vcc, s[0:1], v[14:15]
	s_and_saveexec_b64 s[6:7], vcc
	s_cbranch_execz .LBB76_12
.LBB76_11:                              ;   in Loop: Header=BB76_8 Depth=1
	v_add_u32_e32 v0, s18, v37
	v_ashrrev_i32_e32 v2, 31, v0
	v_mov_b32_e32 v7, s9
	v_add_co_u32_e32 v8, vcc, s8, v0
	v_addc_co_u32_e32 v9, vcc, v7, v2, vcc
	v_and_b32_e32 v0, 0x7fffffff, v1
	global_store_dword v[8:9], v0, off
.LBB76_12:                              ;   in Loop: Header=BB76_8 Depth=1
	s_or_b64 exec, exec, s[6:7]
	v_mov_b32_e32 v1, s14
	v_add_co_u32_e32 v0, vcc, s12, v14
	v_addc_co_u32_e32 v1, vcc, v1, v15, vcc
	v_cmp_gt_i64_e32 vcc, s[0:1], v[0:1]
	s_and_saveexec_b64 s[6:7], vcc
	s_cbranch_execz .LBB76_7
; %bb.13:                               ;   in Loop: Header=BB76_8 Depth=1
	v_add_u32_e32 v0, s18, v38
	v_ashrrev_i32_e32 v1, 31, v0
	v_mov_b32_e32 v2, s9
	v_add_co_u32_e32 v0, vcc, s8, v0
	v_addc_co_u32_e32 v1, vcc, v2, v1, vcc
	v_and_b32_e32 v2, 0x7fffffff, v3
	global_store_dword v[0:1], v2, off
	s_branch .LBB76_7
.LBB76_14:                              ;   in Loop: Header=BB76_8 Depth=1
	v_cmp_lt_i32_e32 vcc, 2, v16
	s_and_saveexec_b64 s[10:11], vcc
	s_xor_b64 s[10:11], exec, s[10:11]
; %bb.15:                               ;   in Loop: Header=BB76_8 Depth=1
	v_mov_b32_e32 v7, v8
	v_pk_mov_b32 v[0:1], v[6:7], v[6:7] op_sel:[0,1]
	v_pk_mov_b32 v[2:3], v[8:9], v[8:9] op_sel:[0,1]
                                        ; implicit-def: $vgpr10_vgpr11
; %bb.16:                               ;   in Loop: Header=BB76_8 Depth=1
	s_andn2_saveexec_b64 s[10:11], s[10:11]
; %bb.17:                               ;   in Loop: Header=BB76_8 Depth=1
	v_mov_b32_e32 v1, v3
	v_mov_b32_e32 v3, v10
; %bb.18:                               ;   in Loop: Header=BB76_8 Depth=1
	s_or_b64 exec, exec, s[10:11]
                                        ; implicit-def: $vgpr8_vgpr9_vgpr10_vgpr11
	s_andn2_saveexec_b64 s[6:7], s[6:7]
	s_cbranch_execz .LBB76_10
.LBB76_19:                              ;   in Loop: Header=BB76_8 Depth=1
	v_cmp_eq_u32_e32 vcc, 1, v16
	s_and_saveexec_b64 s[10:11], vcc
; %bb.20:                               ;   in Loop: Header=BB76_8 Depth=1
	v_mov_b32_e32 v1, v2
	v_mov_b32_e32 v3, v8
; %bb.21:                               ;   in Loop: Header=BB76_8 Depth=1
	s_or_b64 exec, exec, s[10:11]
	s_or_b64 exec, exec, s[6:7]
	v_cmp_gt_i64_e32 vcc, s[0:1], v[14:15]
	s_and_saveexec_b64 s[6:7], vcc
	s_cbranch_execnz .LBB76_11
	s_branch .LBB76_12
.LBB76_22:
	s_endpgm
.LBB76_23:
                                        ; implicit-def: $sgpr8_sgpr9
	s_andn2_b64 vcc, exec, s[2:3]
	s_cbranch_vccz .LBB76_4
	s_branch .LBB76_5
	.section	.rodata,"a",@progbits
	.p2align	6, 0x0
	.amdhsa_kernel _ZN2at6native12_GLOBAL__N_143distribution_elementwise_grid_stride_kernelImLi2EZZZNS0_9templates4cuda13random_kernelIPNS_17CUDAGeneratorImplEEEvRNS_18TensorIteratorBaseET_ENKUlvE_clEvENKUlvE1_clEvEUlP25hiprandStatePhilox4_32_10E_ZNS1_27distribution_nullary_kernelIim15HIP_vector_typeIyLj2EES7_SF_ZZZNS5_IS7_EEvS9_SA_ENKSB_clEvENKSC_clEvEUlmE_EEvS9_T2_RKT3_T4_EUlimE_EEvlNS_15PhiloxCudaStateET1_SK_
		.amdhsa_group_segment_fixed_size 0
		.amdhsa_private_segment_fixed_size 0
		.amdhsa_kernarg_size 320
		.amdhsa_user_sgpr_count 6
		.amdhsa_user_sgpr_private_segment_buffer 1
		.amdhsa_user_sgpr_dispatch_ptr 0
		.amdhsa_user_sgpr_queue_ptr 0
		.amdhsa_user_sgpr_kernarg_segment_ptr 1
		.amdhsa_user_sgpr_dispatch_id 0
		.amdhsa_user_sgpr_flat_scratch_init 0
		.amdhsa_user_sgpr_kernarg_preload_length 0
		.amdhsa_user_sgpr_kernarg_preload_offset 0
		.amdhsa_user_sgpr_private_segment_size 0
		.amdhsa_uses_dynamic_stack 0
		.amdhsa_system_sgpr_private_segment_wavefront_offset 0
		.amdhsa_system_sgpr_workgroup_id_x 1
		.amdhsa_system_sgpr_workgroup_id_y 0
		.amdhsa_system_sgpr_workgroup_id_z 0
		.amdhsa_system_sgpr_workgroup_info 0
		.amdhsa_system_vgpr_workitem_id 0
		.amdhsa_next_free_vgpr 44
		.amdhsa_next_free_sgpr 24
		.amdhsa_accum_offset 44
		.amdhsa_reserve_vcc 1
		.amdhsa_reserve_flat_scratch 0
		.amdhsa_float_round_mode_32 0
		.amdhsa_float_round_mode_16_64 0
		.amdhsa_float_denorm_mode_32 3
		.amdhsa_float_denorm_mode_16_64 3
		.amdhsa_dx10_clamp 1
		.amdhsa_ieee_mode 1
		.amdhsa_fp16_overflow 0
		.amdhsa_tg_split 0
		.amdhsa_exception_fp_ieee_invalid_op 0
		.amdhsa_exception_fp_denorm_src 0
		.amdhsa_exception_fp_ieee_div_zero 0
		.amdhsa_exception_fp_ieee_overflow 0
		.amdhsa_exception_fp_ieee_underflow 0
		.amdhsa_exception_fp_ieee_inexact 0
		.amdhsa_exception_int_div_zero 0
	.end_amdhsa_kernel
	.section	.text._ZN2at6native12_GLOBAL__N_143distribution_elementwise_grid_stride_kernelImLi2EZZZNS0_9templates4cuda13random_kernelIPNS_17CUDAGeneratorImplEEEvRNS_18TensorIteratorBaseET_ENKUlvE_clEvENKUlvE1_clEvEUlP25hiprandStatePhilox4_32_10E_ZNS1_27distribution_nullary_kernelIim15HIP_vector_typeIyLj2EES7_SF_ZZZNS5_IS7_EEvS9_SA_ENKSB_clEvENKSC_clEvEUlmE_EEvS9_T2_RKT3_T4_EUlimE_EEvlNS_15PhiloxCudaStateET1_SK_,"axG",@progbits,_ZN2at6native12_GLOBAL__N_143distribution_elementwise_grid_stride_kernelImLi2EZZZNS0_9templates4cuda13random_kernelIPNS_17CUDAGeneratorImplEEEvRNS_18TensorIteratorBaseET_ENKUlvE_clEvENKUlvE1_clEvEUlP25hiprandStatePhilox4_32_10E_ZNS1_27distribution_nullary_kernelIim15HIP_vector_typeIyLj2EES7_SF_ZZZNS5_IS7_EEvS9_SA_ENKSB_clEvENKSC_clEvEUlmE_EEvS9_T2_RKT3_T4_EUlimE_EEvlNS_15PhiloxCudaStateET1_SK_,comdat
.Lfunc_end76:
	.size	_ZN2at6native12_GLOBAL__N_143distribution_elementwise_grid_stride_kernelImLi2EZZZNS0_9templates4cuda13random_kernelIPNS_17CUDAGeneratorImplEEEvRNS_18TensorIteratorBaseET_ENKUlvE_clEvENKUlvE1_clEvEUlP25hiprandStatePhilox4_32_10E_ZNS1_27distribution_nullary_kernelIim15HIP_vector_typeIyLj2EES7_SF_ZZZNS5_IS7_EEvS9_SA_ENKSB_clEvENKSC_clEvEUlmE_EEvS9_T2_RKT3_T4_EUlimE_EEvlNS_15PhiloxCudaStateET1_SK_, .Lfunc_end76-_ZN2at6native12_GLOBAL__N_143distribution_elementwise_grid_stride_kernelImLi2EZZZNS0_9templates4cuda13random_kernelIPNS_17CUDAGeneratorImplEEEvRNS_18TensorIteratorBaseET_ENKUlvE_clEvENKUlvE1_clEvEUlP25hiprandStatePhilox4_32_10E_ZNS1_27distribution_nullary_kernelIim15HIP_vector_typeIyLj2EES7_SF_ZZZNS5_IS7_EEvS9_SA_ENKSB_clEvENKSC_clEvEUlmE_EEvS9_T2_RKT3_T4_EUlimE_EEvlNS_15PhiloxCudaStateET1_SK_
                                        ; -- End function
	.section	.AMDGPU.csdata,"",@progbits
; Kernel info:
; codeLenInByte = 2148
; NumSgprs: 28
; NumVgprs: 44
; NumAgprs: 0
; TotalNumVgprs: 44
; ScratchSize: 0
; MemoryBound: 0
; FloatMode: 240
; IeeeMode: 1
; LDSByteSize: 0 bytes/workgroup (compile time only)
; SGPRBlocks: 3
; VGPRBlocks: 5
; NumSGPRsForWavesPerEU: 28
; NumVGPRsForWavesPerEU: 44
; AccumOffset: 44
; Occupancy: 8
; WaveLimiterHint : 0
; COMPUTE_PGM_RSRC2:SCRATCH_EN: 0
; COMPUTE_PGM_RSRC2:USER_SGPR: 6
; COMPUTE_PGM_RSRC2:TRAP_HANDLER: 0
; COMPUTE_PGM_RSRC2:TGID_X_EN: 1
; COMPUTE_PGM_RSRC2:TGID_Y_EN: 0
; COMPUTE_PGM_RSRC2:TGID_Z_EN: 0
; COMPUTE_PGM_RSRC2:TIDIG_COMP_CNT: 0
; COMPUTE_PGM_RSRC3_GFX90A:ACCUM_OFFSET: 10
; COMPUTE_PGM_RSRC3_GFX90A:TG_SPLIT: 0
	.section	.text._ZN2at6native12_GLOBAL__N_143distribution_elementwise_grid_stride_kernelImLi2EZZZNS0_9templates4cuda13random_kernelIPNS_17CUDAGeneratorImplEEEvRNS_18TensorIteratorBaseET_ENKUlvE_clEvENKUlvE1_clEvEUlP25hiprandStatePhilox4_32_10E_ZNS1_27distribution_nullary_kernelIim15HIP_vector_typeIyLj2EES7_SF_ZZZNS5_IS7_EEvS9_SA_ENKSB_clEvENKSC_clEvEUlmE_EEvS9_T2_RKT3_T4_EUlimE0_EEvlNS_15PhiloxCudaStateET1_SK_,"axG",@progbits,_ZN2at6native12_GLOBAL__N_143distribution_elementwise_grid_stride_kernelImLi2EZZZNS0_9templates4cuda13random_kernelIPNS_17CUDAGeneratorImplEEEvRNS_18TensorIteratorBaseET_ENKUlvE_clEvENKUlvE1_clEvEUlP25hiprandStatePhilox4_32_10E_ZNS1_27distribution_nullary_kernelIim15HIP_vector_typeIyLj2EES7_SF_ZZZNS5_IS7_EEvS9_SA_ENKSB_clEvENKSC_clEvEUlmE_EEvS9_T2_RKT3_T4_EUlimE0_EEvlNS_15PhiloxCudaStateET1_SK_,comdat
	.globl	_ZN2at6native12_GLOBAL__N_143distribution_elementwise_grid_stride_kernelImLi2EZZZNS0_9templates4cuda13random_kernelIPNS_17CUDAGeneratorImplEEEvRNS_18TensorIteratorBaseET_ENKUlvE_clEvENKUlvE1_clEvEUlP25hiprandStatePhilox4_32_10E_ZNS1_27distribution_nullary_kernelIim15HIP_vector_typeIyLj2EES7_SF_ZZZNS5_IS7_EEvS9_SA_ENKSB_clEvENKSC_clEvEUlmE_EEvS9_T2_RKT3_T4_EUlimE0_EEvlNS_15PhiloxCudaStateET1_SK_ ; -- Begin function _ZN2at6native12_GLOBAL__N_143distribution_elementwise_grid_stride_kernelImLi2EZZZNS0_9templates4cuda13random_kernelIPNS_17CUDAGeneratorImplEEEvRNS_18TensorIteratorBaseET_ENKUlvE_clEvENKUlvE1_clEvEUlP25hiprandStatePhilox4_32_10E_ZNS1_27distribution_nullary_kernelIim15HIP_vector_typeIyLj2EES7_SF_ZZZNS5_IS7_EEvS9_SA_ENKSB_clEvENKSC_clEvEUlmE_EEvS9_T2_RKT3_T4_EUlimE0_EEvlNS_15PhiloxCudaStateET1_SK_
	.p2align	8
	.type	_ZN2at6native12_GLOBAL__N_143distribution_elementwise_grid_stride_kernelImLi2EZZZNS0_9templates4cuda13random_kernelIPNS_17CUDAGeneratorImplEEEvRNS_18TensorIteratorBaseET_ENKUlvE_clEvENKUlvE1_clEvEUlP25hiprandStatePhilox4_32_10E_ZNS1_27distribution_nullary_kernelIim15HIP_vector_typeIyLj2EES7_SF_ZZZNS5_IS7_EEvS9_SA_ENKSB_clEvENKSC_clEvEUlmE_EEvS9_T2_RKT3_T4_EUlimE0_EEvlNS_15PhiloxCudaStateET1_SK_,@function
_ZN2at6native12_GLOBAL__N_143distribution_elementwise_grid_stride_kernelImLi2EZZZNS0_9templates4cuda13random_kernelIPNS_17CUDAGeneratorImplEEEvRNS_18TensorIteratorBaseET_ENKUlvE_clEvENKUlvE1_clEvEUlP25hiprandStatePhilox4_32_10E_ZNS1_27distribution_nullary_kernelIim15HIP_vector_typeIyLj2EES7_SF_ZZZNS5_IS7_EEvS9_SA_ENKSB_clEvENKSC_clEvEUlmE_EEvS9_T2_RKT3_T4_EUlimE0_EEvlNS_15PhiloxCudaStateET1_SK_: ; @_ZN2at6native12_GLOBAL__N_143distribution_elementwise_grid_stride_kernelImLi2EZZZNS0_9templates4cuda13random_kernelIPNS_17CUDAGeneratorImplEEEvRNS_18TensorIteratorBaseET_ENKUlvE_clEvENKUlvE1_clEvEUlP25hiprandStatePhilox4_32_10E_ZNS1_27distribution_nullary_kernelIim15HIP_vector_typeIyLj2EES7_SF_ZZZNS5_IS7_EEvS9_SA_ENKSB_clEvENKSC_clEvEUlmE_EEvS9_T2_RKT3_T4_EUlimE0_EEvlNS_15PhiloxCudaStateET1_SK_
; %bb.0:
	s_load_dword s2, s[4:5], 0x20
	s_load_dwordx2 s[0:1], s[4:5], 0x10
	s_load_dwordx4 s[24:27], s[4:5], 0x0
	s_waitcnt lgkmcnt(0)
	s_bitcmp0_b32 s2, 0
	s_mov_b32 s2, 0
	v_pk_mov_b32 v[2:3], s[0:1], s[0:1] op_sel:[0,1]
	v_pk_mov_b32 v[12:13], s[26:27], s[26:27] op_sel:[0,1]
	s_cbranch_scc1 .LBB77_2
; %bb.1:
	v_pk_mov_b32 v[2:3], s[0:1], s[0:1] op_sel:[0,1]
	flat_load_dwordx2 v[2:3], v[2:3]
	v_pk_mov_b32 v[4:5], s[26:27], s[26:27] op_sel:[0,1]
	flat_load_dwordx2 v[12:13], v[4:5]
	s_load_dwordx2 s[0:1], s[4:5], 0x18
	s_waitcnt lgkmcnt(0)
	v_mov_b32_e32 v1, s1
	s_waitcnt vmcnt(0)
	v_add_co_u32_e32 v2, vcc, s0, v2
	v_addc_co_u32_e32 v3, vcc, v3, v1, vcc
.LBB77_2:
	s_load_dword s0, s[4:5], 0x154
	s_load_dword s7, s[4:5], 0x148
	s_waitcnt lgkmcnt(0)
	s_and_b32 s8, s0, 0xffff
	s_add_u32 s9, s24, -1
	s_mul_i32 s33, s7, s8
	s_addc_u32 s3, s25, -1
	s_lshl_b32 s58, s33, 1
	s_cmp_lg_u64 s[2:3], 0
	s_mov_b64 s[0:1], -1
	s_cbranch_scc0 .LBB77_51
; %bb.3:
	v_cvt_f32_u32_e32 v1, s58
	v_cvt_f32_ubyte0_e32 v4, 0
	s_sub_u32 s2, 0, s58
	s_subb_u32 s10, 0, 0
	v_madmk_f32 v1, v4, 0x4f800000, v1
	v_rcp_f32_e32 v1, v1
	v_mul_f32_e32 v1, 0x5f7ffffc, v1
	v_mul_f32_e32 v4, 0x2f800000, v1
	v_trunc_f32_e32 v4, v4
	v_madmk_f32 v1, v4, 0xcf800000, v1
	v_cvt_u32_f32_e32 v4, v4
	v_cvt_u32_f32_e32 v1, v1
	v_readfirstlane_b32 s11, v4
	v_readfirstlane_b32 s12, v1
	s_mul_i32 s13, s2, s11
	s_mul_hi_u32 s15, s2, s12
	s_mul_i32 s14, s10, s12
	s_add_i32 s13, s15, s13
	s_add_i32 s13, s13, s14
	s_mul_i32 s16, s2, s12
	s_mul_hi_u32 s14, s12, s13
	s_mul_i32 s15, s12, s13
	s_mul_hi_u32 s12, s12, s16
	s_add_u32 s12, s12, s15
	s_addc_u32 s14, 0, s14
	s_mul_hi_u32 s17, s11, s16
	s_mul_i32 s16, s11, s16
	s_add_u32 s12, s12, s16
	s_mul_hi_u32 s15, s11, s13
	s_addc_u32 s12, s14, s17
	s_addc_u32 s14, s15, 0
	s_mul_i32 s13, s11, s13
	s_add_u32 s12, s12, s13
	s_addc_u32 s13, 0, s14
	v_add_co_u32_e32 v1, vcc, s12, v1
	s_cmp_lg_u64 vcc, 0
	s_addc_u32 s11, s11, s13
	v_readfirstlane_b32 s13, v1
	s_mul_i32 s12, s2, s11
	s_mul_hi_u32 s14, s2, s13
	s_add_i32 s12, s14, s12
	s_mul_i32 s10, s10, s13
	s_add_i32 s12, s12, s10
	s_mul_i32 s2, s2, s13
	s_mul_hi_u32 s14, s11, s2
	s_mul_i32 s15, s11, s2
	s_mul_i32 s17, s13, s12
	s_mul_hi_u32 s2, s13, s2
	s_mul_hi_u32 s16, s13, s12
	s_add_u32 s2, s2, s17
	s_addc_u32 s13, 0, s16
	s_add_u32 s2, s2, s15
	s_mul_hi_u32 s10, s11, s12
	s_addc_u32 s2, s13, s14
	s_addc_u32 s10, s10, 0
	s_mul_i32 s12, s11, s12
	s_add_u32 s2, s2, s12
	s_addc_u32 s10, 0, s10
	v_add_co_u32_e32 v1, vcc, s2, v1
	s_cmp_lg_u64 vcc, 0
	s_addc_u32 s12, s11, s10
	s_ashr_i32 s10, s3, 31
	s_add_u32 s2, s9, s10
	s_mov_b32 s11, s10
	s_addc_u32 s3, s3, s10
	s_xor_b64 s[2:3], s[2:3], s[10:11]
	v_readfirstlane_b32 s15, v1
	s_mul_i32 s14, s2, s12
	s_mul_hi_u32 s16, s2, s15
	s_mul_hi_u32 s13, s2, s12
	s_add_u32 s14, s16, s14
	s_addc_u32 s13, 0, s13
	s_mul_hi_u32 s17, s3, s15
	s_mul_i32 s15, s3, s15
	s_add_u32 s14, s14, s15
	s_mul_hi_u32 s16, s3, s12
	s_addc_u32 s13, s13, s17
	s_addc_u32 s14, s16, 0
	s_mul_i32 s12, s3, s12
	s_add_u32 s12, s13, s12
	s_addc_u32 s13, 0, s14
	s_add_u32 s14, s12, 1
	s_addc_u32 s15, s13, 0
	s_add_u32 s16, s12, 2
	s_mul_i32 s18, s58, s13
	s_mul_hi_u32 s19, s58, s12
	s_addc_u32 s17, s13, 0
	s_add_i32 s19, s19, s18
	s_mul_i32 s18, s58, s12
	v_mov_b32_e32 v1, s18
	v_sub_co_u32_e32 v1, vcc, s2, v1
	s_cmp_lg_u64 vcc, 0
	s_subb_u32 s2, s3, s19
	v_subrev_co_u32_e32 v4, vcc, s58, v1
	s_cmp_lg_u64 vcc, 0
	s_subb_u32 s3, s2, 0
	v_readfirstlane_b32 s18, v4
	s_cmp_ge_u32 s18, s58
	s_cselect_b32 s18, -1, 0
	s_cmp_eq_u32 s3, 0
	s_cselect_b32 s3, s18, -1
	s_cmp_lg_u32 s3, 0
	s_cselect_b32 s3, s17, s15
	v_readfirstlane_b32 s15, v1
	s_cselect_b32 s14, s16, s14
	s_cmp_ge_u32 s15, s58
	s_cselect_b32 s15, -1, 0
	s_cmp_eq_u32 s2, 0
	s_cselect_b32 s2, s15, -1
	s_cmp_lg_u32 s2, 0
	s_cselect_b32 s3, s3, s13
	s_cselect_b32 s2, s14, s12
	s_xor_b64 s[2:3], s[2:3], s[10:11]
	s_sub_u32 s2, s2, s10
	s_subb_u32 s3, s3, s10
	s_cbranch_execnz .LBB77_5
.LBB77_4:
	v_cvt_f32_u32_e32 v1, s58
	s_sub_i32 s0, 0, s58
	s_mov_b32 s3, 0
	v_rcp_iflag_f32_e32 v1, v1
	v_mul_f32_e32 v1, 0x4f7ffffe, v1
	v_cvt_u32_f32_e32 v1, v1
	v_readfirstlane_b32 s1, v1
	s_mul_i32 s0, s0, s1
	s_mul_hi_u32 s0, s1, s0
	s_add_i32 s1, s1, s0
	s_mul_hi_u32 s0, s9, s1
	s_mul_i32 s2, s0, s58
	s_sub_i32 s2, s9, s2
	s_add_i32 s1, s0, 1
	s_sub_i32 s9, s2, s58
	s_cmp_ge_u32 s2, s58
	s_cselect_b32 s0, s1, s0
	s_cselect_b32 s2, s9, s2
	s_add_i32 s1, s0, 1
	s_cmp_ge_u32 s2, s58
	s_cselect_b32 s2, s1, s0
.LBB77_5:
	v_mov_b32_e32 v1, 0
	v_mov_b32_e32 v4, s6
	v_mad_u64_u32 v[14:15], s[0:1], s8, v4, v[0:1]
	s_add_u32 s0, s2, 1
	s_addc_u32 s1, s3, 0
	s_mul_hi_u32 s2, s7, s8
	s_mul_i32 s1, s33, s1
	s_mul_hi_u32 s3, s33, s0
	s_add_i32 s1, s3, s1
	s_mul_i32 s2, s2, s0
	s_add_i32 s1, s1, s2
	s_mul_i32 s0, s33, s0
	s_lshl_b64 s[26:27], s[0:1], 1
	v_cmp_gt_i64_e32 vcc, s[26:27], v[14:15]
	s_and_saveexec_b64 s[0:1], vcc
	s_cbranch_execz .LBB77_50
; %bb.6:
	s_mov_b32 s0, 0x5384540f
	v_mov_b32_e32 v0, v13
	v_add_co_u32_e32 v20, vcc, s0, v12
	s_mov_b32 s0, 0x646e171e
	v_add_co_u32_e32 v21, vcc, s0, v0
	s_mov_b32 s0, 0x1715609d
	;; [unrolled: 2-line block ×6, first 2 shown]
	v_alignbit_b32 v27, v3, v2, 2
	s_mov_b32 s60, 0xd2511f53
	v_add_co_u32_e32 v26, vcc, s0, v12
	v_mad_u64_u32 v[4:5], s[0:1], v27, s60, 0
	v_xor_b32_e32 v1, v5, v13
	v_xor_b32_e32 v1, v1, v15
	s_mov_b32 s61, 0xcd9e8d57
	v_mad_u64_u32 v[6:7], s[0:1], v1, s61, 0
	v_xor_b32_e32 v1, v26, v7
	v_mad_u64_u32 v[8:9], s[0:1], v14, s61, 0
	v_and_b32_e32 v16, 3, v2
	v_xor_b32_e32 v1, v1, v8
	v_xor_b32_e32 v2, v12, v9
	v_lshrrev_b32_e32 v28, 2, v3
	v_mad_u64_u32 v[10:11], s[0:1], v1, s60, 0
	v_xor_b32_e32 v2, v2, v28
	v_xor_b32_e32 v1, v25, v11
	v_mad_u64_u32 v[2:3], s[0:1], v2, s60, 0
	v_xor_b32_e32 v1, v1, v2
	v_mad_u64_u32 v[8:9], s[0:1], v1, s61, 0
	s_mov_b32 s0, 0xbb67ae85
	v_add_co_u32_e32 v29, vcc, s0, v0
	v_xor_b32_e32 v2, v29, v3
	v_xor_b32_e32 v2, v2, v4
	v_xor_b32_e32 v1, v24, v9
	v_mad_u64_u32 v[2:3], s[0:1], v2, s61, 0
	v_xor_b32_e32 v1, v1, v2
	v_mad_u64_u32 v[4:5], s[0:1], v1, s60, 0
	s_mov_b32 s0, 0x3c6ef372
	v_add_co_u32_e32 v30, vcc, s0, v12
	v_xor_b32_e32 v2, v30, v3
	;; [unrolled: 8-line block ×6, first 2 shown]
	v_add_co_u32_e32 v19, vcc, 0xdb3d7428, v0
	v_xor_b32_e32 v2, v2, v6
	v_xor_b32_e32 v1, v19, v5
	v_mad_u64_u32 v[2:3], s[0:1], v2, s60, 0
	v_xor_b32_e32 v1, v1, v2
	v_mad_u64_u32 v[6:7], s[0:1], v1, s61, 0
	s_mov_b32 s0, 0x1fd5c5a3
	v_add_co_u32_e32 v35, vcc, s0, v0
	v_xor_b32_e32 v0, v35, v3
	v_xor_b32_e32 v0, v0, v10
	v_mad_u64_u32 v[0:1], s[0:1], v0, s61, 0
	s_mov_b32 s0, 0xf1bbcdc8
	s_load_dwordx8 s[8:15], s[4:5], 0x30
	v_add_co_u32_e32 v36, vcc, s0, v12
	v_xor_b32_e32 v0, v36, v1
	v_xor_b32_e32 v0, v0, v8
	s_add_u32 s34, s4, 48
	v_mad_u64_u32 v[0:1], s[0:1], v0, s60, 0
	s_addc_u32 s35, s5, 0
	s_waitcnt lgkmcnt(0)
	s_add_i32 s0, s8, -1
	s_cmp_gt_u32 s0, 1
	s_cselect_b64 s[36:37], -1, 0
	s_cmp_lg_u32 s8, 0
	s_cselect_b64 s[38:39], -1, 0
	s_add_u32 s40, s4, 0xf4
	s_addc_u32 s41, s5, 0
	s_min_u32 s1, s0, 15
	s_cmp_gt_u32 s8, 1
	s_cselect_b64 s[42:43], -1, 0
	s_add_i32 s1, s1, 1
	s_mov_b32 s8, s13
	s_load_dwordx2 s[44:45], s[4:5], 0xf4
	s_load_dwordx2 s[46:47], s[4:5], 0x138
	s_and_b32 s13, s1, 3
	s_cmp_lg_u32 s0, 2
	s_cselect_b64 s[48:49], -1, 0
	s_and_b32 s15, s1, 28
	v_add_u32_e32 v18, 0x96a522ad, v13
	v_xor_b32_e32 v1, v1, v4
	s_cmp_lg_u32 s13, 0
	s_mov_b32 s59, 0
	v_add_u32_e32 v17, 0x8ff34781, v12
	v_xor_b32_e32 v2, v18, v1
	v_mov_b32_e32 v1, v6
	v_mov_b32_e32 v3, v0
	s_mov_b64 s[50:51], 0
	s_cselect_b64 s[52:53], -1, 0
	v_mov_b32_e32 v37, v14
	v_mov_b32_e32 v38, v15
	s_branch .LBB77_9
.LBB77_7:                               ;   in Loop: Header=BB77_9 Depth=1
	v_and_b32_e32 v0, 0x7fffffff, v3
	s_waitcnt lgkmcnt(0)
	global_store_dword v8, v0, s[46:47]
.LBB77_8:                               ;   in Loop: Header=BB77_9 Depth=1
	s_or_b64 exec, exec, s[28:29]
	v_add_co_u32_e32 v14, vcc, s58, v14
	v_addc_co_u32_e32 v15, vcc, 0, v15, vcc
	v_mov_b32_e32 v7, v4
	v_cmp_le_i64_e32 vcc, s[26:27], v[14:15]
	v_pk_mov_b32 v[0:1], v[4:5], v[4:5] op_sel:[0,1]
	s_or_b64 s[50:51], vcc, s[50:51]
	v_pk_mov_b32 v[2:3], v[6:7], v[6:7] op_sel:[0,1]
	s_waitcnt lgkmcnt(0)
	s_barrier
	s_andn2_b64 exec, exec, s[50:51]
	s_cbranch_execz .LBB77_50
.LBB77_9:                               ; =>This Loop Header: Depth=1
                                        ;     Child Loop BB77_24 Depth 2
                                        ;     Child Loop BB77_30 Depth 2
	;; [unrolled: 1-line block ×4, first 2 shown]
	v_add_co_u32_e32 v27, vcc, 1, v27
	v_cndmask_b32_e64 v0, 0, 1, vcc
	v_addc_co_u32_e32 v28, vcc, 0, v28, vcc
	v_cmp_eq_u32_e32 vcc, 0, v28
	v_cndmask_b32_e32 v0, 0, v0, vcc
	v_add_u32_e32 v37, v0, v37
	v_cmp_eq_u32_e32 vcc, 0, v37
	v_cndmask_b32_e32 v0, 0, v0, vcc
	v_mad_u64_u32 v[4:5], s[0:1], v27, s60, 0
	v_add_u32_e32 v38, v0, v38
	v_mad_u64_u32 v[6:7], s[0:1], v37, s61, 0
	v_xor_b32_e32 v5, v5, v13
	v_xor_b32_e32 v0, v7, v12
	v_xor_b32_e32 v5, v38, v5
	v_xor_b32_e32 v0, v28, v0
	v_mad_u64_u32 v[10:11], s[0:1], v5, s61, 0
	v_mad_u64_u32 v[8:9], s[0:1], v0, s60, 0
	v_xor_b32_e32 v0, v26, v11
	v_xor_b32_e32 v0, v0, v6
	v_xor_b32_e32 v5, v29, v9
	v_xor_b32_e32 v6, v5, v4
	v_mad_u64_u32 v[4:5], s[0:1], v0, s60, 0
	;; [unrolled: 6-line block ×9, first 2 shown]
	v_mad_u64_u32 v[4:5], s[0:1], v0, s60, 0
	v_xor_b32_e32 v0, v11, v40
	v_xor_b32_e32 v8, v17, v0
	v_xor_b32_e32 v0, v5, v6
	v_xor_b32_e32 v9, v18, v0
	v_mov_b32_e32 v5, v10
	v_mov_b32_e32 v6, v9
	v_cmp_lt_i32_e32 vcc, 1, v16
	s_and_saveexec_b64 s[0:1], vcc
	s_xor_b64 s[0:1], exec, s[0:1]
	s_cbranch_execz .LBB77_15
; %bb.10:                               ;   in Loop: Header=BB77_9 Depth=1
	v_cmp_lt_i32_e32 vcc, 2, v16
	s_and_saveexec_b64 s[2:3], vcc
	s_xor_b64 s[2:3], exec, s[2:3]
; %bb.11:                               ;   in Loop: Header=BB77_9 Depth=1
	v_mov_b32_e32 v7, v8
	v_pk_mov_b32 v[0:1], v[6:7], v[6:7] op_sel:[0,1]
	v_pk_mov_b32 v[2:3], v[8:9], v[8:9] op_sel:[0,1]
                                        ; implicit-def: $vgpr10_vgpr11
; %bb.12:                               ;   in Loop: Header=BB77_9 Depth=1
	s_andn2_saveexec_b64 s[2:3], s[2:3]
; %bb.13:                               ;   in Loop: Header=BB77_9 Depth=1
	v_mov_b32_e32 v1, v3
	v_mov_b32_e32 v3, v10
; %bb.14:                               ;   in Loop: Header=BB77_9 Depth=1
	s_or_b64 exec, exec, s[2:3]
                                        ; implicit-def: $vgpr8_vgpr9_vgpr10_vgpr11
.LBB77_15:                              ;   in Loop: Header=BB77_9 Depth=1
	s_andn2_saveexec_b64 s[0:1], s[0:1]
	s_cbranch_execz .LBB77_19
; %bb.16:                               ;   in Loop: Header=BB77_9 Depth=1
	v_cmp_eq_u32_e32 vcc, 1, v16
	s_and_saveexec_b64 s[2:3], vcc
; %bb.17:                               ;   in Loop: Header=BB77_9 Depth=1
	v_mov_b32_e32 v1, v2
	v_mov_b32_e32 v3, v8
; %bb.18:                               ;   in Loop: Header=BB77_9 Depth=1
	s_or_b64 exec, exec, s[2:3]
.LBB77_19:                              ;   in Loop: Header=BB77_9 Depth=1
	s_or_b64 exec, exec, s[0:1]
	v_cndmask_b32_e64 v0, 0, 1, s[36:37]
	v_cmp_gt_i64_e32 vcc, s[24:25], v[14:15]
	v_cmp_ne_u32_e64 s[0:1], 1, v0
	s_and_saveexec_b64 s[2:3], vcc
	s_cbranch_execz .LBB77_35
; %bb.20:                               ;   in Loop: Header=BB77_9 Depth=1
	s_and_b64 vcc, exec, s[0:1]
	s_cbranch_vccnz .LBB77_26
; %bb.21:                               ;   in Loop: Header=BB77_9 Depth=1
	s_andn2_b64 vcc, exec, s[38:39]
	s_cbranch_vccnz .LBB77_27
; %bb.22:                               ;   in Loop: Header=BB77_9 Depth=1
	s_mov_b32 s6, 0
	s_andn2_b64 vcc, exec, s[48:49]
	v_mov_b32_e32 v8, 0
	s_cbranch_vccnz .LBB77_28
; %bb.23:                               ;   in Loop: Header=BB77_9 Depth=1
	s_mov_b32 s62, 0
	v_mov_b32_e32 v8, 0
	s_mov_b64 s[54:55], s[34:35]
	s_mov_b64 s[56:57], s[40:41]
	v_mov_b32_e32 v0, v14
.LBB77_24:                              ;   Parent Loop BB77_9 Depth=1
                                        ; =>  This Inner Loop Header: Depth=2
	s_load_dwordx8 s[16:23], s[54:55], 0x4
	s_load_dwordx4 s[4:7], s[54:55], 0x24
	s_load_dwordx4 s[28:31], s[56:57], 0x0
	s_add_u32 s54, s54, 48
	s_addc_u32 s55, s55, 0
	s_waitcnt lgkmcnt(0)
	v_mul_hi_u32 v2, s17, v0
	v_add_u32_e32 v2, v0, v2
	v_lshrrev_b32_e32 v2, s18, v2
	v_mul_lo_u32 v7, v2, s16
	v_mul_hi_u32 v9, s20, v2
	v_sub_u32_e32 v0, v0, v7
	v_add_u32_e32 v7, v2, v9
	v_lshrrev_b32_e32 v7, s21, v7
	v_mul_lo_u32 v9, v7, s19
	v_mul_hi_u32 v10, s23, v7
	v_sub_u32_e32 v2, v2, v9
	v_add_u32_e32 v9, v7, v10
	v_mul_lo_u32 v0, v0, s28
	v_mul_lo_u32 v2, v2, s29
	v_lshrrev_b32_e32 v9, s4, v9
	v_add3_u32 v2, v0, v8, v2
	v_mul_lo_u32 v0, v9, s22
	v_mul_hi_u32 v8, s6, v9
	v_sub_u32_e32 v0, v7, v0
	v_add_u32_e32 v7, v9, v8
	v_mul_lo_u32 v8, v0, s30
	v_lshrrev_b32_e32 v0, s7, v7
	s_add_i32 s62, s62, 4
	v_mul_lo_u32 v7, v0, s5
	s_add_u32 s56, s56, 16
	v_sub_u32_e32 v7, v9, v7
	s_addc_u32 s57, s57, 0
	v_mul_lo_u32 v7, v7, s31
	s_cmp_lg_u32 s15, s62
	v_add3_u32 v8, v8, v2, v7
	s_cbranch_scc1 .LBB77_24
; %bb.25:                               ;   in Loop: Header=BB77_9 Depth=1
	s_mov_b32 s6, s15
	s_andn2_b64 vcc, exec, s[52:53]
	s_cbranch_vccz .LBB77_29
	s_branch .LBB77_31
.LBB77_26:                              ;   in Loop: Header=BB77_9 Depth=1
                                        ; implicit-def: $vgpr8
	s_branch .LBB77_32
.LBB77_27:                              ;   in Loop: Header=BB77_9 Depth=1
	v_mov_b32_e32 v8, 0
	s_branch .LBB77_31
.LBB77_28:                              ;   in Loop: Header=BB77_9 Depth=1
	v_mov_b32_e32 v0, v14
	s_andn2_b64 vcc, exec, s[52:53]
	s_cbranch_vccnz .LBB77_31
.LBB77_29:                              ;   in Loop: Header=BB77_9 Depth=1
	s_lshl_b32 s4, s6, 2
	s_add_u32 s4, s40, s4
	s_addc_u32 s5, s41, 0
	s_mul_i32 s6, s6, 12
	s_add_u32 s6, s34, s6
	s_addc_u32 s7, s35, 0
	s_mov_b32 s16, s13
.LBB77_30:                              ;   Parent Loop BB77_9 Depth=1
                                        ; =>  This Inner Loop Header: Depth=2
	s_load_dwordx2 s[18:19], s[6:7], 0x4
	s_load_dword s17, s[6:7], 0xc
	s_load_dword s20, s[4:5], 0x0
	s_add_u32 s6, s6, 12
	s_addc_u32 s7, s7, 0
	s_waitcnt lgkmcnt(0)
	v_mul_hi_u32 v2, s19, v0
	v_add_u32_e32 v2, v0, v2
	v_lshrrev_b32_e32 v2, s17, v2
	s_add_u32 s4, s4, 4
	v_mul_lo_u32 v7, v2, s18
	s_addc_u32 s5, s5, 0
	s_add_i32 s16, s16, -1
	v_sub_u32_e32 v7, v0, v7
	s_cmp_lg_u32 s16, 0
	v_mov_b32_e32 v0, v2
	v_mad_u64_u32 v[8:9], s[18:19], v7, s20, v[8:9]
	s_cbranch_scc1 .LBB77_30
.LBB77_31:                              ;   in Loop: Header=BB77_9 Depth=1
	s_cbranch_execnz .LBB77_34
.LBB77_32:                              ;   in Loop: Header=BB77_9 Depth=1
	v_mul_hi_u32 v0, v14, s10
	v_add_u32_e32 v0, v0, v14
	v_lshrrev_b32_e32 v0, s11, v0
	v_mul_lo_u32 v2, v0, s9
	v_sub_u32_e32 v2, v14, v2
	s_andn2_b64 vcc, exec, s[42:43]
	s_waitcnt lgkmcnt(0)
	v_mul_lo_u32 v8, v2, s44
	s_cbranch_vccnz .LBB77_34
; %bb.33:                               ;   in Loop: Header=BB77_9 Depth=1
	v_mul_hi_u32 v2, s8, v0
	v_add_u32_e32 v2, v0, v2
	v_lshrrev_b32_e32 v2, s14, v2
	v_mul_lo_u32 v2, v2, s12
	v_sub_u32_e32 v0, v0, v2
	v_mad_u64_u32 v[8:9], s[4:5], v0, s45, v[8:9]
.LBB77_34:                              ;   in Loop: Header=BB77_9 Depth=1
	v_and_b32_e32 v0, 0x7fffffff, v1
	s_waitcnt lgkmcnt(0)
	global_store_dword v8, v0, s[46:47]
.LBB77_35:                              ;   in Loop: Header=BB77_9 Depth=1
	s_or_b64 exec, exec, s[2:3]
	v_mov_b32_e32 v1, s59
	v_add_co_u32_e32 v0, vcc, s33, v14
	v_addc_co_u32_e32 v1, vcc, v15, v1, vcc
	v_cmp_gt_i64_e32 vcc, s[24:25], v[0:1]
	s_and_saveexec_b64 s[28:29], vcc
	s_cbranch_execz .LBB77_8
; %bb.36:                               ;   in Loop: Header=BB77_9 Depth=1
	s_and_b64 vcc, exec, s[0:1]
	s_cbranch_vccnz .LBB77_42
; %bb.37:                               ;   in Loop: Header=BB77_9 Depth=1
	s_andn2_b64 vcc, exec, s[38:39]
	s_cbranch_vccnz .LBB77_43
; %bb.38:                               ;   in Loop: Header=BB77_9 Depth=1
	s_mov_b32 s2, 0
	s_andn2_b64 vcc, exec, s[48:49]
	v_mov_b32_e32 v8, 0
	s_cbranch_vccnz .LBB77_44
; %bb.39:                               ;   in Loop: Header=BB77_9 Depth=1
	s_mov_b32 s56, 0
	v_mov_b32_e32 v8, 0
	s_mov_b64 s[30:31], s[34:35]
	s_mov_b64 s[54:55], s[40:41]
	v_mov_b32_e32 v1, v0
.LBB77_40:                              ;   Parent Loop BB77_9 Depth=1
                                        ; =>  This Inner Loop Header: Depth=2
	s_load_dwordx8 s[0:7], s[30:31], 0x4
	s_load_dwordx4 s[16:19], s[30:31], 0x24
	s_load_dwordx4 s[20:23], s[54:55], 0x0
	s_add_u32 s30, s30, 48
	s_addc_u32 s31, s31, 0
	s_waitcnt lgkmcnt(0)
	v_mul_hi_u32 v2, s1, v1
	v_add_u32_e32 v2, v1, v2
	v_lshrrev_b32_e32 v2, s2, v2
	v_mul_lo_u32 v7, v2, s0
	v_mul_hi_u32 v9, s4, v2
	v_sub_u32_e32 v1, v1, v7
	v_add_u32_e32 v7, v2, v9
	v_lshrrev_b32_e32 v7, s5, v7
	v_mul_lo_u32 v9, v7, s3
	v_mul_hi_u32 v10, s7, v7
	v_sub_u32_e32 v2, v2, v9
	v_add_u32_e32 v9, v7, v10
	v_mul_lo_u32 v1, v1, s20
	v_mul_lo_u32 v2, v2, s21
	v_lshrrev_b32_e32 v9, s16, v9
	v_add3_u32 v2, v1, v8, v2
	v_mul_lo_u32 v1, v9, s6
	v_mul_hi_u32 v8, s18, v9
	v_sub_u32_e32 v1, v7, v1
	v_add_u32_e32 v7, v9, v8
	v_mul_lo_u32 v8, v1, s22
	v_lshrrev_b32_e32 v1, s19, v7
	s_add_i32 s56, s56, 4
	v_mul_lo_u32 v7, v1, s17
	s_add_u32 s54, s54, 16
	v_sub_u32_e32 v7, v9, v7
	s_addc_u32 s55, s55, 0
	v_mul_lo_u32 v7, v7, s23
	s_cmp_eq_u32 s15, s56
	v_add3_u32 v8, v8, v2, v7
	s_cbranch_scc0 .LBB77_40
; %bb.41:                               ;   in Loop: Header=BB77_9 Depth=1
	s_mov_b32 s2, s15
	s_andn2_b64 vcc, exec, s[52:53]
	s_cbranch_vccz .LBB77_45
	s_branch .LBB77_47
.LBB77_42:                              ;   in Loop: Header=BB77_9 Depth=1
                                        ; implicit-def: $vgpr8
	s_branch .LBB77_48
.LBB77_43:                              ;   in Loop: Header=BB77_9 Depth=1
	v_mov_b32_e32 v8, 0
	s_branch .LBB77_47
.LBB77_44:                              ;   in Loop: Header=BB77_9 Depth=1
	v_mov_b32_e32 v1, v0
	s_andn2_b64 vcc, exec, s[52:53]
	s_cbranch_vccnz .LBB77_47
.LBB77_45:                              ;   in Loop: Header=BB77_9 Depth=1
	s_lshl_b32 s0, s2, 2
	s_add_u32 s0, s40, s0
	s_addc_u32 s1, s41, 0
	s_mul_i32 s2, s2, 12
	s_add_u32 s2, s34, s2
	s_addc_u32 s3, s35, 0
	s_mov_b32 s4, s13
.LBB77_46:                              ;   Parent Loop BB77_9 Depth=1
                                        ; =>  This Inner Loop Header: Depth=2
	s_load_dwordx2 s[6:7], s[2:3], 0x4
	s_load_dword s5, s[2:3], 0xc
	s_load_dword s16, s[0:1], 0x0
	s_add_u32 s2, s2, 12
	s_addc_u32 s3, s3, 0
	s_waitcnt lgkmcnt(0)
	v_mul_hi_u32 v2, s7, v1
	v_add_u32_e32 v2, v1, v2
	v_lshrrev_b32_e32 v2, s5, v2
	s_add_u32 s0, s0, 4
	v_mul_lo_u32 v7, v2, s6
	s_addc_u32 s1, s1, 0
	s_add_i32 s4, s4, -1
	v_sub_u32_e32 v7, v1, v7
	s_cmp_lg_u32 s4, 0
	v_mov_b32_e32 v1, v2
	v_mad_u64_u32 v[8:9], s[6:7], v7, s16, v[8:9]
	s_cbranch_scc1 .LBB77_46
.LBB77_47:                              ;   in Loop: Header=BB77_9 Depth=1
	s_cbranch_execnz .LBB77_7
.LBB77_48:                              ;   in Loop: Header=BB77_9 Depth=1
	v_mul_hi_u32 v1, v0, s10
	v_add_u32_e32 v1, v1, v0
	v_lshrrev_b32_e32 v1, s11, v1
	v_mul_lo_u32 v2, v1, s9
	v_sub_u32_e32 v0, v0, v2
	s_andn2_b64 vcc, exec, s[42:43]
	s_waitcnt lgkmcnt(0)
	v_mul_lo_u32 v8, v0, s44
	s_cbranch_vccnz .LBB77_7
; %bb.49:                               ;   in Loop: Header=BB77_9 Depth=1
	v_mul_hi_u32 v0, s8, v1
	v_add_u32_e32 v0, v1, v0
	v_lshrrev_b32_e32 v0, s14, v0
	v_mul_lo_u32 v0, v0, s12
	v_sub_u32_e32 v0, v1, v0
	v_mad_u64_u32 v[8:9], s[0:1], v0, s45, v[8:9]
	s_branch .LBB77_7
.LBB77_50:
	s_endpgm
.LBB77_51:
                                        ; implicit-def: $sgpr2_sgpr3
	s_andn2_b64 vcc, exec, s[0:1]
	s_cbranch_vccz .LBB77_4
	s_branch .LBB77_5
	.section	.rodata,"a",@progbits
	.p2align	6, 0x0
	.amdhsa_kernel _ZN2at6native12_GLOBAL__N_143distribution_elementwise_grid_stride_kernelImLi2EZZZNS0_9templates4cuda13random_kernelIPNS_17CUDAGeneratorImplEEEvRNS_18TensorIteratorBaseET_ENKUlvE_clEvENKUlvE1_clEvEUlP25hiprandStatePhilox4_32_10E_ZNS1_27distribution_nullary_kernelIim15HIP_vector_typeIyLj2EES7_SF_ZZZNS5_IS7_EEvS9_SA_ENKSB_clEvENKSC_clEvEUlmE_EEvS9_T2_RKT3_T4_EUlimE0_EEvlNS_15PhiloxCudaStateET1_SK_
		.amdhsa_group_segment_fixed_size 0
		.amdhsa_private_segment_fixed_size 0
		.amdhsa_kernarg_size 584
		.amdhsa_user_sgpr_count 6
		.amdhsa_user_sgpr_private_segment_buffer 1
		.amdhsa_user_sgpr_dispatch_ptr 0
		.amdhsa_user_sgpr_queue_ptr 0
		.amdhsa_user_sgpr_kernarg_segment_ptr 1
		.amdhsa_user_sgpr_dispatch_id 0
		.amdhsa_user_sgpr_flat_scratch_init 0
		.amdhsa_user_sgpr_kernarg_preload_length 0
		.amdhsa_user_sgpr_kernarg_preload_offset 0
		.amdhsa_user_sgpr_private_segment_size 0
		.amdhsa_uses_dynamic_stack 0
		.amdhsa_system_sgpr_private_segment_wavefront_offset 0
		.amdhsa_system_sgpr_workgroup_id_x 1
		.amdhsa_system_sgpr_workgroup_id_y 0
		.amdhsa_system_sgpr_workgroup_id_z 0
		.amdhsa_system_sgpr_workgroup_info 0
		.amdhsa_system_vgpr_workitem_id 0
		.amdhsa_next_free_vgpr 42
		.amdhsa_next_free_sgpr 63
		.amdhsa_accum_offset 44
		.amdhsa_reserve_vcc 1
		.amdhsa_reserve_flat_scratch 0
		.amdhsa_float_round_mode_32 0
		.amdhsa_float_round_mode_16_64 0
		.amdhsa_float_denorm_mode_32 3
		.amdhsa_float_denorm_mode_16_64 3
		.amdhsa_dx10_clamp 1
		.amdhsa_ieee_mode 1
		.amdhsa_fp16_overflow 0
		.amdhsa_tg_split 0
		.amdhsa_exception_fp_ieee_invalid_op 0
		.amdhsa_exception_fp_denorm_src 0
		.amdhsa_exception_fp_ieee_div_zero 0
		.amdhsa_exception_fp_ieee_overflow 0
		.amdhsa_exception_fp_ieee_underflow 0
		.amdhsa_exception_fp_ieee_inexact 0
		.amdhsa_exception_int_div_zero 0
	.end_amdhsa_kernel
	.section	.text._ZN2at6native12_GLOBAL__N_143distribution_elementwise_grid_stride_kernelImLi2EZZZNS0_9templates4cuda13random_kernelIPNS_17CUDAGeneratorImplEEEvRNS_18TensorIteratorBaseET_ENKUlvE_clEvENKUlvE1_clEvEUlP25hiprandStatePhilox4_32_10E_ZNS1_27distribution_nullary_kernelIim15HIP_vector_typeIyLj2EES7_SF_ZZZNS5_IS7_EEvS9_SA_ENKSB_clEvENKSC_clEvEUlmE_EEvS9_T2_RKT3_T4_EUlimE0_EEvlNS_15PhiloxCudaStateET1_SK_,"axG",@progbits,_ZN2at6native12_GLOBAL__N_143distribution_elementwise_grid_stride_kernelImLi2EZZZNS0_9templates4cuda13random_kernelIPNS_17CUDAGeneratorImplEEEvRNS_18TensorIteratorBaseET_ENKUlvE_clEvENKUlvE1_clEvEUlP25hiprandStatePhilox4_32_10E_ZNS1_27distribution_nullary_kernelIim15HIP_vector_typeIyLj2EES7_SF_ZZZNS5_IS7_EEvS9_SA_ENKSB_clEvENKSC_clEvEUlmE_EEvS9_T2_RKT3_T4_EUlimE0_EEvlNS_15PhiloxCudaStateET1_SK_,comdat
.Lfunc_end77:
	.size	_ZN2at6native12_GLOBAL__N_143distribution_elementwise_grid_stride_kernelImLi2EZZZNS0_9templates4cuda13random_kernelIPNS_17CUDAGeneratorImplEEEvRNS_18TensorIteratorBaseET_ENKUlvE_clEvENKUlvE1_clEvEUlP25hiprandStatePhilox4_32_10E_ZNS1_27distribution_nullary_kernelIim15HIP_vector_typeIyLj2EES7_SF_ZZZNS5_IS7_EEvS9_SA_ENKSB_clEvENKSC_clEvEUlmE_EEvS9_T2_RKT3_T4_EUlimE0_EEvlNS_15PhiloxCudaStateET1_SK_, .Lfunc_end77-_ZN2at6native12_GLOBAL__N_143distribution_elementwise_grid_stride_kernelImLi2EZZZNS0_9templates4cuda13random_kernelIPNS_17CUDAGeneratorImplEEEvRNS_18TensorIteratorBaseET_ENKUlvE_clEvENKUlvE1_clEvEUlP25hiprandStatePhilox4_32_10E_ZNS1_27distribution_nullary_kernelIim15HIP_vector_typeIyLj2EES7_SF_ZZZNS5_IS7_EEvS9_SA_ENKSB_clEvENKSC_clEvEUlmE_EEvS9_T2_RKT3_T4_EUlimE0_EEvlNS_15PhiloxCudaStateET1_SK_
                                        ; -- End function
	.section	.AMDGPU.csdata,"",@progbits
; Kernel info:
; codeLenInByte = 3184
; NumSgprs: 67
; NumVgprs: 42
; NumAgprs: 0
; TotalNumVgprs: 42
; ScratchSize: 0
; MemoryBound: 0
; FloatMode: 240
; IeeeMode: 1
; LDSByteSize: 0 bytes/workgroup (compile time only)
; SGPRBlocks: 8
; VGPRBlocks: 5
; NumSGPRsForWavesPerEU: 67
; NumVGPRsForWavesPerEU: 42
; AccumOffset: 44
; Occupancy: 8
; WaveLimiterHint : 1
; COMPUTE_PGM_RSRC2:SCRATCH_EN: 0
; COMPUTE_PGM_RSRC2:USER_SGPR: 6
; COMPUTE_PGM_RSRC2:TRAP_HANDLER: 0
; COMPUTE_PGM_RSRC2:TGID_X_EN: 1
; COMPUTE_PGM_RSRC2:TGID_Y_EN: 0
; COMPUTE_PGM_RSRC2:TGID_Z_EN: 0
; COMPUTE_PGM_RSRC2:TIDIG_COMP_CNT: 0
; COMPUTE_PGM_RSRC3_GFX90A:ACCUM_OFFSET: 10
; COMPUTE_PGM_RSRC3_GFX90A:TG_SPLIT: 0
	.section	.text._ZN2at6native12_GLOBAL__N_143distribution_elementwise_grid_stride_kernelIjLi4EZZZNS0_9templates4cuda13random_kernelIPNS_17CUDAGeneratorImplEEEvRNS_18TensorIteratorBaseET_ENKUlvE_clEvENKUlvE1_clEvEUlP25hiprandStatePhilox4_32_10E0_ZNS1_27distribution_nullary_kernelIij15HIP_vector_typeIjLj4EES7_SF_ZZZNS5_IS7_EEvS9_SA_ENKSB_clEvENKSC_clEvEUljE_EEvS9_T2_RKT3_T4_EUlijE_EEvlNS_15PhiloxCudaStateET1_SK_,"axG",@progbits,_ZN2at6native12_GLOBAL__N_143distribution_elementwise_grid_stride_kernelIjLi4EZZZNS0_9templates4cuda13random_kernelIPNS_17CUDAGeneratorImplEEEvRNS_18TensorIteratorBaseET_ENKUlvE_clEvENKUlvE1_clEvEUlP25hiprandStatePhilox4_32_10E0_ZNS1_27distribution_nullary_kernelIij15HIP_vector_typeIjLj4EES7_SF_ZZZNS5_IS7_EEvS9_SA_ENKSB_clEvENKSC_clEvEUljE_EEvS9_T2_RKT3_T4_EUlijE_EEvlNS_15PhiloxCudaStateET1_SK_,comdat
	.globl	_ZN2at6native12_GLOBAL__N_143distribution_elementwise_grid_stride_kernelIjLi4EZZZNS0_9templates4cuda13random_kernelIPNS_17CUDAGeneratorImplEEEvRNS_18TensorIteratorBaseET_ENKUlvE_clEvENKUlvE1_clEvEUlP25hiprandStatePhilox4_32_10E0_ZNS1_27distribution_nullary_kernelIij15HIP_vector_typeIjLj4EES7_SF_ZZZNS5_IS7_EEvS9_SA_ENKSB_clEvENKSC_clEvEUljE_EEvS9_T2_RKT3_T4_EUlijE_EEvlNS_15PhiloxCudaStateET1_SK_ ; -- Begin function _ZN2at6native12_GLOBAL__N_143distribution_elementwise_grid_stride_kernelIjLi4EZZZNS0_9templates4cuda13random_kernelIPNS_17CUDAGeneratorImplEEEvRNS_18TensorIteratorBaseET_ENKUlvE_clEvENKUlvE1_clEvEUlP25hiprandStatePhilox4_32_10E0_ZNS1_27distribution_nullary_kernelIij15HIP_vector_typeIjLj4EES7_SF_ZZZNS5_IS7_EEvS9_SA_ENKSB_clEvENKSC_clEvEUljE_EEvS9_T2_RKT3_T4_EUlijE_EEvlNS_15PhiloxCudaStateET1_SK_
	.p2align	8
	.type	_ZN2at6native12_GLOBAL__N_143distribution_elementwise_grid_stride_kernelIjLi4EZZZNS0_9templates4cuda13random_kernelIPNS_17CUDAGeneratorImplEEEvRNS_18TensorIteratorBaseET_ENKUlvE_clEvENKUlvE1_clEvEUlP25hiprandStatePhilox4_32_10E0_ZNS1_27distribution_nullary_kernelIij15HIP_vector_typeIjLj4EES7_SF_ZZZNS5_IS7_EEvS9_SA_ENKSB_clEvENKSC_clEvEUljE_EEvS9_T2_RKT3_T4_EUlijE_EEvlNS_15PhiloxCudaStateET1_SK_,@function
_ZN2at6native12_GLOBAL__N_143distribution_elementwise_grid_stride_kernelIjLi4EZZZNS0_9templates4cuda13random_kernelIPNS_17CUDAGeneratorImplEEEvRNS_18TensorIteratorBaseET_ENKUlvE_clEvENKUlvE1_clEvEUlP25hiprandStatePhilox4_32_10E0_ZNS1_27distribution_nullary_kernelIij15HIP_vector_typeIjLj4EES7_SF_ZZZNS5_IS7_EEvS9_SA_ENKSB_clEvENKSC_clEvEUljE_EEvS9_T2_RKT3_T4_EUlijE_EEvlNS_15PhiloxCudaStateET1_SK_: ; @_ZN2at6native12_GLOBAL__N_143distribution_elementwise_grid_stride_kernelIjLi4EZZZNS0_9templates4cuda13random_kernelIPNS_17CUDAGeneratorImplEEEvRNS_18TensorIteratorBaseET_ENKUlvE_clEvENKUlvE1_clEvEUlP25hiprandStatePhilox4_32_10E0_ZNS1_27distribution_nullary_kernelIij15HIP_vector_typeIjLj4EES7_SF_ZZZNS5_IS7_EEvS9_SA_ENKSB_clEvENKSC_clEvEUljE_EEvS9_T2_RKT3_T4_EUlijE_EEvlNS_15PhiloxCudaStateET1_SK_
; %bb.0:
	s_load_dword s7, s[4:5], 0x20
	s_load_dwordx2 s[10:11], s[4:5], 0x10
	s_load_dwordx4 s[0:3], s[4:5], 0x0
	s_mov_b32 s8, 0
	s_waitcnt lgkmcnt(0)
	s_bitcmp0_b32 s7, 0
	v_pk_mov_b32 v[2:3], s[10:11], s[10:11] op_sel:[0,1]
	v_pk_mov_b32 v[14:15], s[2:3], s[2:3] op_sel:[0,1]
	s_cbranch_scc1 .LBB78_2
; %bb.1:
	v_pk_mov_b32 v[2:3], s[10:11], s[10:11] op_sel:[0,1]
	flat_load_dwordx2 v[2:3], v[2:3]
	v_pk_mov_b32 v[4:5], s[2:3], s[2:3] op_sel:[0,1]
	flat_load_dwordx2 v[14:15], v[4:5]
	s_load_dwordx2 s[2:3], s[4:5], 0x18
	s_waitcnt lgkmcnt(0)
	v_mov_b32_e32 v1, s3
	s_waitcnt vmcnt(0)
	v_add_co_u32_e32 v2, vcc, s2, v2
	v_addc_co_u32_e32 v3, vcc, v3, v1, vcc
.LBB78_2:
	s_load_dword s2, s[4:5], 0x4c
	s_load_dword s10, s[4:5], 0x40
	s_waitcnt lgkmcnt(0)
	s_and_b32 s7, s2, 0xffff
	s_add_u32 s11, s0, -1
	s_mul_i32 s12, s10, s7
	s_addc_u32 s9, s1, -1
	s_lshl_b32 s13, s12, 2
	s_cmp_lg_u64 s[8:9], 0
	s_mov_b64 s[2:3], -1
	s_cbranch_scc0 .LBB78_27
; %bb.3:
	v_cvt_f32_u32_e32 v1, s13
	v_cvt_f32_ubyte0_e32 v4, 0
	s_sub_u32 s8, 0, s13
	s_subb_u32 s14, 0, 0
	v_madmk_f32 v1, v4, 0x4f800000, v1
	v_rcp_f32_e32 v1, v1
	v_mul_f32_e32 v1, 0x5f7ffffc, v1
	v_mul_f32_e32 v4, 0x2f800000, v1
	v_trunc_f32_e32 v4, v4
	v_madmk_f32 v1, v4, 0xcf800000, v1
	v_cvt_u32_f32_e32 v4, v4
	v_cvt_u32_f32_e32 v1, v1
	v_readfirstlane_b32 s15, v4
	v_readfirstlane_b32 s16, v1
	s_mul_i32 s17, s8, s15
	s_mul_hi_u32 s19, s8, s16
	s_mul_i32 s18, s14, s16
	s_add_i32 s17, s19, s17
	s_add_i32 s17, s17, s18
	s_mul_i32 s20, s8, s16
	s_mul_hi_u32 s18, s16, s17
	s_mul_i32 s19, s16, s17
	s_mul_hi_u32 s16, s16, s20
	s_add_u32 s16, s16, s19
	s_addc_u32 s18, 0, s18
	s_mul_hi_u32 s21, s15, s20
	s_mul_i32 s20, s15, s20
	s_add_u32 s16, s16, s20
	s_mul_hi_u32 s19, s15, s17
	s_addc_u32 s16, s18, s21
	s_addc_u32 s18, s19, 0
	s_mul_i32 s17, s15, s17
	s_add_u32 s16, s16, s17
	s_addc_u32 s17, 0, s18
	v_add_co_u32_e32 v1, vcc, s16, v1
	s_cmp_lg_u64 vcc, 0
	s_addc_u32 s15, s15, s17
	v_readfirstlane_b32 s17, v1
	s_mul_i32 s16, s8, s15
	s_mul_hi_u32 s18, s8, s17
	s_add_i32 s16, s18, s16
	s_mul_i32 s14, s14, s17
	s_add_i32 s16, s16, s14
	s_mul_i32 s8, s8, s17
	s_mul_hi_u32 s18, s15, s8
	s_mul_i32 s19, s15, s8
	s_mul_i32 s21, s17, s16
	s_mul_hi_u32 s8, s17, s8
	s_mul_hi_u32 s20, s17, s16
	s_add_u32 s8, s8, s21
	s_addc_u32 s17, 0, s20
	s_add_u32 s8, s8, s19
	s_mul_hi_u32 s14, s15, s16
	s_addc_u32 s8, s17, s18
	s_addc_u32 s14, s14, 0
	s_mul_i32 s16, s15, s16
	s_add_u32 s8, s8, s16
	s_addc_u32 s14, 0, s14
	v_add_co_u32_e32 v1, vcc, s8, v1
	s_cmp_lg_u64 vcc, 0
	s_addc_u32 s16, s15, s14
	s_ashr_i32 s14, s9, 31
	s_add_u32 s8, s11, s14
	s_mov_b32 s15, s14
	s_addc_u32 s9, s9, s14
	s_xor_b64 s[8:9], s[8:9], s[14:15]
	v_readfirstlane_b32 s19, v1
	s_mul_i32 s18, s8, s16
	s_mul_hi_u32 s20, s8, s19
	s_mul_hi_u32 s17, s8, s16
	s_add_u32 s18, s20, s18
	s_addc_u32 s17, 0, s17
	s_mul_hi_u32 s21, s9, s19
	s_mul_i32 s19, s9, s19
	s_add_u32 s18, s18, s19
	s_mul_hi_u32 s20, s9, s16
	s_addc_u32 s17, s17, s21
	s_addc_u32 s18, s20, 0
	s_mul_i32 s16, s9, s16
	s_add_u32 s16, s17, s16
	s_addc_u32 s17, 0, s18
	s_add_u32 s18, s16, 1
	s_addc_u32 s19, s17, 0
	s_add_u32 s20, s16, 2
	s_mul_i32 s22, s13, s17
	s_mul_hi_u32 s23, s13, s16
	s_addc_u32 s21, s17, 0
	s_add_i32 s23, s23, s22
	s_mul_i32 s22, s13, s16
	v_mov_b32_e32 v1, s22
	v_sub_co_u32_e32 v1, vcc, s8, v1
	s_cmp_lg_u64 vcc, 0
	s_subb_u32 s8, s9, s23
	v_subrev_co_u32_e32 v4, vcc, s13, v1
	s_cmp_lg_u64 vcc, 0
	s_subb_u32 s9, s8, 0
	v_readfirstlane_b32 s22, v4
	s_cmp_ge_u32 s22, s13
	s_cselect_b32 s22, -1, 0
	s_cmp_eq_u32 s9, 0
	s_cselect_b32 s9, s22, -1
	s_cmp_lg_u32 s9, 0
	s_cselect_b32 s9, s21, s19
	v_readfirstlane_b32 s19, v1
	s_cselect_b32 s18, s20, s18
	s_cmp_ge_u32 s19, s13
	s_cselect_b32 s19, -1, 0
	s_cmp_eq_u32 s8, 0
	s_cselect_b32 s8, s19, -1
	s_cmp_lg_u32 s8, 0
	s_cselect_b32 s9, s9, s17
	s_cselect_b32 s8, s18, s16
	s_xor_b64 s[8:9], s[8:9], s[14:15]
	s_sub_u32 s8, s8, s14
	s_subb_u32 s9, s9, s14
	s_cbranch_execnz .LBB78_5
.LBB78_4:
	v_cvt_f32_u32_e32 v1, s13
	s_sub_i32 s2, 0, s13
	s_mov_b32 s9, 0
	v_rcp_iflag_f32_e32 v1, v1
	v_mul_f32_e32 v1, 0x4f7ffffe, v1
	v_cvt_u32_f32_e32 v1, v1
	v_readfirstlane_b32 s3, v1
	s_mul_i32 s2, s2, s3
	s_mul_hi_u32 s2, s3, s2
	s_add_i32 s3, s3, s2
	s_mul_hi_u32 s2, s11, s3
	s_mul_i32 s8, s2, s13
	s_sub_i32 s8, s11, s8
	s_add_i32 s3, s2, 1
	s_sub_i32 s11, s8, s13
	s_cmp_ge_u32 s8, s13
	s_cselect_b32 s2, s3, s2
	s_cselect_b32 s8, s11, s8
	s_add_i32 s3, s2, 1
	s_cmp_ge_u32 s8, s13
	s_cselect_b32 s8, s3, s2
.LBB78_5:
	v_mov_b32_e32 v1, 0
	v_mov_b32_e32 v4, s6
	v_mad_u64_u32 v[16:17], s[2:3], s7, v4, v[0:1]
	s_add_u32 s2, s8, 1
	s_addc_u32 s3, s9, 0
	s_mul_hi_u32 s8, s10, s7
	s_mul_i32 s3, s12, s3
	s_mul_hi_u32 s9, s12, s2
	s_add_i32 s3, s9, s3
	s_mul_i32 s8, s8, s2
	s_add_i32 s3, s3, s8
	s_mul_i32 s2, s12, s2
	s_lshl_b64 s[2:3], s[2:3], 2
	v_cmp_gt_i64_e32 vcc, s[2:3], v[16:17]
	s_and_saveexec_b64 s[8:9], vcc
	s_cbranch_execz .LBB78_26
; %bb.6:
	s_load_dwordx2 s[8:9], s[4:5], 0x30
	s_load_dword s11, s[4:5], 0x38
	s_mov_b32 s4, 0x5384540f
	v_mov_b32_e32 v4, v15
	v_add_co_u32_e32 v22, vcc, s4, v14
	s_mov_b32 s4, 0x646e171e
	v_add_co_u32_e32 v23, vcc, s4, v4
	s_mov_b32 s4, 0x1715609d
	;; [unrolled: 2-line block ×6, first 2 shown]
	v_alignbit_b32 v29, v3, v2, 2
	s_mov_b32 s15, 0xd2511f53
	v_add_co_u32_e32 v28, vcc, s4, v14
	v_mad_u64_u32 v[6:7], s[4:5], v29, s15, 0
	v_xor_b32_e32 v1, v7, v15
	v_xor_b32_e32 v1, v1, v17
	s_mov_b32 s16, 0xcd9e8d57
	v_mad_u64_u32 v[8:9], s[4:5], v1, s16, 0
	v_xor_b32_e32 v1, v28, v9
	v_mad_u64_u32 v[10:11], s[4:5], v16, s16, 0
	v_and_b32_e32 v18, 3, v2
	v_xor_b32_e32 v1, v1, v10
	v_xor_b32_e32 v2, v14, v11
	v_lshrrev_b32_e32 v30, 2, v3
	v_mad_u64_u32 v[12:13], s[4:5], v1, s15, 0
	v_xor_b32_e32 v2, v2, v30
	v_xor_b32_e32 v1, v27, v13
	v_mad_u64_u32 v[2:3], s[4:5], v2, s15, 0
	v_xor_b32_e32 v1, v1, v2
	v_mad_u64_u32 v[10:11], s[4:5], v1, s16, 0
	s_mov_b32 s4, 0xbb67ae85
	v_add_co_u32_e32 v31, vcc, s4, v4
	v_xor_b32_e32 v2, v31, v3
	v_xor_b32_e32 v2, v2, v6
	v_xor_b32_e32 v1, v26, v11
	v_mad_u64_u32 v[2:3], s[4:5], v2, s16, 0
	v_xor_b32_e32 v1, v1, v2
	v_mad_u64_u32 v[6:7], s[4:5], v1, s15, 0
	s_mov_b32 s4, 0x3c6ef372
	v_add_co_u32_e32 v32, vcc, s4, v14
	v_xor_b32_e32 v2, v32, v3
	;; [unrolled: 8-line block ×6, first 2 shown]
	v_add_co_u32_e32 v21, vcc, 0xdb3d7428, v4
	v_xor_b32_e32 v2, v2, v8
	v_xor_b32_e32 v1, v21, v7
	v_mad_u64_u32 v[2:3], s[4:5], v2, s15, 0
	v_xor_b32_e32 v1, v1, v2
	v_mad_u64_u32 v[8:9], s[4:5], v1, s16, 0
	s_mov_b32 s4, 0x1fd5c5a3
	v_add_co_u32_e32 v37, vcc, s4, v4
	v_xor_b32_e32 v1, v37, v3
	v_xor_b32_e32 v1, v1, v12
	v_mad_u64_u32 v[2:3], s[4:5], v1, s16, 0
	s_mov_b32 s4, 0xf1bbcdc8
	v_add_u32_e32 v19, 0x8ff34781, v14
	v_xor_b32_e32 v1, v9, v2
	v_add_co_u32_e32 v38, vcc, s4, v14
	v_xor_b32_e32 v2, v19, v1
	v_xor_b32_e32 v1, v38, v3
	;; [unrolled: 1-line block ×3, first 2 shown]
	v_mad_u64_u32 v[10:11], s[4:5], v1, s15, 0
	v_add_u32_e32 v20, 0x96a522ad, v15
	v_xor_b32_e32 v1, v11, v6
	s_mul_i32 s4, s6, s7
	v_xor_b32_e32 v4, v20, v1
	v_add_u32_e32 v1, s4, v0
	s_waitcnt lgkmcnt(0)
	s_mul_i32 s4, s10, s11
	s_mul_i32 s4, s4, s7
	s_lshl_b32 s21, s4, 2
	s_mul_i32 s4, s10, 3
	s_add_i32 s4, s6, s4
	s_mul_i32 s4, s4, s7
	v_mul_lo_u32 v39, s11, v1
	v_add_u32_e32 v1, s4, v0
	s_lshl_b32 s4, s10, 1
	s_add_i32 s4, s6, s4
	s_mul_i32 s4, s4, s7
	v_mul_lo_u32 v40, s11, v1
	v_add_u32_e32 v1, s4, v0
	s_add_i32 s4, s6, s10
	s_mul_i32 s4, s4, s7
	s_mov_b32 s14, 0
	v_add_u32_e32 v0, s4, v0
	v_mov_b32_e32 v3, v8
	v_mov_b32_e32 v5, v10
	s_lshl_b32 s17, s12, 1
	s_mov_b32 s18, s14
	s_mul_i32 s19, s12, 3
	s_mov_b32 s20, s14
	v_mul_lo_u32 v41, s11, v1
	v_mul_lo_u32 v42, s11, v0
	s_mov_b64 s[4:5], 0
	s_mov_b32 s22, s14
	v_mov_b32_e32 v43, v16
	v_mov_b32_e32 v44, v17
	s_branch .LBB78_8
.LBB78_7:                               ;   in Loop: Header=BB78_8 Depth=1
	s_or_b64 exec, exec, s[6:7]
	v_add_co_u32_e32 v16, vcc, s13, v16
	v_addc_co_u32_e32 v17, vcc, 0, v17, vcc
	v_mov_b32_e32 v9, v0
	s_add_i32 s22, s22, s21
	v_cmp_le_i64_e32 vcc, s[2:3], v[16:17]
	v_pk_mov_b32 v[2:3], v[6:7], v[6:7] op_sel:[0,1]
	s_or_b64 s[4:5], vcc, s[4:5]
	v_pk_mov_b32 v[4:5], v[8:9], v[8:9] op_sel:[0,1]
	s_barrier
	s_andn2_b64 exec, exec, s[4:5]
	s_cbranch_execz .LBB78_26
.LBB78_8:                               ; =>This Inner Loop Header: Depth=1
	v_add_co_u32_e32 v29, vcc, 1, v29
	v_cndmask_b32_e64 v0, 0, 1, vcc
	v_addc_co_u32_e32 v30, vcc, 0, v30, vcc
	v_cmp_eq_u32_e32 vcc, 0, v30
	v_cndmask_b32_e32 v0, 0, v0, vcc
	v_add_u32_e32 v43, v0, v43
	v_cmp_eq_u32_e32 vcc, 0, v43
	v_cndmask_b32_e32 v0, 0, v0, vcc
	v_add_u32_e32 v44, v0, v44
	v_mad_u64_u32 v[0:1], s[6:7], v29, s15, 0
	v_mad_u64_u32 v[6:7], s[6:7], v43, s16, 0
	v_xor_b32_e32 v1, v1, v15
	v_xor_b32_e32 v7, v7, v14
	v_xor_b32_e32 v1, v44, v1
	v_xor_b32_e32 v7, v30, v7
	v_mad_u64_u32 v[10:11], s[6:7], v1, s16, 0
	v_mad_u64_u32 v[8:9], s[6:7], v7, s15, 0
	v_xor_b32_e32 v1, v28, v11
	v_xor_b32_e32 v1, v1, v6
	v_xor_b32_e32 v6, v31, v9
	v_xor_b32_e32 v6, v6, v0
	;; [unrolled: 6-line block ×10, first 2 shown]
	v_mov_b32_e32 v7, v12
	v_mov_b32_e32 v8, v13
	v_cmp_lt_i32_e32 vcc, 1, v18
	s_and_saveexec_b64 s[6:7], vcc
	s_xor_b64 s[6:7], exec, s[6:7]
	s_cbranch_execnz .LBB78_18
; %bb.9:                                ;   in Loop: Header=BB78_8 Depth=1
	s_andn2_saveexec_b64 s[6:7], s[6:7]
	s_cbranch_execnz .LBB78_23
.LBB78_10:                              ;   in Loop: Header=BB78_8 Depth=1
	s_or_b64 exec, exec, s[6:7]
	v_cmp_gt_i64_e32 vcc, s[0:1], v[16:17]
	s_and_saveexec_b64 s[6:7], vcc
	s_cbranch_execz .LBB78_12
.LBB78_11:                              ;   in Loop: Header=BB78_8 Depth=1
	v_add_u32_e32 v1, s22, v39
	v_ashrrev_i32_e32 v9, 31, v1
	v_mov_b32_e32 v11, s9
	v_add_co_u32_e32 v10, vcc, s8, v1
	v_addc_co_u32_e32 v11, vcc, v11, v9, vcc
	v_and_b32_e32 v1, 0x7fffffff, v2
	global_store_dword v[10:11], v1, off
.LBB78_12:                              ;   in Loop: Header=BB78_8 Depth=1
	s_or_b64 exec, exec, s[6:7]
	v_mov_b32_e32 v1, s14
	v_add_co_u32_e32 v10, vcc, s12, v16
	v_addc_co_u32_e32 v11, vcc, v1, v17, vcc
	v_cmp_gt_i64_e32 vcc, s[0:1], v[10:11]
	s_and_saveexec_b64 s[6:7], vcc
	s_cbranch_execz .LBB78_14
; %bb.13:                               ;   in Loop: Header=BB78_8 Depth=1
	v_add_u32_e32 v1, s22, v42
	v_ashrrev_i32_e32 v2, 31, v1
	v_mov_b32_e32 v9, s9
	v_add_co_u32_e32 v10, vcc, s8, v1
	v_addc_co_u32_e32 v11, vcc, v9, v2, vcc
	v_and_b32_e32 v1, 0x7fffffff, v3
	global_store_dword v[10:11], v1, off
.LBB78_14:                              ;   in Loop: Header=BB78_8 Depth=1
	s_or_b64 exec, exec, s[6:7]
	v_mov_b32_e32 v1, s18
	v_add_co_u32_e32 v2, vcc, s17, v16
	v_addc_co_u32_e32 v3, vcc, v1, v17, vcc
	v_cmp_gt_i64_e32 vcc, s[0:1], v[2:3]
	s_and_saveexec_b64 s[6:7], vcc
	s_cbranch_execz .LBB78_16
; %bb.15:                               ;   in Loop: Header=BB78_8 Depth=1
	v_add_u32_e32 v1, s22, v41
	v_ashrrev_i32_e32 v3, 31, v1
	v_mov_b32_e32 v9, s9
	v_add_co_u32_e32 v2, vcc, s8, v1
	v_addc_co_u32_e32 v3, vcc, v9, v3, vcc
	v_and_b32_e32 v1, 0x7fffffff, v4
	global_store_dword v[2:3], v1, off
.LBB78_16:                              ;   in Loop: Header=BB78_8 Depth=1
	s_or_b64 exec, exec, s[6:7]
	v_mov_b32_e32 v1, s20
	v_add_co_u32_e32 v2, vcc, s19, v16
	v_addc_co_u32_e32 v3, vcc, v1, v17, vcc
	v_cmp_gt_i64_e32 vcc, s[0:1], v[2:3]
	s_and_saveexec_b64 s[6:7], vcc
	s_cbranch_execz .LBB78_7
; %bb.17:                               ;   in Loop: Header=BB78_8 Depth=1
	v_add_u32_e32 v1, s22, v40
	v_ashrrev_i32_e32 v3, 31, v1
	v_mov_b32_e32 v4, s9
	v_add_co_u32_e32 v2, vcc, s8, v1
	v_addc_co_u32_e32 v3, vcc, v4, v3, vcc
	v_and_b32_e32 v1, 0x7fffffff, v5
	global_store_dword v[2:3], v1, off
	s_branch .LBB78_7
.LBB78_18:                              ;   in Loop: Header=BB78_8 Depth=1
	v_cmp_lt_i32_e32 vcc, 2, v18
	s_and_saveexec_b64 s[10:11], vcc
	s_xor_b64 s[10:11], exec, s[10:11]
; %bb.19:                               ;   in Loop: Header=BB78_8 Depth=1
	v_mov_b32_e32 v10, v5
	v_mov_b32_e32 v11, v6
	v_pk_mov_b32 v[2:3], v[10:11], v[10:11] op_sel:[0,1]
	v_pk_mov_b32 v[4:5], v[12:13], v[12:13] op_sel:[0,1]
                                        ; implicit-def: $vgpr12_vgpr13
; %bb.20:                               ;   in Loop: Header=BB78_8 Depth=1
	s_andn2_saveexec_b64 s[10:11], s[10:11]
; %bb.21:                               ;   in Loop: Header=BB78_8 Depth=1
	v_mov_b32_e32 v2, v4
	v_mov_b32_e32 v3, v5
	;; [unrolled: 1-line block ×4, first 2 shown]
; %bb.22:                               ;   in Loop: Header=BB78_8 Depth=1
	s_or_b64 exec, exec, s[10:11]
	s_andn2_saveexec_b64 s[6:7], s[6:7]
	s_cbranch_execz .LBB78_10
.LBB78_23:                              ;   in Loop: Header=BB78_8 Depth=1
	v_cmp_eq_u32_e32 vcc, 1, v18
	s_and_saveexec_b64 s[10:11], vcc
; %bb.24:                               ;   in Loop: Header=BB78_8 Depth=1
	v_mov_b32_e32 v2, v3
	v_mov_b32_e32 v3, v4
	;; [unrolled: 1-line block ×4, first 2 shown]
; %bb.25:                               ;   in Loop: Header=BB78_8 Depth=1
	s_or_b64 exec, exec, s[10:11]
	s_or_b64 exec, exec, s[6:7]
	v_cmp_gt_i64_e32 vcc, s[0:1], v[16:17]
	s_and_saveexec_b64 s[6:7], vcc
	s_cbranch_execnz .LBB78_11
	s_branch .LBB78_12
.LBB78_26:
	s_endpgm
.LBB78_27:
                                        ; implicit-def: $sgpr8_sgpr9
	s_andn2_b64 vcc, exec, s[2:3]
	s_cbranch_vccz .LBB78_4
	s_branch .LBB78_5
	.section	.rodata,"a",@progbits
	.p2align	6, 0x0
	.amdhsa_kernel _ZN2at6native12_GLOBAL__N_143distribution_elementwise_grid_stride_kernelIjLi4EZZZNS0_9templates4cuda13random_kernelIPNS_17CUDAGeneratorImplEEEvRNS_18TensorIteratorBaseET_ENKUlvE_clEvENKUlvE1_clEvEUlP25hiprandStatePhilox4_32_10E0_ZNS1_27distribution_nullary_kernelIij15HIP_vector_typeIjLj4EES7_SF_ZZZNS5_IS7_EEvS9_SA_ENKSB_clEvENKSC_clEvEUljE_EEvS9_T2_RKT3_T4_EUlijE_EEvlNS_15PhiloxCudaStateET1_SK_
		.amdhsa_group_segment_fixed_size 0
		.amdhsa_private_segment_fixed_size 0
		.amdhsa_kernarg_size 320
		.amdhsa_user_sgpr_count 6
		.amdhsa_user_sgpr_private_segment_buffer 1
		.amdhsa_user_sgpr_dispatch_ptr 0
		.amdhsa_user_sgpr_queue_ptr 0
		.amdhsa_user_sgpr_kernarg_segment_ptr 1
		.amdhsa_user_sgpr_dispatch_id 0
		.amdhsa_user_sgpr_flat_scratch_init 0
		.amdhsa_user_sgpr_kernarg_preload_length 0
		.amdhsa_user_sgpr_kernarg_preload_offset 0
		.amdhsa_user_sgpr_private_segment_size 0
		.amdhsa_uses_dynamic_stack 0
		.amdhsa_system_sgpr_private_segment_wavefront_offset 0
		.amdhsa_system_sgpr_workgroup_id_x 1
		.amdhsa_system_sgpr_workgroup_id_y 0
		.amdhsa_system_sgpr_workgroup_id_z 0
		.amdhsa_system_sgpr_workgroup_info 0
		.amdhsa_system_vgpr_workitem_id 0
		.amdhsa_next_free_vgpr 48
		.amdhsa_next_free_sgpr 24
		.amdhsa_accum_offset 48
		.amdhsa_reserve_vcc 1
		.amdhsa_reserve_flat_scratch 0
		.amdhsa_float_round_mode_32 0
		.amdhsa_float_round_mode_16_64 0
		.amdhsa_float_denorm_mode_32 3
		.amdhsa_float_denorm_mode_16_64 3
		.amdhsa_dx10_clamp 1
		.amdhsa_ieee_mode 1
		.amdhsa_fp16_overflow 0
		.amdhsa_tg_split 0
		.amdhsa_exception_fp_ieee_invalid_op 0
		.amdhsa_exception_fp_denorm_src 0
		.amdhsa_exception_fp_ieee_div_zero 0
		.amdhsa_exception_fp_ieee_overflow 0
		.amdhsa_exception_fp_ieee_underflow 0
		.amdhsa_exception_fp_ieee_inexact 0
		.amdhsa_exception_int_div_zero 0
	.end_amdhsa_kernel
	.section	.text._ZN2at6native12_GLOBAL__N_143distribution_elementwise_grid_stride_kernelIjLi4EZZZNS0_9templates4cuda13random_kernelIPNS_17CUDAGeneratorImplEEEvRNS_18TensorIteratorBaseET_ENKUlvE_clEvENKUlvE1_clEvEUlP25hiprandStatePhilox4_32_10E0_ZNS1_27distribution_nullary_kernelIij15HIP_vector_typeIjLj4EES7_SF_ZZZNS5_IS7_EEvS9_SA_ENKSB_clEvENKSC_clEvEUljE_EEvS9_T2_RKT3_T4_EUlijE_EEvlNS_15PhiloxCudaStateET1_SK_,"axG",@progbits,_ZN2at6native12_GLOBAL__N_143distribution_elementwise_grid_stride_kernelIjLi4EZZZNS0_9templates4cuda13random_kernelIPNS_17CUDAGeneratorImplEEEvRNS_18TensorIteratorBaseET_ENKUlvE_clEvENKUlvE1_clEvEUlP25hiprandStatePhilox4_32_10E0_ZNS1_27distribution_nullary_kernelIij15HIP_vector_typeIjLj4EES7_SF_ZZZNS5_IS7_EEvS9_SA_ENKSB_clEvENKSC_clEvEUljE_EEvS9_T2_RKT3_T4_EUlijE_EEvlNS_15PhiloxCudaStateET1_SK_,comdat
.Lfunc_end78:
	.size	_ZN2at6native12_GLOBAL__N_143distribution_elementwise_grid_stride_kernelIjLi4EZZZNS0_9templates4cuda13random_kernelIPNS_17CUDAGeneratorImplEEEvRNS_18TensorIteratorBaseET_ENKUlvE_clEvENKUlvE1_clEvEUlP25hiprandStatePhilox4_32_10E0_ZNS1_27distribution_nullary_kernelIij15HIP_vector_typeIjLj4EES7_SF_ZZZNS5_IS7_EEvS9_SA_ENKSB_clEvENKSC_clEvEUljE_EEvS9_T2_RKT3_T4_EUlijE_EEvlNS_15PhiloxCudaStateET1_SK_, .Lfunc_end78-_ZN2at6native12_GLOBAL__N_143distribution_elementwise_grid_stride_kernelIjLi4EZZZNS0_9templates4cuda13random_kernelIPNS_17CUDAGeneratorImplEEEvRNS_18TensorIteratorBaseET_ENKUlvE_clEvENKUlvE1_clEvEUlP25hiprandStatePhilox4_32_10E0_ZNS1_27distribution_nullary_kernelIij15HIP_vector_typeIjLj4EES7_SF_ZZZNS5_IS7_EEvS9_SA_ENKSB_clEvENKSC_clEvEUljE_EEvS9_T2_RKT3_T4_EUlijE_EEvlNS_15PhiloxCudaStateET1_SK_
                                        ; -- End function
	.section	.AMDGPU.csdata,"",@progbits
; Kernel info:
; codeLenInByte = 2368
; NumSgprs: 28
; NumVgprs: 48
; NumAgprs: 0
; TotalNumVgprs: 48
; ScratchSize: 0
; MemoryBound: 0
; FloatMode: 240
; IeeeMode: 1
; LDSByteSize: 0 bytes/workgroup (compile time only)
; SGPRBlocks: 3
; VGPRBlocks: 5
; NumSGPRsForWavesPerEU: 28
; NumVGPRsForWavesPerEU: 48
; AccumOffset: 48
; Occupancy: 8
; WaveLimiterHint : 0
; COMPUTE_PGM_RSRC2:SCRATCH_EN: 0
; COMPUTE_PGM_RSRC2:USER_SGPR: 6
; COMPUTE_PGM_RSRC2:TRAP_HANDLER: 0
; COMPUTE_PGM_RSRC2:TGID_X_EN: 1
; COMPUTE_PGM_RSRC2:TGID_Y_EN: 0
; COMPUTE_PGM_RSRC2:TGID_Z_EN: 0
; COMPUTE_PGM_RSRC2:TIDIG_COMP_CNT: 0
; COMPUTE_PGM_RSRC3_GFX90A:ACCUM_OFFSET: 11
; COMPUTE_PGM_RSRC3_GFX90A:TG_SPLIT: 0
	.section	.text._ZN2at6native12_GLOBAL__N_143distribution_elementwise_grid_stride_kernelIjLi4EZZZNS0_9templates4cuda13random_kernelIPNS_17CUDAGeneratorImplEEEvRNS_18TensorIteratorBaseET_ENKUlvE_clEvENKUlvE1_clEvEUlP25hiprandStatePhilox4_32_10E0_ZNS1_27distribution_nullary_kernelIij15HIP_vector_typeIjLj4EES7_SF_ZZZNS5_IS7_EEvS9_SA_ENKSB_clEvENKSC_clEvEUljE_EEvS9_T2_RKT3_T4_EUlijE0_EEvlNS_15PhiloxCudaStateET1_SK_,"axG",@progbits,_ZN2at6native12_GLOBAL__N_143distribution_elementwise_grid_stride_kernelIjLi4EZZZNS0_9templates4cuda13random_kernelIPNS_17CUDAGeneratorImplEEEvRNS_18TensorIteratorBaseET_ENKUlvE_clEvENKUlvE1_clEvEUlP25hiprandStatePhilox4_32_10E0_ZNS1_27distribution_nullary_kernelIij15HIP_vector_typeIjLj4EES7_SF_ZZZNS5_IS7_EEvS9_SA_ENKSB_clEvENKSC_clEvEUljE_EEvS9_T2_RKT3_T4_EUlijE0_EEvlNS_15PhiloxCudaStateET1_SK_,comdat
	.globl	_ZN2at6native12_GLOBAL__N_143distribution_elementwise_grid_stride_kernelIjLi4EZZZNS0_9templates4cuda13random_kernelIPNS_17CUDAGeneratorImplEEEvRNS_18TensorIteratorBaseET_ENKUlvE_clEvENKUlvE1_clEvEUlP25hiprandStatePhilox4_32_10E0_ZNS1_27distribution_nullary_kernelIij15HIP_vector_typeIjLj4EES7_SF_ZZZNS5_IS7_EEvS9_SA_ENKSB_clEvENKSC_clEvEUljE_EEvS9_T2_RKT3_T4_EUlijE0_EEvlNS_15PhiloxCudaStateET1_SK_ ; -- Begin function _ZN2at6native12_GLOBAL__N_143distribution_elementwise_grid_stride_kernelIjLi4EZZZNS0_9templates4cuda13random_kernelIPNS_17CUDAGeneratorImplEEEvRNS_18TensorIteratorBaseET_ENKUlvE_clEvENKUlvE1_clEvEUlP25hiprandStatePhilox4_32_10E0_ZNS1_27distribution_nullary_kernelIij15HIP_vector_typeIjLj4EES7_SF_ZZZNS5_IS7_EEvS9_SA_ENKSB_clEvENKSC_clEvEUljE_EEvS9_T2_RKT3_T4_EUlijE0_EEvlNS_15PhiloxCudaStateET1_SK_
	.p2align	8
	.type	_ZN2at6native12_GLOBAL__N_143distribution_elementwise_grid_stride_kernelIjLi4EZZZNS0_9templates4cuda13random_kernelIPNS_17CUDAGeneratorImplEEEvRNS_18TensorIteratorBaseET_ENKUlvE_clEvENKUlvE1_clEvEUlP25hiprandStatePhilox4_32_10E0_ZNS1_27distribution_nullary_kernelIij15HIP_vector_typeIjLj4EES7_SF_ZZZNS5_IS7_EEvS9_SA_ENKSB_clEvENKSC_clEvEUljE_EEvS9_T2_RKT3_T4_EUlijE0_EEvlNS_15PhiloxCudaStateET1_SK_,@function
_ZN2at6native12_GLOBAL__N_143distribution_elementwise_grid_stride_kernelIjLi4EZZZNS0_9templates4cuda13random_kernelIPNS_17CUDAGeneratorImplEEEvRNS_18TensorIteratorBaseET_ENKUlvE_clEvENKUlvE1_clEvEUlP25hiprandStatePhilox4_32_10E0_ZNS1_27distribution_nullary_kernelIij15HIP_vector_typeIjLj4EES7_SF_ZZZNS5_IS7_EEvS9_SA_ENKSB_clEvENKSC_clEvEUljE_EEvS9_T2_RKT3_T4_EUlijE0_EEvlNS_15PhiloxCudaStateET1_SK_: ; @_ZN2at6native12_GLOBAL__N_143distribution_elementwise_grid_stride_kernelIjLi4EZZZNS0_9templates4cuda13random_kernelIPNS_17CUDAGeneratorImplEEEvRNS_18TensorIteratorBaseET_ENKUlvE_clEvENKUlvE1_clEvEUlP25hiprandStatePhilox4_32_10E0_ZNS1_27distribution_nullary_kernelIij15HIP_vector_typeIjLj4EES7_SF_ZZZNS5_IS7_EEvS9_SA_ENKSB_clEvENKSC_clEvEUljE_EEvS9_T2_RKT3_T4_EUlijE0_EEvlNS_15PhiloxCudaStateET1_SK_
; %bb.0:
	s_load_dword s2, s[4:5], 0x20
	s_load_dwordx2 s[0:1], s[4:5], 0x10
	s_load_dwordx4 s[24:27], s[4:5], 0x0
	s_waitcnt lgkmcnt(0)
	s_bitcmp0_b32 s2, 0
	s_mov_b32 s2, 0
	v_pk_mov_b32 v[2:3], s[0:1], s[0:1] op_sel:[0,1]
	v_pk_mov_b32 v[12:13], s[26:27], s[26:27] op_sel:[0,1]
	s_cbranch_scc1 .LBB79_2
; %bb.1:
	v_pk_mov_b32 v[2:3], s[0:1], s[0:1] op_sel:[0,1]
	flat_load_dwordx2 v[2:3], v[2:3]
	v_pk_mov_b32 v[4:5], s[26:27], s[26:27] op_sel:[0,1]
	flat_load_dwordx2 v[12:13], v[4:5]
	s_load_dwordx2 s[0:1], s[4:5], 0x18
	s_waitcnt lgkmcnt(0)
	v_mov_b32_e32 v1, s1
	s_waitcnt vmcnt(0)
	v_add_co_u32_e32 v2, vcc, s0, v2
	v_addc_co_u32_e32 v3, vcc, v3, v1, vcc
.LBB79_2:
	s_load_dword s0, s[4:5], 0x154
	s_load_dword s7, s[4:5], 0x148
	s_waitcnt lgkmcnt(0)
	s_and_b32 s8, s0, 0xffff
	s_add_u32 s9, s24, -1
	s_mul_i32 s33, s7, s8
	s_addc_u32 s3, s25, -1
	s_lshl_b32 s58, s33, 2
	s_cmp_lg_u64 s[2:3], 0
	s_mov_b64 s[0:1], -1
	s_cbranch_scc0 .LBB79_83
; %bb.3:
	v_cvt_f32_u32_e32 v1, s58
	v_cvt_f32_ubyte0_e32 v4, 0
	s_sub_u32 s2, 0, s58
	s_subb_u32 s10, 0, 0
	v_madmk_f32 v1, v4, 0x4f800000, v1
	v_rcp_f32_e32 v1, v1
	v_mul_f32_e32 v1, 0x5f7ffffc, v1
	v_mul_f32_e32 v4, 0x2f800000, v1
	v_trunc_f32_e32 v4, v4
	v_madmk_f32 v1, v4, 0xcf800000, v1
	v_cvt_u32_f32_e32 v4, v4
	v_cvt_u32_f32_e32 v1, v1
	v_readfirstlane_b32 s11, v4
	v_readfirstlane_b32 s12, v1
	s_mul_i32 s13, s2, s11
	s_mul_hi_u32 s15, s2, s12
	s_mul_i32 s14, s10, s12
	s_add_i32 s13, s15, s13
	s_add_i32 s13, s13, s14
	s_mul_i32 s16, s2, s12
	s_mul_hi_u32 s14, s12, s13
	s_mul_i32 s15, s12, s13
	s_mul_hi_u32 s12, s12, s16
	s_add_u32 s12, s12, s15
	s_addc_u32 s14, 0, s14
	s_mul_hi_u32 s17, s11, s16
	s_mul_i32 s16, s11, s16
	s_add_u32 s12, s12, s16
	s_mul_hi_u32 s15, s11, s13
	s_addc_u32 s12, s14, s17
	s_addc_u32 s14, s15, 0
	s_mul_i32 s13, s11, s13
	s_add_u32 s12, s12, s13
	s_addc_u32 s13, 0, s14
	v_add_co_u32_e32 v1, vcc, s12, v1
	s_cmp_lg_u64 vcc, 0
	s_addc_u32 s11, s11, s13
	v_readfirstlane_b32 s13, v1
	s_mul_i32 s12, s2, s11
	s_mul_hi_u32 s14, s2, s13
	s_add_i32 s12, s14, s12
	s_mul_i32 s10, s10, s13
	s_add_i32 s12, s12, s10
	s_mul_i32 s2, s2, s13
	s_mul_hi_u32 s14, s11, s2
	s_mul_i32 s15, s11, s2
	s_mul_i32 s17, s13, s12
	s_mul_hi_u32 s2, s13, s2
	s_mul_hi_u32 s16, s13, s12
	s_add_u32 s2, s2, s17
	s_addc_u32 s13, 0, s16
	s_add_u32 s2, s2, s15
	s_mul_hi_u32 s10, s11, s12
	s_addc_u32 s2, s13, s14
	s_addc_u32 s10, s10, 0
	s_mul_i32 s12, s11, s12
	s_add_u32 s2, s2, s12
	s_addc_u32 s10, 0, s10
	v_add_co_u32_e32 v1, vcc, s2, v1
	s_cmp_lg_u64 vcc, 0
	s_addc_u32 s12, s11, s10
	s_ashr_i32 s10, s3, 31
	s_add_u32 s2, s9, s10
	s_mov_b32 s11, s10
	s_addc_u32 s3, s3, s10
	s_xor_b64 s[2:3], s[2:3], s[10:11]
	v_readfirstlane_b32 s15, v1
	s_mul_i32 s14, s2, s12
	s_mul_hi_u32 s16, s2, s15
	s_mul_hi_u32 s13, s2, s12
	s_add_u32 s14, s16, s14
	s_addc_u32 s13, 0, s13
	s_mul_hi_u32 s17, s3, s15
	s_mul_i32 s15, s3, s15
	s_add_u32 s14, s14, s15
	s_mul_hi_u32 s16, s3, s12
	s_addc_u32 s13, s13, s17
	s_addc_u32 s14, s16, 0
	s_mul_i32 s12, s3, s12
	s_add_u32 s12, s13, s12
	s_addc_u32 s13, 0, s14
	s_add_u32 s14, s12, 1
	s_addc_u32 s15, s13, 0
	s_add_u32 s16, s12, 2
	s_mul_i32 s18, s58, s13
	s_mul_hi_u32 s19, s58, s12
	s_addc_u32 s17, s13, 0
	s_add_i32 s19, s19, s18
	s_mul_i32 s18, s58, s12
	v_mov_b32_e32 v1, s18
	v_sub_co_u32_e32 v1, vcc, s2, v1
	s_cmp_lg_u64 vcc, 0
	s_subb_u32 s2, s3, s19
	v_subrev_co_u32_e32 v4, vcc, s58, v1
	s_cmp_lg_u64 vcc, 0
	s_subb_u32 s3, s2, 0
	v_readfirstlane_b32 s18, v4
	s_cmp_ge_u32 s18, s58
	s_cselect_b32 s18, -1, 0
	s_cmp_eq_u32 s3, 0
	s_cselect_b32 s3, s18, -1
	s_cmp_lg_u32 s3, 0
	s_cselect_b32 s3, s17, s15
	v_readfirstlane_b32 s15, v1
	s_cselect_b32 s14, s16, s14
	s_cmp_ge_u32 s15, s58
	s_cselect_b32 s15, -1, 0
	s_cmp_eq_u32 s2, 0
	s_cselect_b32 s2, s15, -1
	s_cmp_lg_u32 s2, 0
	s_cselect_b32 s3, s3, s13
	s_cselect_b32 s2, s14, s12
	s_xor_b64 s[2:3], s[2:3], s[10:11]
	s_sub_u32 s2, s2, s10
	s_subb_u32 s3, s3, s10
	s_cbranch_execnz .LBB79_5
.LBB79_4:
	v_cvt_f32_u32_e32 v1, s58
	s_sub_i32 s0, 0, s58
	s_mov_b32 s3, 0
	v_rcp_iflag_f32_e32 v1, v1
	v_mul_f32_e32 v1, 0x4f7ffffe, v1
	v_cvt_u32_f32_e32 v1, v1
	v_readfirstlane_b32 s1, v1
	s_mul_i32 s0, s0, s1
	s_mul_hi_u32 s0, s1, s0
	s_add_i32 s1, s1, s0
	s_mul_hi_u32 s0, s9, s1
	s_mul_i32 s2, s0, s58
	s_sub_i32 s2, s9, s2
	s_add_i32 s1, s0, 1
	s_sub_i32 s9, s2, s58
	s_cmp_ge_u32 s2, s58
	s_cselect_b32 s0, s1, s0
	s_cselect_b32 s2, s9, s2
	s_add_i32 s1, s0, 1
	s_cmp_ge_u32 s2, s58
	s_cselect_b32 s2, s1, s0
.LBB79_5:
	v_mov_b32_e32 v1, 0
	v_mov_b32_e32 v4, s6
	v_mad_u64_u32 v[14:15], s[0:1], s8, v4, v[0:1]
	s_add_u32 s0, s2, 1
	s_addc_u32 s1, s3, 0
	s_mul_hi_u32 s2, s7, s8
	s_mul_i32 s1, s33, s1
	s_mul_hi_u32 s3, s33, s0
	s_add_i32 s1, s3, s1
	s_mul_i32 s2, s2, s0
	s_add_i32 s1, s1, s2
	s_mul_i32 s0, s33, s0
	s_lshl_b64 s[26:27], s[0:1], 2
	v_cmp_gt_i64_e32 vcc, s[26:27], v[14:15]
	s_and_saveexec_b64 s[0:1], vcc
	s_cbranch_execz .LBB79_82
; %bb.6:
	s_mov_b32 s0, 0x5384540f
	v_mov_b32_e32 v0, v13
	v_add_co_u32_e32 v22, vcc, s0, v12
	s_mov_b32 s0, 0x646e171e
	v_add_co_u32_e32 v23, vcc, s0, v0
	s_mov_b32 s0, 0x1715609d
	;; [unrolled: 2-line block ×6, first 2 shown]
	v_alignbit_b32 v29, v3, v2, 2
	s_mov_b32 s60, 0xd2511f53
	v_add_co_u32_e32 v28, vcc, s0, v12
	v_mad_u64_u32 v[4:5], s[0:1], v29, s60, 0
	v_xor_b32_e32 v1, v5, v13
	v_xor_b32_e32 v1, v1, v15
	s_mov_b32 s61, 0xcd9e8d57
	v_mad_u64_u32 v[6:7], s[0:1], v1, s61, 0
	v_xor_b32_e32 v1, v28, v7
	v_mad_u64_u32 v[8:9], s[0:1], v14, s61, 0
	v_and_b32_e32 v18, 3, v2
	v_xor_b32_e32 v1, v1, v8
	v_xor_b32_e32 v2, v12, v9
	v_lshrrev_b32_e32 v30, 2, v3
	v_mad_u64_u32 v[10:11], s[0:1], v1, s60, 0
	v_xor_b32_e32 v2, v2, v30
	v_xor_b32_e32 v1, v27, v11
	v_mad_u64_u32 v[2:3], s[0:1], v2, s60, 0
	v_xor_b32_e32 v1, v1, v2
	v_mad_u64_u32 v[8:9], s[0:1], v1, s61, 0
	s_mov_b32 s0, 0xbb67ae85
	v_add_co_u32_e32 v31, vcc, s0, v0
	v_xor_b32_e32 v2, v31, v3
	v_xor_b32_e32 v2, v2, v4
	v_xor_b32_e32 v1, v26, v9
	v_mad_u64_u32 v[2:3], s[0:1], v2, s61, 0
	v_xor_b32_e32 v1, v1, v2
	v_mad_u64_u32 v[4:5], s[0:1], v1, s60, 0
	s_mov_b32 s0, 0x3c6ef372
	v_add_co_u32_e32 v32, vcc, s0, v12
	v_xor_b32_e32 v2, v32, v3
	;; [unrolled: 8-line block ×6, first 2 shown]
	v_add_co_u32_e32 v21, vcc, 0xdb3d7428, v0
	v_xor_b32_e32 v2, v2, v6
	v_xor_b32_e32 v1, v21, v5
	v_mad_u64_u32 v[2:3], s[0:1], v2, s60, 0
	v_xor_b32_e32 v1, v1, v2
	v_mad_u64_u32 v[6:7], s[0:1], v1, s61, 0
	s_mov_b32 s0, 0x1fd5c5a3
	v_add_co_u32_e32 v37, vcc, s0, v0
	v_xor_b32_e32 v0, v37, v3
	v_xor_b32_e32 v0, v0, v10
	v_mad_u64_u32 v[0:1], s[0:1], v0, s61, 0
	s_mov_b32 s0, 0xf1bbcdc8
	s_load_dwordx8 s[8:15], s[4:5], 0x30
	v_add_co_u32_e32 v38, vcc, s0, v12
	v_xor_b32_e32 v1, v38, v1
	v_xor_b32_e32 v1, v1, v8
	s_add_u32 s34, s4, 48
	v_mad_u64_u32 v[8:9], s[0:1], v1, s60, 0
	s_addc_u32 s35, s5, 0
	s_waitcnt lgkmcnt(0)
	s_add_i32 s0, s8, -1
	s_cmp_gt_u32 s0, 1
	s_cselect_b64 s[36:37], -1, 0
	s_cmp_lg_u32 s8, 0
	s_cselect_b64 s[38:39], -1, 0
	s_add_u32 s40, s4, 0xf4
	s_addc_u32 s41, s5, 0
	s_min_u32 s1, s0, 15
	s_cmp_gt_u32 s8, 1
	s_cselect_b64 s[42:43], -1, 0
	s_add_i32 s1, s1, 1
	s_mov_b32 s8, s13
	s_load_dwordx2 s[44:45], s[4:5], 0xf4
	s_load_dwordx2 s[46:47], s[4:5], 0x138
	s_lshl_b32 s13, s33, 1
	s_and_b32 s64, s1, 3
	s_cmp_lg_u32 s0, 2
	s_cselect_b64 s[48:49], -1, 0
	s_and_b32 s65, s1, 28
	s_mov_b32 s59, 0
	v_add_u32_e32 v19, 0x8ff34781, v12
	v_add_u32_e32 v20, 0x96a522ad, v13
	v_xor_b32_e32 v0, v7, v0
	v_xor_b32_e32 v1, v9, v4
	s_cmp_lg_u32 s64, 0
	v_xor_b32_e32 v0, v19, v0
	v_xor_b32_e32 v2, v20, v1
	v_mov_b32_e32 v1, v6
	v_mov_b32_e32 v3, v8
	s_mov_b32 s15, s59
	s_mul_i32 s62, s33, 3
	s_mov_b32 s63, s59
	s_mov_b64 s[50:51], 0
	s_cselect_b64 s[52:53], -1, 0
	v_mov_b32_e32 v39, v14
	v_mov_b32_e32 v40, v15
	s_branch .LBB79_9
.LBB79_7:                               ;   in Loop: Header=BB79_9 Depth=1
	v_and_b32_e32 v0, 0x7fffffff, v3
	s_waitcnt lgkmcnt(0)
	global_store_dword v8, v0, s[46:47]
.LBB79_8:                               ;   in Loop: Header=BB79_9 Depth=1
	s_or_b64 exec, exec, s[28:29]
	v_add_co_u32_e32 v14, vcc, s58, v14
	v_addc_co_u32_e32 v15, vcc, 0, v15, vcc
	v_mov_b32_e32 v7, v16
	v_cmp_le_i64_e32 vcc, s[26:27], v[14:15]
	v_pk_mov_b32 v[0:1], v[4:5], v[4:5] op_sel:[0,1]
	s_or_b64 s[50:51], vcc, s[50:51]
	v_pk_mov_b32 v[2:3], v[6:7], v[6:7] op_sel:[0,1]
	s_waitcnt lgkmcnt(0)
	s_barrier
	s_andn2_b64 exec, exec, s[50:51]
	s_cbranch_execz .LBB79_82
.LBB79_9:                               ; =>This Loop Header: Depth=1
                                        ;     Child Loop BB79_24 Depth 2
                                        ;     Child Loop BB79_30 Depth 2
	;; [unrolled: 1-line block ×8, first 2 shown]
	v_add_co_u32_e32 v29, vcc, 1, v29
	v_cndmask_b32_e64 v4, 0, 1, vcc
	v_addc_co_u32_e32 v30, vcc, 0, v30, vcc
	v_cmp_eq_u32_e32 vcc, 0, v30
	v_cndmask_b32_e32 v4, 0, v4, vcc
	v_add_u32_e32 v39, v4, v39
	v_cmp_eq_u32_e32 vcc, 0, v39
	v_cndmask_b32_e32 v4, 0, v4, vcc
	v_add_u32_e32 v40, v4, v40
	v_mad_u64_u32 v[4:5], s[0:1], v29, s60, 0
	v_mad_u64_u32 v[6:7], s[0:1], v39, s61, 0
	v_xor_b32_e32 v5, v5, v13
	v_xor_b32_e32 v7, v7, v12
	v_xor_b32_e32 v5, v40, v5
	v_xor_b32_e32 v7, v30, v7
	v_mad_u64_u32 v[10:11], s[0:1], v5, s61, 0
	v_mad_u64_u32 v[8:9], s[0:1], v7, s60, 0
	v_xor_b32_e32 v5, v28, v11
	v_xor_b32_e32 v5, v5, v6
	v_xor_b32_e32 v6, v31, v9
	v_xor_b32_e32 v6, v6, v4
	;; [unrolled: 6-line block ×10, first 2 shown]
	v_mov_b32_e32 v5, v10
	v_mov_b32_e32 v6, v11
	v_cmp_lt_i32_e32 vcc, 1, v18
	s_and_saveexec_b64 s[0:1], vcc
	s_xor_b64 s[0:1], exec, s[0:1]
	s_cbranch_execz .LBB79_15
; %bb.10:                               ;   in Loop: Header=BB79_9 Depth=1
	v_cmp_lt_i32_e32 vcc, 2, v18
	s_and_saveexec_b64 s[2:3], vcc
	s_xor_b64 s[2:3], exec, s[2:3]
; %bb.11:                               ;   in Loop: Header=BB79_9 Depth=1
	v_mov_b32_e32 v8, v3
	v_mov_b32_e32 v9, v4
	v_pk_mov_b32 v[0:1], v[8:9], v[8:9] op_sel:[0,1]
	v_pk_mov_b32 v[2:3], v[10:11], v[10:11] op_sel:[0,1]
                                        ; implicit-def: $vgpr10_vgpr11
; %bb.12:                               ;   in Loop: Header=BB79_9 Depth=1
	s_andn2_saveexec_b64 s[2:3], s[2:3]
; %bb.13:                               ;   in Loop: Header=BB79_9 Depth=1
	v_mov_b32_e32 v0, v2
	v_mov_b32_e32 v1, v3
	;; [unrolled: 1-line block ×4, first 2 shown]
; %bb.14:                               ;   in Loop: Header=BB79_9 Depth=1
	s_or_b64 exec, exec, s[2:3]
.LBB79_15:                              ;   in Loop: Header=BB79_9 Depth=1
	s_andn2_saveexec_b64 s[0:1], s[0:1]
	s_cbranch_execz .LBB79_19
; %bb.16:                               ;   in Loop: Header=BB79_9 Depth=1
	v_cmp_eq_u32_e32 vcc, 1, v18
	s_and_saveexec_b64 s[2:3], vcc
; %bb.17:                               ;   in Loop: Header=BB79_9 Depth=1
	v_mov_b32_e32 v0, v1
	v_mov_b32_e32 v1, v2
	;; [unrolled: 1-line block ×4, first 2 shown]
; %bb.18:                               ;   in Loop: Header=BB79_9 Depth=1
	s_or_b64 exec, exec, s[2:3]
.LBB79_19:                              ;   in Loop: Header=BB79_9 Depth=1
	s_or_b64 exec, exec, s[0:1]
	v_cndmask_b32_e64 v7, 0, 1, s[36:37]
	v_cmp_gt_i64_e32 vcc, s[24:25], v[14:15]
	v_cmp_ne_u32_e64 s[0:1], 1, v7
	s_and_saveexec_b64 s[2:3], vcc
	s_cbranch_execz .LBB79_35
; %bb.20:                               ;   in Loop: Header=BB79_9 Depth=1
	s_and_b64 vcc, exec, s[0:1]
	s_cbranch_vccnz .LBB79_26
; %bb.21:                               ;   in Loop: Header=BB79_9 Depth=1
	s_andn2_b64 vcc, exec, s[38:39]
	s_cbranch_vccnz .LBB79_27
; %bb.22:                               ;   in Loop: Header=BB79_9 Depth=1
	s_mov_b32 s6, 0
	s_andn2_b64 vcc, exec, s[48:49]
	v_mov_b32_e32 v8, 0
	s_cbranch_vccnz .LBB79_28
; %bb.23:                               ;   in Loop: Header=BB79_9 Depth=1
	s_mov_b32 s66, 0
	v_mov_b32_e32 v8, 0
	s_mov_b64 s[54:55], s[34:35]
	s_mov_b64 s[56:57], s[40:41]
	v_mov_b32_e32 v7, v14
.LBB79_24:                              ;   Parent Loop BB79_9 Depth=1
                                        ; =>  This Inner Loop Header: Depth=2
	s_load_dwordx8 s[16:23], s[54:55], 0x4
	s_load_dwordx4 s[4:7], s[54:55], 0x24
	s_load_dwordx4 s[28:31], s[56:57], 0x0
	s_add_u32 s54, s54, 48
	s_addc_u32 s55, s55, 0
	s_waitcnt lgkmcnt(0)
	v_mul_hi_u32 v9, s17, v7
	v_add_u32_e32 v9, v7, v9
	v_lshrrev_b32_e32 v9, s18, v9
	v_mul_lo_u32 v10, v9, s16
	v_mul_hi_u32 v11, s20, v9
	v_sub_u32_e32 v7, v7, v10
	v_add_u32_e32 v10, v9, v11
	v_lshrrev_b32_e32 v10, s21, v10
	v_mul_lo_u32 v11, v10, s19
	v_mul_hi_u32 v17, s23, v10
	v_sub_u32_e32 v9, v9, v11
	v_add_u32_e32 v11, v10, v17
	v_mul_lo_u32 v7, v7, s28
	v_mul_lo_u32 v9, v9, s29
	v_lshrrev_b32_e32 v11, s4, v11
	v_add3_u32 v8, v7, v8, v9
	v_mul_lo_u32 v7, v11, s22
	v_mul_hi_u32 v9, s6, v11
	v_sub_u32_e32 v7, v10, v7
	v_add_u32_e32 v9, v11, v9
	v_mul_lo_u32 v10, v7, s30
	v_lshrrev_b32_e32 v7, s7, v9
	s_add_i32 s66, s66, 4
	v_mul_lo_u32 v9, v7, s5
	s_add_u32 s56, s56, 16
	v_sub_u32_e32 v9, v11, v9
	s_addc_u32 s57, s57, 0
	v_mul_lo_u32 v9, v9, s31
	s_cmp_lg_u32 s65, s66
	v_add3_u32 v8, v10, v8, v9
	s_cbranch_scc1 .LBB79_24
; %bb.25:                               ;   in Loop: Header=BB79_9 Depth=1
	s_mov_b32 s6, s65
	s_andn2_b64 vcc, exec, s[52:53]
	s_cbranch_vccz .LBB79_29
	s_branch .LBB79_31
.LBB79_26:                              ;   in Loop: Header=BB79_9 Depth=1
                                        ; implicit-def: $vgpr8
	s_branch .LBB79_32
.LBB79_27:                              ;   in Loop: Header=BB79_9 Depth=1
	v_mov_b32_e32 v8, 0
	s_branch .LBB79_31
.LBB79_28:                              ;   in Loop: Header=BB79_9 Depth=1
	v_mov_b32_e32 v7, v14
	s_andn2_b64 vcc, exec, s[52:53]
	s_cbranch_vccnz .LBB79_31
.LBB79_29:                              ;   in Loop: Header=BB79_9 Depth=1
	s_lshl_b32 s4, s6, 2
	s_add_u32 s4, s40, s4
	s_addc_u32 s5, s41, 0
	s_mul_i32 s6, s6, 12
	s_add_u32 s6, s34, s6
	s_addc_u32 s7, s35, 0
	s_mov_b32 s16, s64
.LBB79_30:                              ;   Parent Loop BB79_9 Depth=1
                                        ; =>  This Inner Loop Header: Depth=2
	s_load_dwordx2 s[18:19], s[6:7], 0x4
	s_load_dword s17, s[6:7], 0xc
	s_load_dword s20, s[4:5], 0x0
	s_add_u32 s6, s6, 12
	s_addc_u32 s7, s7, 0
	s_waitcnt lgkmcnt(0)
	v_mul_hi_u32 v9, s19, v7
	v_add_u32_e32 v9, v7, v9
	v_lshrrev_b32_e32 v9, s17, v9
	s_add_u32 s4, s4, 4
	v_mul_lo_u32 v10, v9, s18
	s_addc_u32 s5, s5, 0
	s_add_i32 s16, s16, -1
	v_sub_u32_e32 v10, v7, v10
	s_cmp_lg_u32 s16, 0
	v_mov_b32_e32 v7, v9
	v_mad_u64_u32 v[8:9], s[18:19], v10, s20, v[8:9]
	s_cbranch_scc1 .LBB79_30
.LBB79_31:                              ;   in Loop: Header=BB79_9 Depth=1
	s_cbranch_execnz .LBB79_34
.LBB79_32:                              ;   in Loop: Header=BB79_9 Depth=1
	v_mul_hi_u32 v7, v14, s10
	v_add_u32_e32 v7, v7, v14
	v_lshrrev_b32_e32 v7, s11, v7
	v_mul_lo_u32 v8, v7, s9
	v_sub_u32_e32 v8, v14, v8
	s_andn2_b64 vcc, exec, s[42:43]
	s_waitcnt lgkmcnt(0)
	v_mul_lo_u32 v8, v8, s44
	s_cbranch_vccnz .LBB79_34
; %bb.33:                               ;   in Loop: Header=BB79_9 Depth=1
	v_mul_hi_u32 v9, s8, v7
	v_add_u32_e32 v9, v7, v9
	v_lshrrev_b32_e32 v9, s14, v9
	v_mul_lo_u32 v9, v9, s12
	v_sub_u32_e32 v7, v7, v9
	v_mad_u64_u32 v[8:9], s[4:5], v7, s45, v[8:9]
.LBB79_34:                              ;   in Loop: Header=BB79_9 Depth=1
	v_and_b32_e32 v0, 0x7fffffff, v0
	s_waitcnt lgkmcnt(0)
	global_store_dword v8, v0, s[46:47]
.LBB79_35:                              ;   in Loop: Header=BB79_9 Depth=1
	s_or_b64 exec, exec, s[2:3]
	v_mov_b32_e32 v0, s59
	v_add_co_u32_e32 v8, vcc, s33, v14
	v_addc_co_u32_e32 v9, vcc, v15, v0, vcc
	v_cmp_gt_i64_e32 vcc, s[24:25], v[8:9]
	s_and_saveexec_b64 s[2:3], vcc
	s_cbranch_execz .LBB79_51
; %bb.36:                               ;   in Loop: Header=BB79_9 Depth=1
	s_and_b64 vcc, exec, s[0:1]
	s_cbranch_vccnz .LBB79_42
; %bb.37:                               ;   in Loop: Header=BB79_9 Depth=1
	s_andn2_b64 vcc, exec, s[38:39]
	s_cbranch_vccnz .LBB79_43
; %bb.38:                               ;   in Loop: Header=BB79_9 Depth=1
	s_mov_b32 s6, 0
	s_andn2_b64 vcc, exec, s[48:49]
	v_mov_b32_e32 v10, 0
	s_cbranch_vccnz .LBB79_44
; %bb.39:                               ;   in Loop: Header=BB79_9 Depth=1
	s_mov_b32 s66, 0
	v_mov_b32_e32 v10, 0
	s_mov_b64 s[54:55], s[34:35]
	s_mov_b64 s[56:57], s[40:41]
	v_mov_b32_e32 v0, v8
.LBB79_40:                              ;   Parent Loop BB79_9 Depth=1
                                        ; =>  This Inner Loop Header: Depth=2
	s_load_dwordx8 s[16:23], s[54:55], 0x4
	s_load_dwordx4 s[4:7], s[54:55], 0x24
	s_load_dwordx4 s[28:31], s[56:57], 0x0
	s_add_u32 s54, s54, 48
	s_addc_u32 s55, s55, 0
	s_waitcnt lgkmcnt(0)
	v_mul_hi_u32 v7, s17, v0
	v_add_u32_e32 v7, v0, v7
	v_lshrrev_b32_e32 v7, s18, v7
	v_mul_lo_u32 v9, v7, s16
	v_mul_hi_u32 v11, s20, v7
	v_sub_u32_e32 v0, v0, v9
	v_add_u32_e32 v9, v7, v11
	v_lshrrev_b32_e32 v9, s21, v9
	v_mul_lo_u32 v11, v9, s19
	v_mul_hi_u32 v17, s23, v9
	v_sub_u32_e32 v7, v7, v11
	v_add_u32_e32 v11, v9, v17
	v_mul_lo_u32 v0, v0, s28
	v_mul_lo_u32 v7, v7, s29
	v_lshrrev_b32_e32 v11, s4, v11
	v_add3_u32 v7, v0, v10, v7
	v_mul_lo_u32 v0, v11, s22
	v_mul_hi_u32 v10, s6, v11
	v_sub_u32_e32 v0, v9, v0
	v_add_u32_e32 v9, v11, v10
	v_mul_lo_u32 v10, v0, s30
	v_lshrrev_b32_e32 v0, s7, v9
	s_add_i32 s66, s66, 4
	v_mul_lo_u32 v9, v0, s5
	s_add_u32 s56, s56, 16
	v_sub_u32_e32 v9, v11, v9
	s_addc_u32 s57, s57, 0
	v_mul_lo_u32 v9, v9, s31
	s_cmp_eq_u32 s65, s66
	v_add3_u32 v10, v10, v7, v9
	s_cbranch_scc0 .LBB79_40
; %bb.41:                               ;   in Loop: Header=BB79_9 Depth=1
	s_mov_b32 s6, s65
	s_andn2_b64 vcc, exec, s[52:53]
	s_cbranch_vccz .LBB79_45
	s_branch .LBB79_47
.LBB79_42:                              ;   in Loop: Header=BB79_9 Depth=1
                                        ; implicit-def: $vgpr10
	s_branch .LBB79_48
.LBB79_43:                              ;   in Loop: Header=BB79_9 Depth=1
	v_mov_b32_e32 v10, 0
	s_branch .LBB79_47
.LBB79_44:                              ;   in Loop: Header=BB79_9 Depth=1
	v_mov_b32_e32 v0, v8
	s_andn2_b64 vcc, exec, s[52:53]
	s_cbranch_vccnz .LBB79_47
.LBB79_45:                              ;   in Loop: Header=BB79_9 Depth=1
	s_lshl_b32 s4, s6, 2
	s_add_u32 s4, s40, s4
	s_addc_u32 s5, s41, 0
	s_mul_i32 s6, s6, 12
	s_add_u32 s6, s34, s6
	s_addc_u32 s7, s35, 0
	s_mov_b32 s16, s64
.LBB79_46:                              ;   Parent Loop BB79_9 Depth=1
                                        ; =>  This Inner Loop Header: Depth=2
	s_load_dwordx2 s[18:19], s[6:7], 0x4
	s_load_dword s17, s[6:7], 0xc
	s_load_dword s20, s[4:5], 0x0
	s_add_u32 s6, s6, 12
	s_addc_u32 s7, s7, 0
	s_waitcnt lgkmcnt(0)
	v_mul_hi_u32 v7, s19, v0
	v_add_u32_e32 v7, v0, v7
	v_lshrrev_b32_e32 v7, s17, v7
	s_add_u32 s4, s4, 4
	v_mul_lo_u32 v9, v7, s18
	s_addc_u32 s5, s5, 0
	s_add_i32 s16, s16, -1
	v_sub_u32_e32 v9, v0, v9
	s_cmp_lg_u32 s16, 0
	v_mov_b32_e32 v0, v7
	v_mad_u64_u32 v[10:11], s[18:19], v9, s20, v[10:11]
	s_cbranch_scc1 .LBB79_46
.LBB79_47:                              ;   in Loop: Header=BB79_9 Depth=1
	s_cbranch_execnz .LBB79_50
.LBB79_48:                              ;   in Loop: Header=BB79_9 Depth=1
	v_mul_hi_u32 v0, v8, s10
	v_add_u32_e32 v0, v0, v8
	v_lshrrev_b32_e32 v0, s11, v0
	v_mul_lo_u32 v7, v0, s9
	v_sub_u32_e32 v7, v8, v7
	s_andn2_b64 vcc, exec, s[42:43]
	s_waitcnt lgkmcnt(0)
	v_mul_lo_u32 v10, v7, s44
	s_cbranch_vccnz .LBB79_50
; %bb.49:                               ;   in Loop: Header=BB79_9 Depth=1
	v_mul_hi_u32 v7, s8, v0
	v_add_u32_e32 v7, v0, v7
	v_lshrrev_b32_e32 v7, s14, v7
	v_mul_lo_u32 v7, v7, s12
	v_sub_u32_e32 v0, v0, v7
	v_mad_u64_u32 v[10:11], s[4:5], v0, s45, v[10:11]
.LBB79_50:                              ;   in Loop: Header=BB79_9 Depth=1
	v_and_b32_e32 v0, 0x7fffffff, v1
	s_waitcnt lgkmcnt(0)
	global_store_dword v10, v0, s[46:47]
.LBB79_51:                              ;   in Loop: Header=BB79_9 Depth=1
	s_or_b64 exec, exec, s[2:3]
	v_mov_b32_e32 v1, s15
	v_add_co_u32_e32 v0, vcc, s13, v14
	v_addc_co_u32_e32 v1, vcc, v15, v1, vcc
	v_cmp_gt_i64_e32 vcc, s[24:25], v[0:1]
	s_and_saveexec_b64 s[2:3], vcc
	s_cbranch_execz .LBB79_67
; %bb.52:                               ;   in Loop: Header=BB79_9 Depth=1
	s_and_b64 vcc, exec, s[0:1]
	s_cbranch_vccnz .LBB79_58
; %bb.53:                               ;   in Loop: Header=BB79_9 Depth=1
	s_andn2_b64 vcc, exec, s[38:39]
	s_cbranch_vccnz .LBB79_59
; %bb.54:                               ;   in Loop: Header=BB79_9 Depth=1
	s_mov_b32 s6, 0
	s_andn2_b64 vcc, exec, s[48:49]
	v_mov_b32_e32 v8, 0
	s_cbranch_vccnz .LBB79_60
; %bb.55:                               ;   in Loop: Header=BB79_9 Depth=1
	s_mov_b32 s66, 0
	v_mov_b32_e32 v8, 0
	s_mov_b64 s[54:55], s[34:35]
	s_mov_b64 s[56:57], s[40:41]
	v_mov_b32_e32 v1, v0
.LBB79_56:                              ;   Parent Loop BB79_9 Depth=1
                                        ; =>  This Inner Loop Header: Depth=2
	s_load_dwordx8 s[16:23], s[54:55], 0x4
	s_load_dwordx4 s[4:7], s[54:55], 0x24
	s_load_dwordx4 s[28:31], s[56:57], 0x0
	s_add_u32 s54, s54, 48
	s_addc_u32 s55, s55, 0
	s_waitcnt lgkmcnt(0)
	v_mul_hi_u32 v7, s17, v1
	v_add_u32_e32 v7, v1, v7
	v_lshrrev_b32_e32 v7, s18, v7
	v_mul_lo_u32 v9, v7, s16
	v_mul_hi_u32 v10, s20, v7
	v_sub_u32_e32 v1, v1, v9
	v_add_u32_e32 v9, v7, v10
	v_lshrrev_b32_e32 v9, s21, v9
	v_mul_lo_u32 v10, v9, s19
	v_mul_hi_u32 v11, s23, v9
	v_sub_u32_e32 v7, v7, v10
	v_add_u32_e32 v10, v9, v11
	v_mul_lo_u32 v1, v1, s28
	v_mul_lo_u32 v7, v7, s29
	v_lshrrev_b32_e32 v10, s4, v10
	v_add3_u32 v7, v1, v8, v7
	v_mul_lo_u32 v1, v10, s22
	v_mul_hi_u32 v8, s6, v10
	v_sub_u32_e32 v1, v9, v1
	v_add_u32_e32 v8, v10, v8
	v_mul_lo_u32 v9, v1, s30
	v_lshrrev_b32_e32 v1, s7, v8
	s_add_i32 s66, s66, 4
	v_mul_lo_u32 v8, v1, s5
	s_add_u32 s56, s56, 16
	v_sub_u32_e32 v8, v10, v8
	s_addc_u32 s57, s57, 0
	v_mul_lo_u32 v8, v8, s31
	s_cmp_eq_u32 s65, s66
	v_add3_u32 v8, v9, v7, v8
	s_cbranch_scc0 .LBB79_56
; %bb.57:                               ;   in Loop: Header=BB79_9 Depth=1
	s_mov_b32 s6, s65
	s_andn2_b64 vcc, exec, s[52:53]
	s_cbranch_vccz .LBB79_61
	s_branch .LBB79_63
.LBB79_58:                              ;   in Loop: Header=BB79_9 Depth=1
                                        ; implicit-def: $vgpr8
	s_branch .LBB79_64
.LBB79_59:                              ;   in Loop: Header=BB79_9 Depth=1
	v_mov_b32_e32 v8, 0
	s_branch .LBB79_63
.LBB79_60:                              ;   in Loop: Header=BB79_9 Depth=1
	v_mov_b32_e32 v1, v0
	s_andn2_b64 vcc, exec, s[52:53]
	s_cbranch_vccnz .LBB79_63
.LBB79_61:                              ;   in Loop: Header=BB79_9 Depth=1
	s_lshl_b32 s4, s6, 2
	s_add_u32 s4, s40, s4
	s_addc_u32 s5, s41, 0
	s_mul_i32 s6, s6, 12
	s_add_u32 s6, s34, s6
	s_addc_u32 s7, s35, 0
	s_mov_b32 s16, s64
.LBB79_62:                              ;   Parent Loop BB79_9 Depth=1
                                        ; =>  This Inner Loop Header: Depth=2
	s_load_dwordx2 s[18:19], s[6:7], 0x4
	s_load_dword s17, s[6:7], 0xc
	s_load_dword s20, s[4:5], 0x0
	s_add_u32 s6, s6, 12
	s_addc_u32 s7, s7, 0
	s_waitcnt lgkmcnt(0)
	v_mul_hi_u32 v7, s19, v1
	v_add_u32_e32 v7, v1, v7
	v_lshrrev_b32_e32 v7, s17, v7
	s_add_u32 s4, s4, 4
	v_mul_lo_u32 v9, v7, s18
	s_addc_u32 s5, s5, 0
	s_add_i32 s16, s16, -1
	v_sub_u32_e32 v9, v1, v9
	s_cmp_lg_u32 s16, 0
	v_mov_b32_e32 v1, v7
	v_mad_u64_u32 v[8:9], s[18:19], v9, s20, v[8:9]
	s_cbranch_scc1 .LBB79_62
.LBB79_63:                              ;   in Loop: Header=BB79_9 Depth=1
	s_cbranch_execnz .LBB79_66
.LBB79_64:                              ;   in Loop: Header=BB79_9 Depth=1
	v_mul_hi_u32 v1, v0, s10
	v_add_u32_e32 v1, v1, v0
	v_lshrrev_b32_e32 v1, s11, v1
	v_mul_lo_u32 v7, v1, s9
	v_sub_u32_e32 v0, v0, v7
	s_andn2_b64 vcc, exec, s[42:43]
	s_waitcnt lgkmcnt(0)
	v_mul_lo_u32 v8, v0, s44
	s_cbranch_vccnz .LBB79_66
; %bb.65:                               ;   in Loop: Header=BB79_9 Depth=1
	v_mul_hi_u32 v0, s8, v1
	v_add_u32_e32 v0, v1, v0
	v_lshrrev_b32_e32 v0, s14, v0
	v_mul_lo_u32 v0, v0, s12
	v_sub_u32_e32 v0, v1, v0
	v_mad_u64_u32 v[8:9], s[4:5], v0, s45, v[8:9]
.LBB79_66:                              ;   in Loop: Header=BB79_9 Depth=1
	v_and_b32_e32 v0, 0x7fffffff, v2
	s_waitcnt lgkmcnt(0)
	global_store_dword v8, v0, s[46:47]
.LBB79_67:                              ;   in Loop: Header=BB79_9 Depth=1
	s_or_b64 exec, exec, s[2:3]
	v_mov_b32_e32 v1, s63
	v_add_co_u32_e32 v0, vcc, s62, v14
	v_addc_co_u32_e32 v1, vcc, v15, v1, vcc
	v_cmp_gt_i64_e32 vcc, s[24:25], v[0:1]
	s_and_saveexec_b64 s[28:29], vcc
	s_cbranch_execz .LBB79_8
; %bb.68:                               ;   in Loop: Header=BB79_9 Depth=1
	s_and_b64 vcc, exec, s[0:1]
	s_cbranch_vccnz .LBB79_74
; %bb.69:                               ;   in Loop: Header=BB79_9 Depth=1
	s_andn2_b64 vcc, exec, s[38:39]
	s_cbranch_vccnz .LBB79_75
; %bb.70:                               ;   in Loop: Header=BB79_9 Depth=1
	s_mov_b32 s2, 0
	s_andn2_b64 vcc, exec, s[48:49]
	v_mov_b32_e32 v8, 0
	s_cbranch_vccnz .LBB79_76
; %bb.71:                               ;   in Loop: Header=BB79_9 Depth=1
	s_mov_b32 s56, 0
	v_mov_b32_e32 v8, 0
	s_mov_b64 s[30:31], s[34:35]
	s_mov_b64 s[54:55], s[40:41]
	v_mov_b32_e32 v1, v0
.LBB79_72:                              ;   Parent Loop BB79_9 Depth=1
                                        ; =>  This Inner Loop Header: Depth=2
	s_load_dwordx8 s[0:7], s[30:31], 0x4
	s_load_dwordx4 s[16:19], s[30:31], 0x24
	s_load_dwordx4 s[20:23], s[54:55], 0x0
	s_add_u32 s30, s30, 48
	s_addc_u32 s31, s31, 0
	s_waitcnt lgkmcnt(0)
	v_mul_hi_u32 v2, s1, v1
	v_add_u32_e32 v2, v1, v2
	v_lshrrev_b32_e32 v2, s2, v2
	v_mul_lo_u32 v7, v2, s0
	v_mul_hi_u32 v9, s4, v2
	v_sub_u32_e32 v1, v1, v7
	v_add_u32_e32 v7, v2, v9
	v_lshrrev_b32_e32 v7, s5, v7
	v_mul_lo_u32 v9, v7, s3
	v_mul_hi_u32 v10, s7, v7
	v_sub_u32_e32 v2, v2, v9
	v_add_u32_e32 v9, v7, v10
	v_mul_lo_u32 v1, v1, s20
	v_mul_lo_u32 v2, v2, s21
	v_lshrrev_b32_e32 v9, s16, v9
	v_add3_u32 v2, v1, v8, v2
	v_mul_lo_u32 v1, v9, s6
	v_mul_hi_u32 v8, s18, v9
	v_sub_u32_e32 v1, v7, v1
	v_add_u32_e32 v7, v9, v8
	v_mul_lo_u32 v8, v1, s22
	v_lshrrev_b32_e32 v1, s19, v7
	s_add_i32 s56, s56, 4
	v_mul_lo_u32 v7, v1, s17
	s_add_u32 s54, s54, 16
	v_sub_u32_e32 v7, v9, v7
	s_addc_u32 s55, s55, 0
	v_mul_lo_u32 v7, v7, s23
	s_cmp_eq_u32 s65, s56
	v_add3_u32 v8, v8, v2, v7
	s_cbranch_scc0 .LBB79_72
; %bb.73:                               ;   in Loop: Header=BB79_9 Depth=1
	s_mov_b32 s2, s65
	s_andn2_b64 vcc, exec, s[52:53]
	s_cbranch_vccz .LBB79_77
	s_branch .LBB79_79
.LBB79_74:                              ;   in Loop: Header=BB79_9 Depth=1
                                        ; implicit-def: $vgpr8
	s_branch .LBB79_80
.LBB79_75:                              ;   in Loop: Header=BB79_9 Depth=1
	v_mov_b32_e32 v8, 0
	s_branch .LBB79_79
.LBB79_76:                              ;   in Loop: Header=BB79_9 Depth=1
	v_mov_b32_e32 v1, v0
	s_andn2_b64 vcc, exec, s[52:53]
	s_cbranch_vccnz .LBB79_79
.LBB79_77:                              ;   in Loop: Header=BB79_9 Depth=1
	s_lshl_b32 s0, s2, 2
	s_add_u32 s0, s40, s0
	s_addc_u32 s1, s41, 0
	s_mul_i32 s2, s2, 12
	s_add_u32 s2, s34, s2
	s_addc_u32 s3, s35, 0
	s_mov_b32 s4, s64
.LBB79_78:                              ;   Parent Loop BB79_9 Depth=1
                                        ; =>  This Inner Loop Header: Depth=2
	s_load_dwordx2 s[6:7], s[2:3], 0x4
	s_load_dword s5, s[2:3], 0xc
	s_load_dword s16, s[0:1], 0x0
	s_add_u32 s2, s2, 12
	s_addc_u32 s3, s3, 0
	s_waitcnt lgkmcnt(0)
	v_mul_hi_u32 v2, s7, v1
	v_add_u32_e32 v2, v1, v2
	v_lshrrev_b32_e32 v2, s5, v2
	s_add_u32 s0, s0, 4
	v_mul_lo_u32 v7, v2, s6
	s_addc_u32 s1, s1, 0
	s_add_i32 s4, s4, -1
	v_sub_u32_e32 v7, v1, v7
	s_cmp_lg_u32 s4, 0
	v_mov_b32_e32 v1, v2
	v_mad_u64_u32 v[8:9], s[6:7], v7, s16, v[8:9]
	s_cbranch_scc1 .LBB79_78
.LBB79_79:                              ;   in Loop: Header=BB79_9 Depth=1
	s_cbranch_execnz .LBB79_7
.LBB79_80:                              ;   in Loop: Header=BB79_9 Depth=1
	v_mul_hi_u32 v1, v0, s10
	v_add_u32_e32 v1, v1, v0
	v_lshrrev_b32_e32 v1, s11, v1
	v_mul_lo_u32 v2, v1, s9
	v_sub_u32_e32 v0, v0, v2
	s_andn2_b64 vcc, exec, s[42:43]
	s_waitcnt lgkmcnt(0)
	v_mul_lo_u32 v8, v0, s44
	s_cbranch_vccnz .LBB79_7
; %bb.81:                               ;   in Loop: Header=BB79_9 Depth=1
	v_mul_hi_u32 v0, s8, v1
	v_add_u32_e32 v0, v1, v0
	v_lshrrev_b32_e32 v0, s14, v0
	v_mul_lo_u32 v0, v0, s12
	v_sub_u32_e32 v0, v1, v0
	v_mad_u64_u32 v[8:9], s[0:1], v0, s45, v[8:9]
	s_branch .LBB79_7
.LBB79_82:
	s_endpgm
.LBB79_83:
                                        ; implicit-def: $sgpr2_sgpr3
	s_andn2_b64 vcc, exec, s[0:1]
	s_cbranch_vccz .LBB79_4
	s_branch .LBB79_5
	.section	.rodata,"a",@progbits
	.p2align	6, 0x0
	.amdhsa_kernel _ZN2at6native12_GLOBAL__N_143distribution_elementwise_grid_stride_kernelIjLi4EZZZNS0_9templates4cuda13random_kernelIPNS_17CUDAGeneratorImplEEEvRNS_18TensorIteratorBaseET_ENKUlvE_clEvENKUlvE1_clEvEUlP25hiprandStatePhilox4_32_10E0_ZNS1_27distribution_nullary_kernelIij15HIP_vector_typeIjLj4EES7_SF_ZZZNS5_IS7_EEvS9_SA_ENKSB_clEvENKSC_clEvEUljE_EEvS9_T2_RKT3_T4_EUlijE0_EEvlNS_15PhiloxCudaStateET1_SK_
		.amdhsa_group_segment_fixed_size 0
		.amdhsa_private_segment_fixed_size 0
		.amdhsa_kernarg_size 584
		.amdhsa_user_sgpr_count 6
		.amdhsa_user_sgpr_private_segment_buffer 1
		.amdhsa_user_sgpr_dispatch_ptr 0
		.amdhsa_user_sgpr_queue_ptr 0
		.amdhsa_user_sgpr_kernarg_segment_ptr 1
		.amdhsa_user_sgpr_dispatch_id 0
		.amdhsa_user_sgpr_flat_scratch_init 0
		.amdhsa_user_sgpr_kernarg_preload_length 0
		.amdhsa_user_sgpr_kernarg_preload_offset 0
		.amdhsa_user_sgpr_private_segment_size 0
		.amdhsa_uses_dynamic_stack 0
		.amdhsa_system_sgpr_private_segment_wavefront_offset 0
		.amdhsa_system_sgpr_workgroup_id_x 1
		.amdhsa_system_sgpr_workgroup_id_y 0
		.amdhsa_system_sgpr_workgroup_id_z 0
		.amdhsa_system_sgpr_workgroup_info 0
		.amdhsa_system_vgpr_workitem_id 0
		.amdhsa_next_free_vgpr 41
		.amdhsa_next_free_sgpr 67
		.amdhsa_accum_offset 44
		.amdhsa_reserve_vcc 1
		.amdhsa_reserve_flat_scratch 0
		.amdhsa_float_round_mode_32 0
		.amdhsa_float_round_mode_16_64 0
		.amdhsa_float_denorm_mode_32 3
		.amdhsa_float_denorm_mode_16_64 3
		.amdhsa_dx10_clamp 1
		.amdhsa_ieee_mode 1
		.amdhsa_fp16_overflow 0
		.amdhsa_tg_split 0
		.amdhsa_exception_fp_ieee_invalid_op 0
		.amdhsa_exception_fp_denorm_src 0
		.amdhsa_exception_fp_ieee_div_zero 0
		.amdhsa_exception_fp_ieee_overflow 0
		.amdhsa_exception_fp_ieee_underflow 0
		.amdhsa_exception_fp_ieee_inexact 0
		.amdhsa_exception_int_div_zero 0
	.end_amdhsa_kernel
	.section	.text._ZN2at6native12_GLOBAL__N_143distribution_elementwise_grid_stride_kernelIjLi4EZZZNS0_9templates4cuda13random_kernelIPNS_17CUDAGeneratorImplEEEvRNS_18TensorIteratorBaseET_ENKUlvE_clEvENKUlvE1_clEvEUlP25hiprandStatePhilox4_32_10E0_ZNS1_27distribution_nullary_kernelIij15HIP_vector_typeIjLj4EES7_SF_ZZZNS5_IS7_EEvS9_SA_ENKSB_clEvENKSC_clEvEUljE_EEvS9_T2_RKT3_T4_EUlijE0_EEvlNS_15PhiloxCudaStateET1_SK_,"axG",@progbits,_ZN2at6native12_GLOBAL__N_143distribution_elementwise_grid_stride_kernelIjLi4EZZZNS0_9templates4cuda13random_kernelIPNS_17CUDAGeneratorImplEEEvRNS_18TensorIteratorBaseET_ENKUlvE_clEvENKUlvE1_clEvEUlP25hiprandStatePhilox4_32_10E0_ZNS1_27distribution_nullary_kernelIij15HIP_vector_typeIjLj4EES7_SF_ZZZNS5_IS7_EEvS9_SA_ENKSB_clEvENKSC_clEvEUljE_EEvS9_T2_RKT3_T4_EUlijE0_EEvlNS_15PhiloxCudaStateET1_SK_,comdat
.Lfunc_end79:
	.size	_ZN2at6native12_GLOBAL__N_143distribution_elementwise_grid_stride_kernelIjLi4EZZZNS0_9templates4cuda13random_kernelIPNS_17CUDAGeneratorImplEEEvRNS_18TensorIteratorBaseET_ENKUlvE_clEvENKUlvE1_clEvEUlP25hiprandStatePhilox4_32_10E0_ZNS1_27distribution_nullary_kernelIij15HIP_vector_typeIjLj4EES7_SF_ZZZNS5_IS7_EEvS9_SA_ENKSB_clEvENKSC_clEvEUljE_EEvS9_T2_RKT3_T4_EUlijE0_EEvlNS_15PhiloxCudaStateET1_SK_, .Lfunc_end79-_ZN2at6native12_GLOBAL__N_143distribution_elementwise_grid_stride_kernelIjLi4EZZZNS0_9templates4cuda13random_kernelIPNS_17CUDAGeneratorImplEEEvRNS_18TensorIteratorBaseET_ENKUlvE_clEvENKUlvE1_clEvEUlP25hiprandStatePhilox4_32_10E0_ZNS1_27distribution_nullary_kernelIij15HIP_vector_typeIjLj4EES7_SF_ZZZNS5_IS7_EEvS9_SA_ENKSB_clEvENKSC_clEvEUljE_EEvS9_T2_RKT3_T4_EUlijE0_EEvlNS_15PhiloxCudaStateET1_SK_
                                        ; -- End function
	.section	.AMDGPU.csdata,"",@progbits
; Kernel info:
; codeLenInByte = 4364
; NumSgprs: 71
; NumVgprs: 41
; NumAgprs: 0
; TotalNumVgprs: 41
; ScratchSize: 0
; MemoryBound: 0
; FloatMode: 240
; IeeeMode: 1
; LDSByteSize: 0 bytes/workgroup (compile time only)
; SGPRBlocks: 8
; VGPRBlocks: 5
; NumSGPRsForWavesPerEU: 71
; NumVGPRsForWavesPerEU: 41
; AccumOffset: 44
; Occupancy: 8
; WaveLimiterHint : 1
; COMPUTE_PGM_RSRC2:SCRATCH_EN: 0
; COMPUTE_PGM_RSRC2:USER_SGPR: 6
; COMPUTE_PGM_RSRC2:TRAP_HANDLER: 0
; COMPUTE_PGM_RSRC2:TGID_X_EN: 1
; COMPUTE_PGM_RSRC2:TGID_Y_EN: 0
; COMPUTE_PGM_RSRC2:TGID_Z_EN: 0
; COMPUTE_PGM_RSRC2:TIDIG_COMP_CNT: 0
; COMPUTE_PGM_RSRC3_GFX90A:ACCUM_OFFSET: 10
; COMPUTE_PGM_RSRC3_GFX90A:TG_SPLIT: 0
	.section	.text._ZN2at6native12_GLOBAL__N_143distribution_elementwise_grid_stride_kernelImLi2EZZZNS0_9templates4cuda13random_kernelIPNS_17CUDAGeneratorImplEEEvRNS_18TensorIteratorBaseET_ENKUlvE_clEvENKUlvE2_clEvEUlP25hiprandStatePhilox4_32_10E_ZNS1_27distribution_nullary_kernelIlm15HIP_vector_typeIyLj2EES7_SF_ZZZNS5_IS7_EEvS9_SA_ENKSB_clEvENKSC_clEvEUlmE_EEvS9_T2_RKT3_T4_EUlimE_EEvlNS_15PhiloxCudaStateET1_SK_,"axG",@progbits,_ZN2at6native12_GLOBAL__N_143distribution_elementwise_grid_stride_kernelImLi2EZZZNS0_9templates4cuda13random_kernelIPNS_17CUDAGeneratorImplEEEvRNS_18TensorIteratorBaseET_ENKUlvE_clEvENKUlvE2_clEvEUlP25hiprandStatePhilox4_32_10E_ZNS1_27distribution_nullary_kernelIlm15HIP_vector_typeIyLj2EES7_SF_ZZZNS5_IS7_EEvS9_SA_ENKSB_clEvENKSC_clEvEUlmE_EEvS9_T2_RKT3_T4_EUlimE_EEvlNS_15PhiloxCudaStateET1_SK_,comdat
	.globl	_ZN2at6native12_GLOBAL__N_143distribution_elementwise_grid_stride_kernelImLi2EZZZNS0_9templates4cuda13random_kernelIPNS_17CUDAGeneratorImplEEEvRNS_18TensorIteratorBaseET_ENKUlvE_clEvENKUlvE2_clEvEUlP25hiprandStatePhilox4_32_10E_ZNS1_27distribution_nullary_kernelIlm15HIP_vector_typeIyLj2EES7_SF_ZZZNS5_IS7_EEvS9_SA_ENKSB_clEvENKSC_clEvEUlmE_EEvS9_T2_RKT3_T4_EUlimE_EEvlNS_15PhiloxCudaStateET1_SK_ ; -- Begin function _ZN2at6native12_GLOBAL__N_143distribution_elementwise_grid_stride_kernelImLi2EZZZNS0_9templates4cuda13random_kernelIPNS_17CUDAGeneratorImplEEEvRNS_18TensorIteratorBaseET_ENKUlvE_clEvENKUlvE2_clEvEUlP25hiprandStatePhilox4_32_10E_ZNS1_27distribution_nullary_kernelIlm15HIP_vector_typeIyLj2EES7_SF_ZZZNS5_IS7_EEvS9_SA_ENKSB_clEvENKSC_clEvEUlmE_EEvS9_T2_RKT3_T4_EUlimE_EEvlNS_15PhiloxCudaStateET1_SK_
	.p2align	8
	.type	_ZN2at6native12_GLOBAL__N_143distribution_elementwise_grid_stride_kernelImLi2EZZZNS0_9templates4cuda13random_kernelIPNS_17CUDAGeneratorImplEEEvRNS_18TensorIteratorBaseET_ENKUlvE_clEvENKUlvE2_clEvEUlP25hiprandStatePhilox4_32_10E_ZNS1_27distribution_nullary_kernelIlm15HIP_vector_typeIyLj2EES7_SF_ZZZNS5_IS7_EEvS9_SA_ENKSB_clEvENKSC_clEvEUlmE_EEvS9_T2_RKT3_T4_EUlimE_EEvlNS_15PhiloxCudaStateET1_SK_,@function
_ZN2at6native12_GLOBAL__N_143distribution_elementwise_grid_stride_kernelImLi2EZZZNS0_9templates4cuda13random_kernelIPNS_17CUDAGeneratorImplEEEvRNS_18TensorIteratorBaseET_ENKUlvE_clEvENKUlvE2_clEvEUlP25hiprandStatePhilox4_32_10E_ZNS1_27distribution_nullary_kernelIlm15HIP_vector_typeIyLj2EES7_SF_ZZZNS5_IS7_EEvS9_SA_ENKSB_clEvENKSC_clEvEUlmE_EEvS9_T2_RKT3_T4_EUlimE_EEvlNS_15PhiloxCudaStateET1_SK_: ; @_ZN2at6native12_GLOBAL__N_143distribution_elementwise_grid_stride_kernelImLi2EZZZNS0_9templates4cuda13random_kernelIPNS_17CUDAGeneratorImplEEEvRNS_18TensorIteratorBaseET_ENKUlvE_clEvENKUlvE2_clEvEUlP25hiprandStatePhilox4_32_10E_ZNS1_27distribution_nullary_kernelIlm15HIP_vector_typeIyLj2EES7_SF_ZZZNS5_IS7_EEvS9_SA_ENKSB_clEvENKSC_clEvEUlmE_EEvS9_T2_RKT3_T4_EUlimE_EEvlNS_15PhiloxCudaStateET1_SK_
; %bb.0:
	s_load_dword s7, s[4:5], 0x20
	s_load_dwordx2 s[10:11], s[4:5], 0x10
	s_load_dwordx4 s[0:3], s[4:5], 0x0
	s_mov_b32 s8, 0
	s_waitcnt lgkmcnt(0)
	s_bitcmp0_b32 s7, 0
	v_pk_mov_b32 v[2:3], s[10:11], s[10:11] op_sel:[0,1]
	v_pk_mov_b32 v[14:15], s[2:3], s[2:3] op_sel:[0,1]
	s_cbranch_scc1 .LBB80_2
; %bb.1:
	v_pk_mov_b32 v[2:3], s[10:11], s[10:11] op_sel:[0,1]
	flat_load_dwordx2 v[2:3], v[2:3]
	v_pk_mov_b32 v[4:5], s[2:3], s[2:3] op_sel:[0,1]
	flat_load_dwordx2 v[14:15], v[4:5]
	s_load_dwordx2 s[2:3], s[4:5], 0x18
	s_waitcnt lgkmcnt(0)
	v_mov_b32_e32 v1, s3
	s_waitcnt vmcnt(0)
	v_add_co_u32_e32 v2, vcc, s2, v2
	v_addc_co_u32_e32 v3, vcc, v3, v1, vcc
.LBB80_2:
	s_load_dword s2, s[4:5], 0x4c
	s_load_dword s10, s[4:5], 0x40
	s_waitcnt lgkmcnt(0)
	s_and_b32 s7, s2, 0xffff
	s_add_u32 s11, s0, -1
	s_mul_i32 s12, s10, s7
	s_addc_u32 s9, s1, -1
	s_lshl_b32 s13, s12, 1
	s_cmp_lg_u64 s[8:9], 0
	s_mov_b64 s[2:3], -1
	s_cbranch_scc0 .LBB80_23
; %bb.3:
	v_cvt_f32_u32_e32 v1, s13
	v_cvt_f32_ubyte0_e32 v4, 0
	s_sub_u32 s8, 0, s13
	s_subb_u32 s14, 0, 0
	v_madmk_f32 v1, v4, 0x4f800000, v1
	v_rcp_f32_e32 v1, v1
	v_mul_f32_e32 v1, 0x5f7ffffc, v1
	v_mul_f32_e32 v4, 0x2f800000, v1
	v_trunc_f32_e32 v4, v4
	v_madmk_f32 v1, v4, 0xcf800000, v1
	v_cvt_u32_f32_e32 v4, v4
	v_cvt_u32_f32_e32 v1, v1
	v_readfirstlane_b32 s15, v4
	v_readfirstlane_b32 s16, v1
	s_mul_i32 s17, s8, s15
	s_mul_hi_u32 s19, s8, s16
	s_mul_i32 s18, s14, s16
	s_add_i32 s17, s19, s17
	s_add_i32 s17, s17, s18
	s_mul_i32 s20, s8, s16
	s_mul_hi_u32 s18, s16, s17
	s_mul_i32 s19, s16, s17
	s_mul_hi_u32 s16, s16, s20
	s_add_u32 s16, s16, s19
	s_addc_u32 s18, 0, s18
	s_mul_hi_u32 s21, s15, s20
	s_mul_i32 s20, s15, s20
	s_add_u32 s16, s16, s20
	s_mul_hi_u32 s19, s15, s17
	s_addc_u32 s16, s18, s21
	s_addc_u32 s18, s19, 0
	s_mul_i32 s17, s15, s17
	s_add_u32 s16, s16, s17
	s_addc_u32 s17, 0, s18
	v_add_co_u32_e32 v1, vcc, s16, v1
	s_cmp_lg_u64 vcc, 0
	s_addc_u32 s15, s15, s17
	v_readfirstlane_b32 s17, v1
	s_mul_i32 s16, s8, s15
	s_mul_hi_u32 s18, s8, s17
	s_add_i32 s16, s18, s16
	s_mul_i32 s14, s14, s17
	s_add_i32 s16, s16, s14
	s_mul_i32 s8, s8, s17
	s_mul_hi_u32 s18, s15, s8
	s_mul_i32 s19, s15, s8
	s_mul_i32 s21, s17, s16
	s_mul_hi_u32 s8, s17, s8
	s_mul_hi_u32 s20, s17, s16
	s_add_u32 s8, s8, s21
	s_addc_u32 s17, 0, s20
	s_add_u32 s8, s8, s19
	s_mul_hi_u32 s14, s15, s16
	s_addc_u32 s8, s17, s18
	s_addc_u32 s14, s14, 0
	s_mul_i32 s16, s15, s16
	s_add_u32 s8, s8, s16
	s_addc_u32 s14, 0, s14
	v_add_co_u32_e32 v1, vcc, s8, v1
	s_cmp_lg_u64 vcc, 0
	s_addc_u32 s16, s15, s14
	s_ashr_i32 s14, s9, 31
	s_add_u32 s8, s11, s14
	s_mov_b32 s15, s14
	s_addc_u32 s9, s9, s14
	s_xor_b64 s[8:9], s[8:9], s[14:15]
	v_readfirstlane_b32 s19, v1
	s_mul_i32 s18, s8, s16
	s_mul_hi_u32 s20, s8, s19
	s_mul_hi_u32 s17, s8, s16
	s_add_u32 s18, s20, s18
	s_addc_u32 s17, 0, s17
	s_mul_hi_u32 s21, s9, s19
	s_mul_i32 s19, s9, s19
	s_add_u32 s18, s18, s19
	s_mul_hi_u32 s20, s9, s16
	s_addc_u32 s17, s17, s21
	s_addc_u32 s18, s20, 0
	s_mul_i32 s16, s9, s16
	s_add_u32 s16, s17, s16
	s_addc_u32 s17, 0, s18
	s_add_u32 s18, s16, 1
	s_addc_u32 s19, s17, 0
	s_add_u32 s20, s16, 2
	s_mul_i32 s22, s13, s17
	s_mul_hi_u32 s23, s13, s16
	s_addc_u32 s21, s17, 0
	s_add_i32 s23, s23, s22
	s_mul_i32 s22, s13, s16
	v_mov_b32_e32 v1, s22
	v_sub_co_u32_e32 v1, vcc, s8, v1
	s_cmp_lg_u64 vcc, 0
	s_subb_u32 s8, s9, s23
	v_subrev_co_u32_e32 v4, vcc, s13, v1
	s_cmp_lg_u64 vcc, 0
	s_subb_u32 s9, s8, 0
	v_readfirstlane_b32 s22, v4
	s_cmp_ge_u32 s22, s13
	s_cselect_b32 s22, -1, 0
	s_cmp_eq_u32 s9, 0
	s_cselect_b32 s9, s22, -1
	s_cmp_lg_u32 s9, 0
	s_cselect_b32 s9, s21, s19
	v_readfirstlane_b32 s19, v1
	s_cselect_b32 s18, s20, s18
	s_cmp_ge_u32 s19, s13
	s_cselect_b32 s19, -1, 0
	s_cmp_eq_u32 s8, 0
	s_cselect_b32 s8, s19, -1
	s_cmp_lg_u32 s8, 0
	s_cselect_b32 s9, s9, s17
	s_cselect_b32 s8, s18, s16
	s_xor_b64 s[8:9], s[8:9], s[14:15]
	s_sub_u32 s8, s8, s14
	s_subb_u32 s9, s9, s14
	s_cbranch_execnz .LBB80_5
.LBB80_4:
	v_cvt_f32_u32_e32 v1, s13
	s_sub_i32 s2, 0, s13
	s_mov_b32 s9, 0
	v_rcp_iflag_f32_e32 v1, v1
	v_mul_f32_e32 v1, 0x4f7ffffe, v1
	v_cvt_u32_f32_e32 v1, v1
	v_readfirstlane_b32 s3, v1
	s_mul_i32 s2, s2, s3
	s_mul_hi_u32 s2, s3, s2
	s_add_i32 s3, s3, s2
	s_mul_hi_u32 s2, s11, s3
	s_mul_i32 s8, s2, s13
	s_sub_i32 s8, s11, s8
	s_add_i32 s3, s2, 1
	s_sub_i32 s11, s8, s13
	s_cmp_ge_u32 s8, s13
	s_cselect_b32 s2, s3, s2
	s_cselect_b32 s8, s11, s8
	s_add_i32 s3, s2, 1
	s_cmp_ge_u32 s8, s13
	s_cselect_b32 s8, s3, s2
.LBB80_5:
	v_mov_b32_e32 v1, 0
	v_mov_b32_e32 v4, s6
	v_mad_u64_u32 v[16:17], s[2:3], s7, v4, v[0:1]
	s_add_u32 s2, s8, 1
	s_addc_u32 s3, s9, 0
	s_mul_hi_u32 s8, s10, s7
	s_mul_i32 s3, s12, s3
	s_mul_hi_u32 s9, s12, s2
	s_add_i32 s3, s9, s3
	s_mul_i32 s8, s8, s2
	s_add_i32 s3, s3, s8
	s_mul_i32 s2, s12, s2
	s_lshl_b64 s[2:3], s[2:3], 1
	v_cmp_gt_i64_e32 vcc, s[2:3], v[16:17]
	s_and_saveexec_b64 s[8:9], vcc
	s_cbranch_execz .LBB80_22
; %bb.6:
	s_load_dwordx2 s[8:9], s[4:5], 0x30
	s_load_dword s11, s[4:5], 0x38
	s_mov_b32 s4, 0x5384540f
	v_mov_b32_e32 v4, v15
	v_add_co_u32_e32 v22, vcc, s4, v14
	s_mov_b32 s4, 0x646e171e
	v_add_co_u32_e32 v23, vcc, s4, v4
	s_mov_b32 s4, 0x1715609d
	;; [unrolled: 2-line block ×6, first 2 shown]
	v_alignbit_b32 v29, v3, v2, 2
	s_mov_b32 s15, 0xd2511f53
	v_add_co_u32_e32 v28, vcc, s4, v14
	v_mad_u64_u32 v[6:7], s[4:5], v29, s15, 0
	v_xor_b32_e32 v1, v7, v15
	v_xor_b32_e32 v1, v1, v17
	s_mov_b32 s16, 0xcd9e8d57
	v_mad_u64_u32 v[8:9], s[4:5], v1, s16, 0
	v_xor_b32_e32 v1, v28, v9
	v_mad_u64_u32 v[10:11], s[4:5], v16, s16, 0
	v_and_b32_e32 v18, 3, v2
	v_xor_b32_e32 v1, v1, v10
	v_xor_b32_e32 v2, v14, v11
	v_lshrrev_b32_e32 v30, 2, v3
	v_mad_u64_u32 v[12:13], s[4:5], v1, s15, 0
	v_xor_b32_e32 v2, v2, v30
	v_xor_b32_e32 v1, v27, v13
	v_mad_u64_u32 v[2:3], s[4:5], v2, s15, 0
	v_xor_b32_e32 v1, v1, v2
	v_mad_u64_u32 v[10:11], s[4:5], v1, s16, 0
	s_mov_b32 s4, 0xbb67ae85
	v_add_co_u32_e32 v31, vcc, s4, v4
	v_xor_b32_e32 v2, v31, v3
	v_xor_b32_e32 v2, v2, v6
	v_xor_b32_e32 v1, v26, v11
	v_mad_u64_u32 v[2:3], s[4:5], v2, s16, 0
	v_xor_b32_e32 v1, v1, v2
	v_mad_u64_u32 v[6:7], s[4:5], v1, s15, 0
	s_mov_b32 s4, 0x3c6ef372
	v_add_co_u32_e32 v32, vcc, s4, v14
	v_xor_b32_e32 v2, v32, v3
	v_xor_b32_e32 v2, v2, v8
	v_xor_b32_e32 v1, v25, v7
	v_mad_u64_u32 v[2:3], s[4:5], v2, s15, 0
	v_xor_b32_e32 v1, v1, v2
	v_mad_u64_u32 v[8:9], s[4:5], v1, s16, 0
	s_mov_b32 s4, 0x32370b8f
	v_add_co_u32_e32 v33, vcc, s4, v4
	v_xor_b32_e32 v2, v33, v3
	v_xor_b32_e32 v2, v2, v12
	v_xor_b32_e32 v1, v24, v9
	v_mad_u64_u32 v[2:3], s[4:5], v2, s16, 0
	v_xor_b32_e32 v1, v1, v2
	v_mad_u64_u32 v[12:13], s[4:5], v1, s15, 0
	s_mov_b32 s4, 0x78dde6e4
	v_add_co_u32_e32 v34, vcc, s4, v14
	v_xor_b32_e32 v2, v34, v3
	v_xor_b32_e32 v2, v2, v10
	v_xor_b32_e32 v1, v23, v13
	v_mad_u64_u32 v[2:3], s[4:5], v2, s15, 0
	v_xor_b32_e32 v1, v1, v2
	v_mad_u64_u32 v[10:11], s[4:5], v1, s16, 0
	s_mov_b32 s4, 0xa9066899
	v_add_co_u32_e32 v35, vcc, s4, v4
	v_xor_b32_e32 v2, v35, v3
	v_xor_b32_e32 v2, v2, v6
	v_xor_b32_e32 v1, v22, v11
	v_mad_u64_u32 v[2:3], s[4:5], v2, s16, 0
	v_xor_b32_e32 v1, v1, v2
	v_mad_u64_u32 v[6:7], s[4:5], v1, s15, 0
	s_mov_b32 s4, 0xb54cda56
	v_add_co_u32_e32 v36, vcc, s4, v14
	v_xor_b32_e32 v2, v36, v3
	v_add_co_u32_e32 v21, vcc, 0xdb3d7428, v4
	v_xor_b32_e32 v2, v2, v8
	v_xor_b32_e32 v1, v21, v7
	v_mad_u64_u32 v[2:3], s[4:5], v2, s15, 0
	v_xor_b32_e32 v1, v1, v2
	v_mad_u64_u32 v[8:9], s[4:5], v1, s16, 0
	s_mov_b32 s4, 0x1fd5c5a3
	v_add_co_u32_e32 v37, vcc, s4, v4
	v_xor_b32_e32 v1, v37, v3
	v_xor_b32_e32 v1, v1, v12
	v_mad_u64_u32 v[2:3], s[4:5], v1, s16, 0
	s_mov_b32 s4, 0xf1bbcdc8
	v_add_u32_e32 v19, 0x8ff34781, v14
	v_xor_b32_e32 v1, v9, v2
	v_add_co_u32_e32 v38, vcc, s4, v14
	v_xor_b32_e32 v2, v19, v1
	v_xor_b32_e32 v1, v38, v3
	;; [unrolled: 1-line block ×3, first 2 shown]
	v_mad_u64_u32 v[10:11], s[4:5], v1, s15, 0
	v_add_u32_e32 v20, 0x96a522ad, v15
	v_xor_b32_e32 v1, v11, v6
	s_mul_i32 s4, s6, s7
	v_xor_b32_e32 v4, v20, v1
	v_add_u32_e32 v1, s4, v0
	s_waitcnt lgkmcnt(0)
	s_mul_i32 s4, s10, s11
	s_mul_i32 s4, s4, s7
	s_lshl_b32 s17, s4, 1
	s_add_i32 s4, s6, s10
	s_mul_i32 s4, s4, s7
	s_mov_b32 s14, 0
	v_add_u32_e32 v0, s4, v0
	v_mov_b32_e32 v3, v8
	v_mov_b32_e32 v5, v10
	v_mul_lo_u32 v39, s11, v1
	v_mul_lo_u32 v40, s11, v0
	s_mov_b64 s[4:5], 0
	s_mov_b32 s18, s14
	v_mov_b32_e32 v41, v16
	v_mov_b32_e32 v42, v17
	s_branch .LBB80_8
.LBB80_7:                               ;   in Loop: Header=BB80_8 Depth=1
	s_or_b64 exec, exec, s[6:7]
	v_add_co_u32_e32 v16, vcc, s13, v16
	v_addc_co_u32_e32 v17, vcc, 0, v17, vcc
	v_mov_b32_e32 v9, v0
	s_add_i32 s18, s18, s17
	v_cmp_le_i64_e32 vcc, s[2:3], v[16:17]
	v_pk_mov_b32 v[2:3], v[6:7], v[6:7] op_sel:[0,1]
	s_or_b64 s[4:5], vcc, s[4:5]
	v_pk_mov_b32 v[4:5], v[8:9], v[8:9] op_sel:[0,1]
	s_barrier
	s_andn2_b64 exec, exec, s[4:5]
	s_cbranch_execz .LBB80_22
.LBB80_8:                               ; =>This Inner Loop Header: Depth=1
	v_add_co_u32_e32 v29, vcc, 1, v29
	v_cndmask_b32_e64 v0, 0, 1, vcc
	v_addc_co_u32_e32 v30, vcc, 0, v30, vcc
	v_cmp_eq_u32_e32 vcc, 0, v30
	v_cndmask_b32_e32 v0, 0, v0, vcc
	v_add_u32_e32 v41, v0, v41
	v_cmp_eq_u32_e32 vcc, 0, v41
	v_cndmask_b32_e32 v0, 0, v0, vcc
	v_add_u32_e32 v42, v0, v42
	v_mad_u64_u32 v[0:1], s[6:7], v29, s15, 0
	v_mad_u64_u32 v[6:7], s[6:7], v41, s16, 0
	v_xor_b32_e32 v1, v1, v15
	v_xor_b32_e32 v7, v7, v14
	v_xor_b32_e32 v1, v42, v1
	v_xor_b32_e32 v7, v30, v7
	v_mad_u64_u32 v[10:11], s[6:7], v1, s16, 0
	v_mad_u64_u32 v[8:9], s[6:7], v7, s15, 0
	v_xor_b32_e32 v1, v28, v11
	v_xor_b32_e32 v1, v1, v6
	v_xor_b32_e32 v6, v31, v9
	v_xor_b32_e32 v6, v6, v0
	;; [unrolled: 6-line block ×10, first 2 shown]
	v_mov_b32_e32 v7, v12
	v_mov_b32_e32 v8, v13
	v_cmp_lt_i32_e32 vcc, 1, v18
	s_and_saveexec_b64 s[6:7], vcc
	s_xor_b64 s[6:7], exec, s[6:7]
	s_cbranch_execnz .LBB80_14
; %bb.9:                                ;   in Loop: Header=BB80_8 Depth=1
	s_andn2_saveexec_b64 s[6:7], s[6:7]
	s_cbranch_execnz .LBB80_19
.LBB80_10:                              ;   in Loop: Header=BB80_8 Depth=1
	s_or_b64 exec, exec, s[6:7]
	v_cmp_gt_i64_e32 vcc, s[0:1], v[16:17]
	s_and_saveexec_b64 s[6:7], vcc
	s_cbranch_execz .LBB80_12
.LBB80_11:                              ;   in Loop: Header=BB80_8 Depth=1
	v_add_u32_e32 v1, s18, v39
	v_ashrrev_i32_e32 v9, 31, v1
	v_mov_b32_e32 v11, s9
	v_add_co_u32_e32 v10, vcc, s8, v1
	v_addc_co_u32_e32 v11, vcc, v11, v9, vcc
	v_and_b32_e32 v13, 0x7fffffff, v2
	v_mov_b32_e32 v12, v3
	global_store_dwordx2 v[10:11], v[12:13], off
.LBB80_12:                              ;   in Loop: Header=BB80_8 Depth=1
	s_or_b64 exec, exec, s[6:7]
	v_mov_b32_e32 v1, s14
	v_add_co_u32_e32 v2, vcc, s12, v16
	v_addc_co_u32_e32 v3, vcc, v1, v17, vcc
	v_cmp_gt_i64_e32 vcc, s[0:1], v[2:3]
	s_and_saveexec_b64 s[6:7], vcc
	s_cbranch_execz .LBB80_7
; %bb.13:                               ;   in Loop: Header=BB80_8 Depth=1
	v_add_u32_e32 v1, s18, v40
	v_ashrrev_i32_e32 v3, 31, v1
	v_mov_b32_e32 v9, s9
	v_add_co_u32_e32 v2, vcc, s8, v1
	v_addc_co_u32_e32 v3, vcc, v9, v3, vcc
	v_and_b32_e32 v11, 0x7fffffff, v4
	v_mov_b32_e32 v10, v5
	global_store_dwordx2 v[2:3], v[10:11], off
	s_branch .LBB80_7
.LBB80_14:                              ;   in Loop: Header=BB80_8 Depth=1
	v_cmp_lt_i32_e32 vcc, 2, v18
	s_and_saveexec_b64 s[10:11], vcc
	s_xor_b64 s[10:11], exec, s[10:11]
; %bb.15:                               ;   in Loop: Header=BB80_8 Depth=1
	v_mov_b32_e32 v10, v5
	v_mov_b32_e32 v11, v6
	v_pk_mov_b32 v[2:3], v[10:11], v[10:11] op_sel:[0,1]
	v_pk_mov_b32 v[4:5], v[12:13], v[12:13] op_sel:[0,1]
                                        ; implicit-def: $vgpr12_vgpr13
; %bb.16:                               ;   in Loop: Header=BB80_8 Depth=1
	s_andn2_saveexec_b64 s[10:11], s[10:11]
; %bb.17:                               ;   in Loop: Header=BB80_8 Depth=1
	v_mov_b32_e32 v2, v4
	v_mov_b32_e32 v3, v5
	v_mov_b32_e32 v4, v6
	v_mov_b32_e32 v5, v12
; %bb.18:                               ;   in Loop: Header=BB80_8 Depth=1
	s_or_b64 exec, exec, s[10:11]
	s_andn2_saveexec_b64 s[6:7], s[6:7]
	s_cbranch_execz .LBB80_10
.LBB80_19:                              ;   in Loop: Header=BB80_8 Depth=1
	v_cmp_eq_u32_e32 vcc, 1, v18
	s_and_saveexec_b64 s[10:11], vcc
; %bb.20:                               ;   in Loop: Header=BB80_8 Depth=1
	v_mov_b32_e32 v2, v3
	v_mov_b32_e32 v3, v4
	;; [unrolled: 1-line block ×4, first 2 shown]
; %bb.21:                               ;   in Loop: Header=BB80_8 Depth=1
	s_or_b64 exec, exec, s[10:11]
	s_or_b64 exec, exec, s[6:7]
	v_cmp_gt_i64_e32 vcc, s[0:1], v[16:17]
	s_and_saveexec_b64 s[6:7], vcc
	s_cbranch_execnz .LBB80_11
	s_branch .LBB80_12
.LBB80_22:
	s_endpgm
.LBB80_23:
                                        ; implicit-def: $sgpr8_sgpr9
	s_andn2_b64 vcc, exec, s[2:3]
	s_cbranch_vccz .LBB80_4
	s_branch .LBB80_5
	.section	.rodata,"a",@progbits
	.p2align	6, 0x0
	.amdhsa_kernel _ZN2at6native12_GLOBAL__N_143distribution_elementwise_grid_stride_kernelImLi2EZZZNS0_9templates4cuda13random_kernelIPNS_17CUDAGeneratorImplEEEvRNS_18TensorIteratorBaseET_ENKUlvE_clEvENKUlvE2_clEvEUlP25hiprandStatePhilox4_32_10E_ZNS1_27distribution_nullary_kernelIlm15HIP_vector_typeIyLj2EES7_SF_ZZZNS5_IS7_EEvS9_SA_ENKSB_clEvENKSC_clEvEUlmE_EEvS9_T2_RKT3_T4_EUlimE_EEvlNS_15PhiloxCudaStateET1_SK_
		.amdhsa_group_segment_fixed_size 0
		.amdhsa_private_segment_fixed_size 0
		.amdhsa_kernarg_size 320
		.amdhsa_user_sgpr_count 6
		.amdhsa_user_sgpr_private_segment_buffer 1
		.amdhsa_user_sgpr_dispatch_ptr 0
		.amdhsa_user_sgpr_queue_ptr 0
		.amdhsa_user_sgpr_kernarg_segment_ptr 1
		.amdhsa_user_sgpr_dispatch_id 0
		.amdhsa_user_sgpr_flat_scratch_init 0
		.amdhsa_user_sgpr_kernarg_preload_length 0
		.amdhsa_user_sgpr_kernarg_preload_offset 0
		.amdhsa_user_sgpr_private_segment_size 0
		.amdhsa_uses_dynamic_stack 0
		.amdhsa_system_sgpr_private_segment_wavefront_offset 0
		.amdhsa_system_sgpr_workgroup_id_x 1
		.amdhsa_system_sgpr_workgroup_id_y 0
		.amdhsa_system_sgpr_workgroup_id_z 0
		.amdhsa_system_sgpr_workgroup_info 0
		.amdhsa_system_vgpr_workitem_id 0
		.amdhsa_next_free_vgpr 46
		.amdhsa_next_free_sgpr 24
		.amdhsa_accum_offset 48
		.amdhsa_reserve_vcc 1
		.amdhsa_reserve_flat_scratch 0
		.amdhsa_float_round_mode_32 0
		.amdhsa_float_round_mode_16_64 0
		.amdhsa_float_denorm_mode_32 3
		.amdhsa_float_denorm_mode_16_64 3
		.amdhsa_dx10_clamp 1
		.amdhsa_ieee_mode 1
		.amdhsa_fp16_overflow 0
		.amdhsa_tg_split 0
		.amdhsa_exception_fp_ieee_invalid_op 0
		.amdhsa_exception_fp_denorm_src 0
		.amdhsa_exception_fp_ieee_div_zero 0
		.amdhsa_exception_fp_ieee_overflow 0
		.amdhsa_exception_fp_ieee_underflow 0
		.amdhsa_exception_fp_ieee_inexact 0
		.amdhsa_exception_int_div_zero 0
	.end_amdhsa_kernel
	.section	.text._ZN2at6native12_GLOBAL__N_143distribution_elementwise_grid_stride_kernelImLi2EZZZNS0_9templates4cuda13random_kernelIPNS_17CUDAGeneratorImplEEEvRNS_18TensorIteratorBaseET_ENKUlvE_clEvENKUlvE2_clEvEUlP25hiprandStatePhilox4_32_10E_ZNS1_27distribution_nullary_kernelIlm15HIP_vector_typeIyLj2EES7_SF_ZZZNS5_IS7_EEvS9_SA_ENKSB_clEvENKSC_clEvEUlmE_EEvS9_T2_RKT3_T4_EUlimE_EEvlNS_15PhiloxCudaStateET1_SK_,"axG",@progbits,_ZN2at6native12_GLOBAL__N_143distribution_elementwise_grid_stride_kernelImLi2EZZZNS0_9templates4cuda13random_kernelIPNS_17CUDAGeneratorImplEEEvRNS_18TensorIteratorBaseET_ENKUlvE_clEvENKUlvE2_clEvEUlP25hiprandStatePhilox4_32_10E_ZNS1_27distribution_nullary_kernelIlm15HIP_vector_typeIyLj2EES7_SF_ZZZNS5_IS7_EEvS9_SA_ENKSB_clEvENKSC_clEvEUlmE_EEvS9_T2_RKT3_T4_EUlimE_EEvlNS_15PhiloxCudaStateET1_SK_,comdat
.Lfunc_end80:
	.size	_ZN2at6native12_GLOBAL__N_143distribution_elementwise_grid_stride_kernelImLi2EZZZNS0_9templates4cuda13random_kernelIPNS_17CUDAGeneratorImplEEEvRNS_18TensorIteratorBaseET_ENKUlvE_clEvENKUlvE2_clEvEUlP25hiprandStatePhilox4_32_10E_ZNS1_27distribution_nullary_kernelIlm15HIP_vector_typeIyLj2EES7_SF_ZZZNS5_IS7_EEvS9_SA_ENKSB_clEvENKSC_clEvEUlmE_EEvS9_T2_RKT3_T4_EUlimE_EEvlNS_15PhiloxCudaStateET1_SK_, .Lfunc_end80-_ZN2at6native12_GLOBAL__N_143distribution_elementwise_grid_stride_kernelImLi2EZZZNS0_9templates4cuda13random_kernelIPNS_17CUDAGeneratorImplEEEvRNS_18TensorIteratorBaseET_ENKUlvE_clEvENKUlvE2_clEvEUlP25hiprandStatePhilox4_32_10E_ZNS1_27distribution_nullary_kernelIlm15HIP_vector_typeIyLj2EES7_SF_ZZZNS5_IS7_EEvS9_SA_ENKSB_clEvENKSC_clEvEUlmE_EEvS9_T2_RKT3_T4_EUlimE_EEvlNS_15PhiloxCudaStateET1_SK_
                                        ; -- End function
	.section	.AMDGPU.csdata,"",@progbits
; Kernel info:
; codeLenInByte = 2184
; NumSgprs: 28
; NumVgprs: 46
; NumAgprs: 0
; TotalNumVgprs: 46
; ScratchSize: 0
; MemoryBound: 0
; FloatMode: 240
; IeeeMode: 1
; LDSByteSize: 0 bytes/workgroup (compile time only)
; SGPRBlocks: 3
; VGPRBlocks: 5
; NumSGPRsForWavesPerEU: 28
; NumVGPRsForWavesPerEU: 46
; AccumOffset: 48
; Occupancy: 8
; WaveLimiterHint : 0
; COMPUTE_PGM_RSRC2:SCRATCH_EN: 0
; COMPUTE_PGM_RSRC2:USER_SGPR: 6
; COMPUTE_PGM_RSRC2:TRAP_HANDLER: 0
; COMPUTE_PGM_RSRC2:TGID_X_EN: 1
; COMPUTE_PGM_RSRC2:TGID_Y_EN: 0
; COMPUTE_PGM_RSRC2:TGID_Z_EN: 0
; COMPUTE_PGM_RSRC2:TIDIG_COMP_CNT: 0
; COMPUTE_PGM_RSRC3_GFX90A:ACCUM_OFFSET: 11
; COMPUTE_PGM_RSRC3_GFX90A:TG_SPLIT: 0
	.section	.text._ZN2at6native12_GLOBAL__N_143distribution_elementwise_grid_stride_kernelImLi2EZZZNS0_9templates4cuda13random_kernelIPNS_17CUDAGeneratorImplEEEvRNS_18TensorIteratorBaseET_ENKUlvE_clEvENKUlvE2_clEvEUlP25hiprandStatePhilox4_32_10E_ZNS1_27distribution_nullary_kernelIlm15HIP_vector_typeIyLj2EES7_SF_ZZZNS5_IS7_EEvS9_SA_ENKSB_clEvENKSC_clEvEUlmE_EEvS9_T2_RKT3_T4_EUlimE0_EEvlNS_15PhiloxCudaStateET1_SK_,"axG",@progbits,_ZN2at6native12_GLOBAL__N_143distribution_elementwise_grid_stride_kernelImLi2EZZZNS0_9templates4cuda13random_kernelIPNS_17CUDAGeneratorImplEEEvRNS_18TensorIteratorBaseET_ENKUlvE_clEvENKUlvE2_clEvEUlP25hiprandStatePhilox4_32_10E_ZNS1_27distribution_nullary_kernelIlm15HIP_vector_typeIyLj2EES7_SF_ZZZNS5_IS7_EEvS9_SA_ENKSB_clEvENKSC_clEvEUlmE_EEvS9_T2_RKT3_T4_EUlimE0_EEvlNS_15PhiloxCudaStateET1_SK_,comdat
	.globl	_ZN2at6native12_GLOBAL__N_143distribution_elementwise_grid_stride_kernelImLi2EZZZNS0_9templates4cuda13random_kernelIPNS_17CUDAGeneratorImplEEEvRNS_18TensorIteratorBaseET_ENKUlvE_clEvENKUlvE2_clEvEUlP25hiprandStatePhilox4_32_10E_ZNS1_27distribution_nullary_kernelIlm15HIP_vector_typeIyLj2EES7_SF_ZZZNS5_IS7_EEvS9_SA_ENKSB_clEvENKSC_clEvEUlmE_EEvS9_T2_RKT3_T4_EUlimE0_EEvlNS_15PhiloxCudaStateET1_SK_ ; -- Begin function _ZN2at6native12_GLOBAL__N_143distribution_elementwise_grid_stride_kernelImLi2EZZZNS0_9templates4cuda13random_kernelIPNS_17CUDAGeneratorImplEEEvRNS_18TensorIteratorBaseET_ENKUlvE_clEvENKUlvE2_clEvEUlP25hiprandStatePhilox4_32_10E_ZNS1_27distribution_nullary_kernelIlm15HIP_vector_typeIyLj2EES7_SF_ZZZNS5_IS7_EEvS9_SA_ENKSB_clEvENKSC_clEvEUlmE_EEvS9_T2_RKT3_T4_EUlimE0_EEvlNS_15PhiloxCudaStateET1_SK_
	.p2align	8
	.type	_ZN2at6native12_GLOBAL__N_143distribution_elementwise_grid_stride_kernelImLi2EZZZNS0_9templates4cuda13random_kernelIPNS_17CUDAGeneratorImplEEEvRNS_18TensorIteratorBaseET_ENKUlvE_clEvENKUlvE2_clEvEUlP25hiprandStatePhilox4_32_10E_ZNS1_27distribution_nullary_kernelIlm15HIP_vector_typeIyLj2EES7_SF_ZZZNS5_IS7_EEvS9_SA_ENKSB_clEvENKSC_clEvEUlmE_EEvS9_T2_RKT3_T4_EUlimE0_EEvlNS_15PhiloxCudaStateET1_SK_,@function
_ZN2at6native12_GLOBAL__N_143distribution_elementwise_grid_stride_kernelImLi2EZZZNS0_9templates4cuda13random_kernelIPNS_17CUDAGeneratorImplEEEvRNS_18TensorIteratorBaseET_ENKUlvE_clEvENKUlvE2_clEvEUlP25hiprandStatePhilox4_32_10E_ZNS1_27distribution_nullary_kernelIlm15HIP_vector_typeIyLj2EES7_SF_ZZZNS5_IS7_EEvS9_SA_ENKSB_clEvENKSC_clEvEUlmE_EEvS9_T2_RKT3_T4_EUlimE0_EEvlNS_15PhiloxCudaStateET1_SK_: ; @_ZN2at6native12_GLOBAL__N_143distribution_elementwise_grid_stride_kernelImLi2EZZZNS0_9templates4cuda13random_kernelIPNS_17CUDAGeneratorImplEEEvRNS_18TensorIteratorBaseET_ENKUlvE_clEvENKUlvE2_clEvEUlP25hiprandStatePhilox4_32_10E_ZNS1_27distribution_nullary_kernelIlm15HIP_vector_typeIyLj2EES7_SF_ZZZNS5_IS7_EEvS9_SA_ENKSB_clEvENKSC_clEvEUlmE_EEvS9_T2_RKT3_T4_EUlimE0_EEvlNS_15PhiloxCudaStateET1_SK_
; %bb.0:
	s_load_dword s2, s[4:5], 0x20
	s_load_dwordx2 s[0:1], s[4:5], 0x10
	s_load_dwordx4 s[24:27], s[4:5], 0x0
	s_waitcnt lgkmcnt(0)
	s_bitcmp0_b32 s2, 0
	s_mov_b32 s2, 0
	v_pk_mov_b32 v[2:3], s[0:1], s[0:1] op_sel:[0,1]
	v_pk_mov_b32 v[12:13], s[26:27], s[26:27] op_sel:[0,1]
	s_cbranch_scc1 .LBB81_2
; %bb.1:
	v_pk_mov_b32 v[2:3], s[0:1], s[0:1] op_sel:[0,1]
	flat_load_dwordx2 v[2:3], v[2:3]
	v_pk_mov_b32 v[4:5], s[26:27], s[26:27] op_sel:[0,1]
	flat_load_dwordx2 v[12:13], v[4:5]
	s_load_dwordx2 s[0:1], s[4:5], 0x18
	s_waitcnt lgkmcnt(0)
	v_mov_b32_e32 v1, s1
	s_waitcnt vmcnt(0)
	v_add_co_u32_e32 v2, vcc, s0, v2
	v_addc_co_u32_e32 v3, vcc, v3, v1, vcc
.LBB81_2:
	s_load_dword s0, s[4:5], 0x154
	s_load_dword s7, s[4:5], 0x148
	s_waitcnt lgkmcnt(0)
	s_and_b32 s8, s0, 0xffff
	s_add_u32 s9, s24, -1
	s_mul_i32 s33, s7, s8
	s_addc_u32 s3, s25, -1
	s_lshl_b32 s58, s33, 1
	s_cmp_lg_u64 s[2:3], 0
	s_mov_b64 s[0:1], -1
	s_cbranch_scc0 .LBB81_51
; %bb.3:
	v_cvt_f32_u32_e32 v1, s58
	v_cvt_f32_ubyte0_e32 v4, 0
	s_sub_u32 s2, 0, s58
	s_subb_u32 s10, 0, 0
	v_madmk_f32 v1, v4, 0x4f800000, v1
	v_rcp_f32_e32 v1, v1
	v_mul_f32_e32 v1, 0x5f7ffffc, v1
	v_mul_f32_e32 v4, 0x2f800000, v1
	v_trunc_f32_e32 v4, v4
	v_madmk_f32 v1, v4, 0xcf800000, v1
	v_cvt_u32_f32_e32 v4, v4
	v_cvt_u32_f32_e32 v1, v1
	v_readfirstlane_b32 s11, v4
	v_readfirstlane_b32 s12, v1
	s_mul_i32 s13, s2, s11
	s_mul_hi_u32 s15, s2, s12
	s_mul_i32 s14, s10, s12
	s_add_i32 s13, s15, s13
	s_add_i32 s13, s13, s14
	s_mul_i32 s16, s2, s12
	s_mul_hi_u32 s14, s12, s13
	s_mul_i32 s15, s12, s13
	s_mul_hi_u32 s12, s12, s16
	s_add_u32 s12, s12, s15
	s_addc_u32 s14, 0, s14
	s_mul_hi_u32 s17, s11, s16
	s_mul_i32 s16, s11, s16
	s_add_u32 s12, s12, s16
	s_mul_hi_u32 s15, s11, s13
	s_addc_u32 s12, s14, s17
	s_addc_u32 s14, s15, 0
	s_mul_i32 s13, s11, s13
	s_add_u32 s12, s12, s13
	s_addc_u32 s13, 0, s14
	v_add_co_u32_e32 v1, vcc, s12, v1
	s_cmp_lg_u64 vcc, 0
	s_addc_u32 s11, s11, s13
	v_readfirstlane_b32 s13, v1
	s_mul_i32 s12, s2, s11
	s_mul_hi_u32 s14, s2, s13
	s_add_i32 s12, s14, s12
	s_mul_i32 s10, s10, s13
	s_add_i32 s12, s12, s10
	s_mul_i32 s2, s2, s13
	s_mul_hi_u32 s14, s11, s2
	s_mul_i32 s15, s11, s2
	s_mul_i32 s17, s13, s12
	s_mul_hi_u32 s2, s13, s2
	s_mul_hi_u32 s16, s13, s12
	s_add_u32 s2, s2, s17
	s_addc_u32 s13, 0, s16
	s_add_u32 s2, s2, s15
	s_mul_hi_u32 s10, s11, s12
	s_addc_u32 s2, s13, s14
	s_addc_u32 s10, s10, 0
	s_mul_i32 s12, s11, s12
	s_add_u32 s2, s2, s12
	s_addc_u32 s10, 0, s10
	v_add_co_u32_e32 v1, vcc, s2, v1
	s_cmp_lg_u64 vcc, 0
	s_addc_u32 s12, s11, s10
	s_ashr_i32 s10, s3, 31
	s_add_u32 s2, s9, s10
	s_mov_b32 s11, s10
	s_addc_u32 s3, s3, s10
	s_xor_b64 s[2:3], s[2:3], s[10:11]
	v_readfirstlane_b32 s15, v1
	s_mul_i32 s14, s2, s12
	s_mul_hi_u32 s16, s2, s15
	s_mul_hi_u32 s13, s2, s12
	s_add_u32 s14, s16, s14
	s_addc_u32 s13, 0, s13
	s_mul_hi_u32 s17, s3, s15
	s_mul_i32 s15, s3, s15
	s_add_u32 s14, s14, s15
	s_mul_hi_u32 s16, s3, s12
	s_addc_u32 s13, s13, s17
	s_addc_u32 s14, s16, 0
	s_mul_i32 s12, s3, s12
	s_add_u32 s12, s13, s12
	s_addc_u32 s13, 0, s14
	s_add_u32 s14, s12, 1
	s_addc_u32 s15, s13, 0
	s_add_u32 s16, s12, 2
	s_mul_i32 s18, s58, s13
	s_mul_hi_u32 s19, s58, s12
	s_addc_u32 s17, s13, 0
	s_add_i32 s19, s19, s18
	s_mul_i32 s18, s58, s12
	v_mov_b32_e32 v1, s18
	v_sub_co_u32_e32 v1, vcc, s2, v1
	s_cmp_lg_u64 vcc, 0
	s_subb_u32 s2, s3, s19
	v_subrev_co_u32_e32 v4, vcc, s58, v1
	s_cmp_lg_u64 vcc, 0
	s_subb_u32 s3, s2, 0
	v_readfirstlane_b32 s18, v4
	s_cmp_ge_u32 s18, s58
	s_cselect_b32 s18, -1, 0
	s_cmp_eq_u32 s3, 0
	s_cselect_b32 s3, s18, -1
	s_cmp_lg_u32 s3, 0
	s_cselect_b32 s3, s17, s15
	v_readfirstlane_b32 s15, v1
	s_cselect_b32 s14, s16, s14
	s_cmp_ge_u32 s15, s58
	s_cselect_b32 s15, -1, 0
	s_cmp_eq_u32 s2, 0
	s_cselect_b32 s2, s15, -1
	s_cmp_lg_u32 s2, 0
	s_cselect_b32 s3, s3, s13
	s_cselect_b32 s2, s14, s12
	s_xor_b64 s[2:3], s[2:3], s[10:11]
	s_sub_u32 s2, s2, s10
	s_subb_u32 s3, s3, s10
	s_cbranch_execnz .LBB81_5
.LBB81_4:
	v_cvt_f32_u32_e32 v1, s58
	s_sub_i32 s0, 0, s58
	s_mov_b32 s3, 0
	v_rcp_iflag_f32_e32 v1, v1
	v_mul_f32_e32 v1, 0x4f7ffffe, v1
	v_cvt_u32_f32_e32 v1, v1
	v_readfirstlane_b32 s1, v1
	s_mul_i32 s0, s0, s1
	s_mul_hi_u32 s0, s1, s0
	s_add_i32 s1, s1, s0
	s_mul_hi_u32 s0, s9, s1
	s_mul_i32 s2, s0, s58
	s_sub_i32 s2, s9, s2
	s_add_i32 s1, s0, 1
	s_sub_i32 s9, s2, s58
	s_cmp_ge_u32 s2, s58
	s_cselect_b32 s0, s1, s0
	s_cselect_b32 s2, s9, s2
	s_add_i32 s1, s0, 1
	s_cmp_ge_u32 s2, s58
	s_cselect_b32 s2, s1, s0
.LBB81_5:
	v_mov_b32_e32 v1, 0
	v_mov_b32_e32 v4, s6
	v_mad_u64_u32 v[14:15], s[0:1], s8, v4, v[0:1]
	s_add_u32 s0, s2, 1
	s_addc_u32 s1, s3, 0
	s_mul_hi_u32 s2, s7, s8
	s_mul_i32 s1, s33, s1
	s_mul_hi_u32 s3, s33, s0
	s_add_i32 s1, s3, s1
	s_mul_i32 s2, s2, s0
	s_add_i32 s1, s1, s2
	s_mul_i32 s0, s33, s0
	s_lshl_b64 s[26:27], s[0:1], 1
	v_cmp_gt_i64_e32 vcc, s[26:27], v[14:15]
	s_and_saveexec_b64 s[0:1], vcc
	s_cbranch_execz .LBB81_50
; %bb.6:
	s_mov_b32 s0, 0x5384540f
	v_mov_b32_e32 v0, v13
	v_add_co_u32_e32 v22, vcc, s0, v12
	s_mov_b32 s0, 0x646e171e
	v_add_co_u32_e32 v23, vcc, s0, v0
	s_mov_b32 s0, 0x1715609d
	;; [unrolled: 2-line block ×6, first 2 shown]
	v_alignbit_b32 v29, v3, v2, 2
	s_mov_b32 s60, 0xd2511f53
	v_add_co_u32_e32 v28, vcc, s0, v12
	v_mad_u64_u32 v[4:5], s[0:1], v29, s60, 0
	v_xor_b32_e32 v1, v5, v13
	v_xor_b32_e32 v1, v1, v15
	s_mov_b32 s61, 0xcd9e8d57
	v_mad_u64_u32 v[6:7], s[0:1], v1, s61, 0
	v_xor_b32_e32 v1, v28, v7
	v_mad_u64_u32 v[8:9], s[0:1], v14, s61, 0
	v_and_b32_e32 v18, 3, v2
	v_xor_b32_e32 v1, v1, v8
	v_xor_b32_e32 v2, v12, v9
	v_lshrrev_b32_e32 v30, 2, v3
	v_mad_u64_u32 v[10:11], s[0:1], v1, s60, 0
	v_xor_b32_e32 v2, v2, v30
	v_xor_b32_e32 v1, v27, v11
	v_mad_u64_u32 v[2:3], s[0:1], v2, s60, 0
	v_xor_b32_e32 v1, v1, v2
	v_mad_u64_u32 v[8:9], s[0:1], v1, s61, 0
	s_mov_b32 s0, 0xbb67ae85
	v_add_co_u32_e32 v31, vcc, s0, v0
	v_xor_b32_e32 v2, v31, v3
	v_xor_b32_e32 v2, v2, v4
	v_xor_b32_e32 v1, v26, v9
	v_mad_u64_u32 v[2:3], s[0:1], v2, s61, 0
	v_xor_b32_e32 v1, v1, v2
	v_mad_u64_u32 v[4:5], s[0:1], v1, s60, 0
	s_mov_b32 s0, 0x3c6ef372
	v_add_co_u32_e32 v32, vcc, s0, v12
	v_xor_b32_e32 v2, v32, v3
	;; [unrolled: 8-line block ×6, first 2 shown]
	v_add_co_u32_e32 v21, vcc, 0xdb3d7428, v0
	v_xor_b32_e32 v2, v2, v6
	v_xor_b32_e32 v1, v21, v5
	v_mad_u64_u32 v[2:3], s[0:1], v2, s60, 0
	v_xor_b32_e32 v1, v1, v2
	v_mad_u64_u32 v[6:7], s[0:1], v1, s61, 0
	s_mov_b32 s0, 0x1fd5c5a3
	v_add_co_u32_e32 v37, vcc, s0, v0
	v_xor_b32_e32 v0, v37, v3
	v_xor_b32_e32 v0, v0, v10
	v_mad_u64_u32 v[0:1], s[0:1], v0, s61, 0
	s_mov_b32 s0, 0xf1bbcdc8
	s_load_dwordx8 s[8:15], s[4:5], 0x30
	v_add_co_u32_e32 v38, vcc, s0, v12
	v_xor_b32_e32 v1, v38, v1
	v_xor_b32_e32 v1, v1, v8
	s_add_u32 s34, s4, 48
	v_mad_u64_u32 v[8:9], s[0:1], v1, s60, 0
	s_addc_u32 s35, s5, 0
	s_waitcnt lgkmcnt(0)
	s_add_i32 s0, s8, -1
	s_cmp_gt_u32 s0, 1
	s_cselect_b64 s[36:37], -1, 0
	s_cmp_lg_u32 s8, 0
	s_cselect_b64 s[38:39], -1, 0
	s_add_u32 s40, s4, 0xf4
	s_addc_u32 s41, s5, 0
	s_min_u32 s1, s0, 15
	s_cmp_gt_u32 s8, 1
	s_cselect_b64 s[42:43], -1, 0
	s_add_i32 s1, s1, 1
	s_mov_b32 s8, s13
	s_load_dwordx2 s[44:45], s[4:5], 0xf4
	s_load_dwordx2 s[46:47], s[4:5], 0x138
	s_and_b32 s13, s1, 3
	s_cmp_lg_u32 s0, 2
	s_cselect_b64 s[48:49], -1, 0
	s_and_b32 s15, s1, 28
	v_add_u32_e32 v19, 0x8ff34781, v12
	v_add_u32_e32 v20, 0x96a522ad, v13
	v_xor_b32_e32 v0, v7, v0
	v_xor_b32_e32 v1, v9, v4
	s_cmp_lg_u32 s13, 0
	s_mov_b32 s59, 0
	v_xor_b32_e32 v0, v19, v0
	v_xor_b32_e32 v2, v20, v1
	v_mov_b32_e32 v1, v6
	v_mov_b32_e32 v3, v8
	s_mov_b64 s[50:51], 0
	s_cselect_b64 s[52:53], -1, 0
	v_mov_b32_e32 v39, v14
	v_mov_b32_e32 v40, v15
	s_branch .LBB81_9
.LBB81_7:                               ;   in Loop: Header=BB81_9 Depth=1
	v_and_b32_e32 v1, 0x7fffffff, v2
	v_mov_b32_e32 v0, v3
	s_waitcnt lgkmcnt(0)
	global_store_dwordx2 v8, v[0:1], s[46:47]
.LBB81_8:                               ;   in Loop: Header=BB81_9 Depth=1
	s_or_b64 exec, exec, s[28:29]
	v_add_co_u32_e32 v14, vcc, s58, v14
	v_addc_co_u32_e32 v15, vcc, 0, v15, vcc
	v_mov_b32_e32 v7, v16
	v_cmp_le_i64_e32 vcc, s[26:27], v[14:15]
	v_pk_mov_b32 v[0:1], v[4:5], v[4:5] op_sel:[0,1]
	s_or_b64 s[50:51], vcc, s[50:51]
	v_pk_mov_b32 v[2:3], v[6:7], v[6:7] op_sel:[0,1]
	s_waitcnt lgkmcnt(0)
	s_barrier
	s_andn2_b64 exec, exec, s[50:51]
	s_cbranch_execz .LBB81_50
.LBB81_9:                               ; =>This Loop Header: Depth=1
                                        ;     Child Loop BB81_24 Depth 2
                                        ;     Child Loop BB81_30 Depth 2
	;; [unrolled: 1-line block ×4, first 2 shown]
	v_add_co_u32_e32 v29, vcc, 1, v29
	v_cndmask_b32_e64 v4, 0, 1, vcc
	v_addc_co_u32_e32 v30, vcc, 0, v30, vcc
	v_cmp_eq_u32_e32 vcc, 0, v30
	v_cndmask_b32_e32 v4, 0, v4, vcc
	v_add_u32_e32 v39, v4, v39
	v_cmp_eq_u32_e32 vcc, 0, v39
	v_cndmask_b32_e32 v4, 0, v4, vcc
	v_add_u32_e32 v40, v4, v40
	v_mad_u64_u32 v[4:5], s[0:1], v29, s60, 0
	v_mad_u64_u32 v[6:7], s[0:1], v39, s61, 0
	v_xor_b32_e32 v5, v5, v13
	v_xor_b32_e32 v7, v7, v12
	v_xor_b32_e32 v5, v40, v5
	v_xor_b32_e32 v7, v30, v7
	v_mad_u64_u32 v[10:11], s[0:1], v5, s61, 0
	v_mad_u64_u32 v[8:9], s[0:1], v7, s60, 0
	v_xor_b32_e32 v5, v28, v11
	v_xor_b32_e32 v5, v5, v6
	v_xor_b32_e32 v6, v31, v9
	v_xor_b32_e32 v6, v6, v4
	;; [unrolled: 6-line block ×10, first 2 shown]
	v_mov_b32_e32 v5, v10
	v_mov_b32_e32 v6, v11
	v_cmp_lt_i32_e32 vcc, 1, v18
	s_and_saveexec_b64 s[0:1], vcc
	s_xor_b64 s[0:1], exec, s[0:1]
	s_cbranch_execz .LBB81_15
; %bb.10:                               ;   in Loop: Header=BB81_9 Depth=1
	v_cmp_lt_i32_e32 vcc, 2, v18
	s_and_saveexec_b64 s[2:3], vcc
	s_xor_b64 s[2:3], exec, s[2:3]
; %bb.11:                               ;   in Loop: Header=BB81_9 Depth=1
	v_mov_b32_e32 v8, v3
	v_mov_b32_e32 v9, v4
	v_pk_mov_b32 v[0:1], v[8:9], v[8:9] op_sel:[0,1]
	v_pk_mov_b32 v[2:3], v[10:11], v[10:11] op_sel:[0,1]
                                        ; implicit-def: $vgpr10_vgpr11
; %bb.12:                               ;   in Loop: Header=BB81_9 Depth=1
	s_andn2_saveexec_b64 s[2:3], s[2:3]
; %bb.13:                               ;   in Loop: Header=BB81_9 Depth=1
	v_mov_b32_e32 v0, v2
	v_mov_b32_e32 v1, v3
	;; [unrolled: 1-line block ×4, first 2 shown]
; %bb.14:                               ;   in Loop: Header=BB81_9 Depth=1
	s_or_b64 exec, exec, s[2:3]
.LBB81_15:                              ;   in Loop: Header=BB81_9 Depth=1
	s_andn2_saveexec_b64 s[0:1], s[0:1]
	s_cbranch_execz .LBB81_19
; %bb.16:                               ;   in Loop: Header=BB81_9 Depth=1
	v_cmp_eq_u32_e32 vcc, 1, v18
	s_and_saveexec_b64 s[2:3], vcc
; %bb.17:                               ;   in Loop: Header=BB81_9 Depth=1
	v_mov_b32_e32 v0, v1
	v_mov_b32_e32 v1, v2
	;; [unrolled: 1-line block ×4, first 2 shown]
; %bb.18:                               ;   in Loop: Header=BB81_9 Depth=1
	s_or_b64 exec, exec, s[2:3]
.LBB81_19:                              ;   in Loop: Header=BB81_9 Depth=1
	s_or_b64 exec, exec, s[0:1]
	v_cndmask_b32_e64 v7, 0, 1, s[36:37]
	v_cmp_gt_i64_e32 vcc, s[24:25], v[14:15]
	v_cmp_ne_u32_e64 s[0:1], 1, v7
	s_and_saveexec_b64 s[2:3], vcc
	s_cbranch_execz .LBB81_35
; %bb.20:                               ;   in Loop: Header=BB81_9 Depth=1
	s_and_b64 vcc, exec, s[0:1]
	s_cbranch_vccnz .LBB81_26
; %bb.21:                               ;   in Loop: Header=BB81_9 Depth=1
	s_andn2_b64 vcc, exec, s[38:39]
	s_cbranch_vccnz .LBB81_27
; %bb.22:                               ;   in Loop: Header=BB81_9 Depth=1
	s_mov_b32 s6, 0
	s_andn2_b64 vcc, exec, s[48:49]
	v_mov_b32_e32 v8, 0
	s_cbranch_vccnz .LBB81_28
; %bb.23:                               ;   in Loop: Header=BB81_9 Depth=1
	s_mov_b32 s62, 0
	v_mov_b32_e32 v8, 0
	s_mov_b64 s[54:55], s[34:35]
	s_mov_b64 s[56:57], s[40:41]
	v_mov_b32_e32 v7, v14
.LBB81_24:                              ;   Parent Loop BB81_9 Depth=1
                                        ; =>  This Inner Loop Header: Depth=2
	s_load_dwordx8 s[16:23], s[54:55], 0x4
	s_load_dwordx4 s[4:7], s[54:55], 0x24
	s_load_dwordx4 s[28:31], s[56:57], 0x0
	s_add_u32 s54, s54, 48
	s_addc_u32 s55, s55, 0
	s_waitcnt lgkmcnt(0)
	v_mul_hi_u32 v9, s17, v7
	v_add_u32_e32 v9, v7, v9
	v_lshrrev_b32_e32 v9, s18, v9
	v_mul_lo_u32 v10, v9, s16
	v_mul_hi_u32 v11, s20, v9
	v_sub_u32_e32 v7, v7, v10
	v_add_u32_e32 v10, v9, v11
	v_lshrrev_b32_e32 v10, s21, v10
	v_mul_lo_u32 v11, v10, s19
	v_mul_hi_u32 v17, s23, v10
	v_sub_u32_e32 v9, v9, v11
	v_add_u32_e32 v11, v10, v17
	v_mul_lo_u32 v7, v7, s28
	v_mul_lo_u32 v9, v9, s29
	v_lshrrev_b32_e32 v11, s4, v11
	v_add3_u32 v8, v7, v8, v9
	v_mul_lo_u32 v7, v11, s22
	v_mul_hi_u32 v9, s6, v11
	v_sub_u32_e32 v7, v10, v7
	v_add_u32_e32 v9, v11, v9
	v_mul_lo_u32 v10, v7, s30
	v_lshrrev_b32_e32 v7, s7, v9
	s_add_i32 s62, s62, 4
	v_mul_lo_u32 v9, v7, s5
	s_add_u32 s56, s56, 16
	v_sub_u32_e32 v9, v11, v9
	s_addc_u32 s57, s57, 0
	v_mul_lo_u32 v9, v9, s31
	s_cmp_lg_u32 s15, s62
	v_add3_u32 v8, v10, v8, v9
	s_cbranch_scc1 .LBB81_24
; %bb.25:                               ;   in Loop: Header=BB81_9 Depth=1
	s_mov_b32 s6, s15
	s_andn2_b64 vcc, exec, s[52:53]
	s_cbranch_vccz .LBB81_29
	s_branch .LBB81_31
.LBB81_26:                              ;   in Loop: Header=BB81_9 Depth=1
                                        ; implicit-def: $vgpr8
	s_branch .LBB81_32
.LBB81_27:                              ;   in Loop: Header=BB81_9 Depth=1
	v_mov_b32_e32 v8, 0
	s_branch .LBB81_31
.LBB81_28:                              ;   in Loop: Header=BB81_9 Depth=1
	v_mov_b32_e32 v7, v14
	s_andn2_b64 vcc, exec, s[52:53]
	s_cbranch_vccnz .LBB81_31
.LBB81_29:                              ;   in Loop: Header=BB81_9 Depth=1
	s_lshl_b32 s4, s6, 2
	s_add_u32 s4, s40, s4
	s_addc_u32 s5, s41, 0
	s_mul_i32 s6, s6, 12
	s_add_u32 s6, s34, s6
	s_addc_u32 s7, s35, 0
	s_mov_b32 s16, s13
.LBB81_30:                              ;   Parent Loop BB81_9 Depth=1
                                        ; =>  This Inner Loop Header: Depth=2
	s_load_dwordx2 s[18:19], s[6:7], 0x4
	s_load_dword s17, s[6:7], 0xc
	s_load_dword s20, s[4:5], 0x0
	s_add_u32 s6, s6, 12
	s_addc_u32 s7, s7, 0
	s_waitcnt lgkmcnt(0)
	v_mul_hi_u32 v9, s19, v7
	v_add_u32_e32 v9, v7, v9
	v_lshrrev_b32_e32 v9, s17, v9
	s_add_u32 s4, s4, 4
	v_mul_lo_u32 v10, v9, s18
	s_addc_u32 s5, s5, 0
	s_add_i32 s16, s16, -1
	v_sub_u32_e32 v10, v7, v10
	s_cmp_lg_u32 s16, 0
	v_mov_b32_e32 v7, v9
	v_mad_u64_u32 v[8:9], s[18:19], v10, s20, v[8:9]
	s_cbranch_scc1 .LBB81_30
.LBB81_31:                              ;   in Loop: Header=BB81_9 Depth=1
	s_cbranch_execnz .LBB81_34
.LBB81_32:                              ;   in Loop: Header=BB81_9 Depth=1
	v_mul_hi_u32 v7, v14, s10
	v_add_u32_e32 v7, v7, v14
	v_lshrrev_b32_e32 v7, s11, v7
	v_mul_lo_u32 v8, v7, s9
	v_sub_u32_e32 v8, v14, v8
	s_andn2_b64 vcc, exec, s[42:43]
	s_waitcnt lgkmcnt(0)
	v_mul_lo_u32 v8, v8, s44
	s_cbranch_vccnz .LBB81_34
; %bb.33:                               ;   in Loop: Header=BB81_9 Depth=1
	v_mul_hi_u32 v9, s8, v7
	v_add_u32_e32 v9, v7, v9
	v_lshrrev_b32_e32 v9, s14, v9
	v_mul_lo_u32 v9, v9, s12
	v_sub_u32_e32 v7, v7, v9
	v_mad_u64_u32 v[8:9], s[4:5], v7, s45, v[8:9]
.LBB81_34:                              ;   in Loop: Header=BB81_9 Depth=1
	v_and_b32_e32 v11, 0x7fffffff, v0
	v_mov_b32_e32 v10, v1
	s_waitcnt lgkmcnt(0)
	global_store_dwordx2 v8, v[10:11], s[46:47]
.LBB81_35:                              ;   in Loop: Header=BB81_9 Depth=1
	s_or_b64 exec, exec, s[2:3]
	v_mov_b32_e32 v1, s59
	v_add_co_u32_e32 v0, vcc, s33, v14
	v_addc_co_u32_e32 v1, vcc, v15, v1, vcc
	v_cmp_gt_i64_e32 vcc, s[24:25], v[0:1]
	s_and_saveexec_b64 s[28:29], vcc
	s_cbranch_execz .LBB81_8
; %bb.36:                               ;   in Loop: Header=BB81_9 Depth=1
	s_and_b64 vcc, exec, s[0:1]
	s_cbranch_vccnz .LBB81_42
; %bb.37:                               ;   in Loop: Header=BB81_9 Depth=1
	s_andn2_b64 vcc, exec, s[38:39]
	s_cbranch_vccnz .LBB81_43
; %bb.38:                               ;   in Loop: Header=BB81_9 Depth=1
	s_mov_b32 s2, 0
	s_andn2_b64 vcc, exec, s[48:49]
	v_mov_b32_e32 v8, 0
	s_cbranch_vccnz .LBB81_44
; %bb.39:                               ;   in Loop: Header=BB81_9 Depth=1
	s_mov_b32 s56, 0
	v_mov_b32_e32 v8, 0
	s_mov_b64 s[30:31], s[34:35]
	s_mov_b64 s[54:55], s[40:41]
	v_mov_b32_e32 v1, v0
.LBB81_40:                              ;   Parent Loop BB81_9 Depth=1
                                        ; =>  This Inner Loop Header: Depth=2
	s_load_dwordx8 s[0:7], s[30:31], 0x4
	s_load_dwordx4 s[16:19], s[30:31], 0x24
	s_load_dwordx4 s[20:23], s[54:55], 0x0
	s_add_u32 s30, s30, 48
	s_addc_u32 s31, s31, 0
	s_waitcnt lgkmcnt(0)
	v_mul_hi_u32 v7, s1, v1
	v_add_u32_e32 v7, v1, v7
	v_lshrrev_b32_e32 v7, s2, v7
	v_mul_lo_u32 v9, v7, s0
	v_mul_hi_u32 v10, s4, v7
	v_sub_u32_e32 v1, v1, v9
	v_add_u32_e32 v9, v7, v10
	v_lshrrev_b32_e32 v9, s5, v9
	v_mul_lo_u32 v10, v9, s3
	v_mul_hi_u32 v11, s7, v9
	v_sub_u32_e32 v7, v7, v10
	v_add_u32_e32 v10, v9, v11
	v_mul_lo_u32 v1, v1, s20
	v_mul_lo_u32 v7, v7, s21
	v_lshrrev_b32_e32 v10, s16, v10
	v_add3_u32 v7, v1, v8, v7
	v_mul_lo_u32 v1, v10, s6
	v_mul_hi_u32 v8, s18, v10
	v_sub_u32_e32 v1, v9, v1
	v_add_u32_e32 v8, v10, v8
	v_mul_lo_u32 v9, v1, s22
	v_lshrrev_b32_e32 v1, s19, v8
	s_add_i32 s56, s56, 4
	v_mul_lo_u32 v8, v1, s17
	s_add_u32 s54, s54, 16
	v_sub_u32_e32 v8, v10, v8
	s_addc_u32 s55, s55, 0
	v_mul_lo_u32 v8, v8, s23
	s_cmp_eq_u32 s15, s56
	v_add3_u32 v8, v9, v7, v8
	s_cbranch_scc0 .LBB81_40
; %bb.41:                               ;   in Loop: Header=BB81_9 Depth=1
	s_mov_b32 s2, s15
	s_andn2_b64 vcc, exec, s[52:53]
	s_cbranch_vccz .LBB81_45
	s_branch .LBB81_47
.LBB81_42:                              ;   in Loop: Header=BB81_9 Depth=1
                                        ; implicit-def: $vgpr8
	s_branch .LBB81_48
.LBB81_43:                              ;   in Loop: Header=BB81_9 Depth=1
	v_mov_b32_e32 v8, 0
	s_branch .LBB81_47
.LBB81_44:                              ;   in Loop: Header=BB81_9 Depth=1
	v_mov_b32_e32 v1, v0
	s_andn2_b64 vcc, exec, s[52:53]
	s_cbranch_vccnz .LBB81_47
.LBB81_45:                              ;   in Loop: Header=BB81_9 Depth=1
	s_lshl_b32 s0, s2, 2
	s_add_u32 s0, s40, s0
	s_addc_u32 s1, s41, 0
	s_mul_i32 s2, s2, 12
	s_add_u32 s2, s34, s2
	s_addc_u32 s3, s35, 0
	s_mov_b32 s4, s13
.LBB81_46:                              ;   Parent Loop BB81_9 Depth=1
                                        ; =>  This Inner Loop Header: Depth=2
	s_load_dwordx2 s[6:7], s[2:3], 0x4
	s_load_dword s5, s[2:3], 0xc
	s_load_dword s16, s[0:1], 0x0
	s_add_u32 s2, s2, 12
	s_addc_u32 s3, s3, 0
	s_waitcnt lgkmcnt(0)
	v_mul_hi_u32 v7, s7, v1
	v_add_u32_e32 v7, v1, v7
	v_lshrrev_b32_e32 v7, s5, v7
	s_add_u32 s0, s0, 4
	v_mul_lo_u32 v9, v7, s6
	s_addc_u32 s1, s1, 0
	s_add_i32 s4, s4, -1
	v_sub_u32_e32 v9, v1, v9
	s_cmp_lg_u32 s4, 0
	v_mov_b32_e32 v1, v7
	v_mad_u64_u32 v[8:9], s[6:7], v9, s16, v[8:9]
	s_cbranch_scc1 .LBB81_46
.LBB81_47:                              ;   in Loop: Header=BB81_9 Depth=1
	s_cbranch_execnz .LBB81_7
.LBB81_48:                              ;   in Loop: Header=BB81_9 Depth=1
	v_mul_hi_u32 v1, v0, s10
	v_add_u32_e32 v1, v1, v0
	v_lshrrev_b32_e32 v1, s11, v1
	v_mul_lo_u32 v7, v1, s9
	v_sub_u32_e32 v0, v0, v7
	s_andn2_b64 vcc, exec, s[42:43]
	s_waitcnt lgkmcnt(0)
	v_mul_lo_u32 v8, v0, s44
	s_cbranch_vccnz .LBB81_7
; %bb.49:                               ;   in Loop: Header=BB81_9 Depth=1
	v_mul_hi_u32 v0, s8, v1
	v_add_u32_e32 v0, v1, v0
	v_lshrrev_b32_e32 v0, s14, v0
	v_mul_lo_u32 v0, v0, s12
	v_sub_u32_e32 v0, v1, v0
	v_mad_u64_u32 v[8:9], s[0:1], v0, s45, v[8:9]
	s_branch .LBB81_7
.LBB81_50:
	s_endpgm
.LBB81_51:
                                        ; implicit-def: $sgpr2_sgpr3
	s_andn2_b64 vcc, exec, s[0:1]
	s_cbranch_vccz .LBB81_4
	s_branch .LBB81_5
	.section	.rodata,"a",@progbits
	.p2align	6, 0x0
	.amdhsa_kernel _ZN2at6native12_GLOBAL__N_143distribution_elementwise_grid_stride_kernelImLi2EZZZNS0_9templates4cuda13random_kernelIPNS_17CUDAGeneratorImplEEEvRNS_18TensorIteratorBaseET_ENKUlvE_clEvENKUlvE2_clEvEUlP25hiprandStatePhilox4_32_10E_ZNS1_27distribution_nullary_kernelIlm15HIP_vector_typeIyLj2EES7_SF_ZZZNS5_IS7_EEvS9_SA_ENKSB_clEvENKSC_clEvEUlmE_EEvS9_T2_RKT3_T4_EUlimE0_EEvlNS_15PhiloxCudaStateET1_SK_
		.amdhsa_group_segment_fixed_size 0
		.amdhsa_private_segment_fixed_size 0
		.amdhsa_kernarg_size 584
		.amdhsa_user_sgpr_count 6
		.amdhsa_user_sgpr_private_segment_buffer 1
		.amdhsa_user_sgpr_dispatch_ptr 0
		.amdhsa_user_sgpr_queue_ptr 0
		.amdhsa_user_sgpr_kernarg_segment_ptr 1
		.amdhsa_user_sgpr_dispatch_id 0
		.amdhsa_user_sgpr_flat_scratch_init 0
		.amdhsa_user_sgpr_kernarg_preload_length 0
		.amdhsa_user_sgpr_kernarg_preload_offset 0
		.amdhsa_user_sgpr_private_segment_size 0
		.amdhsa_uses_dynamic_stack 0
		.amdhsa_system_sgpr_private_segment_wavefront_offset 0
		.amdhsa_system_sgpr_workgroup_id_x 1
		.amdhsa_system_sgpr_workgroup_id_y 0
		.amdhsa_system_sgpr_workgroup_id_z 0
		.amdhsa_system_sgpr_workgroup_info 0
		.amdhsa_system_vgpr_workitem_id 0
		.amdhsa_next_free_vgpr 41
		.amdhsa_next_free_sgpr 63
		.amdhsa_accum_offset 44
		.amdhsa_reserve_vcc 1
		.amdhsa_reserve_flat_scratch 0
		.amdhsa_float_round_mode_32 0
		.amdhsa_float_round_mode_16_64 0
		.amdhsa_float_denorm_mode_32 3
		.amdhsa_float_denorm_mode_16_64 3
		.amdhsa_dx10_clamp 1
		.amdhsa_ieee_mode 1
		.amdhsa_fp16_overflow 0
		.amdhsa_tg_split 0
		.amdhsa_exception_fp_ieee_invalid_op 0
		.amdhsa_exception_fp_denorm_src 0
		.amdhsa_exception_fp_ieee_div_zero 0
		.amdhsa_exception_fp_ieee_overflow 0
		.amdhsa_exception_fp_ieee_underflow 0
		.amdhsa_exception_fp_ieee_inexact 0
		.amdhsa_exception_int_div_zero 0
	.end_amdhsa_kernel
	.section	.text._ZN2at6native12_GLOBAL__N_143distribution_elementwise_grid_stride_kernelImLi2EZZZNS0_9templates4cuda13random_kernelIPNS_17CUDAGeneratorImplEEEvRNS_18TensorIteratorBaseET_ENKUlvE_clEvENKUlvE2_clEvEUlP25hiprandStatePhilox4_32_10E_ZNS1_27distribution_nullary_kernelIlm15HIP_vector_typeIyLj2EES7_SF_ZZZNS5_IS7_EEvS9_SA_ENKSB_clEvENKSC_clEvEUlmE_EEvS9_T2_RKT3_T4_EUlimE0_EEvlNS_15PhiloxCudaStateET1_SK_,"axG",@progbits,_ZN2at6native12_GLOBAL__N_143distribution_elementwise_grid_stride_kernelImLi2EZZZNS0_9templates4cuda13random_kernelIPNS_17CUDAGeneratorImplEEEvRNS_18TensorIteratorBaseET_ENKUlvE_clEvENKUlvE2_clEvEUlP25hiprandStatePhilox4_32_10E_ZNS1_27distribution_nullary_kernelIlm15HIP_vector_typeIyLj2EES7_SF_ZZZNS5_IS7_EEvS9_SA_ENKSB_clEvENKSC_clEvEUlmE_EEvS9_T2_RKT3_T4_EUlimE0_EEvlNS_15PhiloxCudaStateET1_SK_,comdat
.Lfunc_end81:
	.size	_ZN2at6native12_GLOBAL__N_143distribution_elementwise_grid_stride_kernelImLi2EZZZNS0_9templates4cuda13random_kernelIPNS_17CUDAGeneratorImplEEEvRNS_18TensorIteratorBaseET_ENKUlvE_clEvENKUlvE2_clEvEUlP25hiprandStatePhilox4_32_10E_ZNS1_27distribution_nullary_kernelIlm15HIP_vector_typeIyLj2EES7_SF_ZZZNS5_IS7_EEvS9_SA_ENKSB_clEvENKSC_clEvEUlmE_EEvS9_T2_RKT3_T4_EUlimE0_EEvlNS_15PhiloxCudaStateET1_SK_, .Lfunc_end81-_ZN2at6native12_GLOBAL__N_143distribution_elementwise_grid_stride_kernelImLi2EZZZNS0_9templates4cuda13random_kernelIPNS_17CUDAGeneratorImplEEEvRNS_18TensorIteratorBaseET_ENKUlvE_clEvENKUlvE2_clEvEUlP25hiprandStatePhilox4_32_10E_ZNS1_27distribution_nullary_kernelIlm15HIP_vector_typeIyLj2EES7_SF_ZZZNS5_IS7_EEvS9_SA_ENKSB_clEvENKSC_clEvEUlmE_EEvS9_T2_RKT3_T4_EUlimE0_EEvlNS_15PhiloxCudaStateET1_SK_
                                        ; -- End function
	.section	.AMDGPU.csdata,"",@progbits
; Kernel info:
; codeLenInByte = 3220
; NumSgprs: 67
; NumVgprs: 41
; NumAgprs: 0
; TotalNumVgprs: 41
; ScratchSize: 0
; MemoryBound: 0
; FloatMode: 240
; IeeeMode: 1
; LDSByteSize: 0 bytes/workgroup (compile time only)
; SGPRBlocks: 8
; VGPRBlocks: 5
; NumSGPRsForWavesPerEU: 67
; NumVGPRsForWavesPerEU: 41
; AccumOffset: 44
; Occupancy: 8
; WaveLimiterHint : 1
; COMPUTE_PGM_RSRC2:SCRATCH_EN: 0
; COMPUTE_PGM_RSRC2:USER_SGPR: 6
; COMPUTE_PGM_RSRC2:TRAP_HANDLER: 0
; COMPUTE_PGM_RSRC2:TGID_X_EN: 1
; COMPUTE_PGM_RSRC2:TGID_Y_EN: 0
; COMPUTE_PGM_RSRC2:TGID_Z_EN: 0
; COMPUTE_PGM_RSRC2:TIDIG_COMP_CNT: 0
; COMPUTE_PGM_RSRC3_GFX90A:ACCUM_OFFSET: 10
; COMPUTE_PGM_RSRC3_GFX90A:TG_SPLIT: 0
	.section	.text._ZN2at6native12_GLOBAL__N_143distribution_elementwise_grid_stride_kernelIjLi4EZZZNS0_9templates4cuda13random_kernelIPNS_17CUDAGeneratorImplEEEvRNS_18TensorIteratorBaseET_ENKUlvE_clEvENKUlvE2_clEvEUlP25hiprandStatePhilox4_32_10E0_ZNS1_27distribution_nullary_kernelIlj15HIP_vector_typeIjLj4EES7_SF_ZZZNS5_IS7_EEvS9_SA_ENKSB_clEvENKSC_clEvEUljE_EEvS9_T2_RKT3_T4_EUlijE_EEvlNS_15PhiloxCudaStateET1_SK_,"axG",@progbits,_ZN2at6native12_GLOBAL__N_143distribution_elementwise_grid_stride_kernelIjLi4EZZZNS0_9templates4cuda13random_kernelIPNS_17CUDAGeneratorImplEEEvRNS_18TensorIteratorBaseET_ENKUlvE_clEvENKUlvE2_clEvEUlP25hiprandStatePhilox4_32_10E0_ZNS1_27distribution_nullary_kernelIlj15HIP_vector_typeIjLj4EES7_SF_ZZZNS5_IS7_EEvS9_SA_ENKSB_clEvENKSC_clEvEUljE_EEvS9_T2_RKT3_T4_EUlijE_EEvlNS_15PhiloxCudaStateET1_SK_,comdat
	.globl	_ZN2at6native12_GLOBAL__N_143distribution_elementwise_grid_stride_kernelIjLi4EZZZNS0_9templates4cuda13random_kernelIPNS_17CUDAGeneratorImplEEEvRNS_18TensorIteratorBaseET_ENKUlvE_clEvENKUlvE2_clEvEUlP25hiprandStatePhilox4_32_10E0_ZNS1_27distribution_nullary_kernelIlj15HIP_vector_typeIjLj4EES7_SF_ZZZNS5_IS7_EEvS9_SA_ENKSB_clEvENKSC_clEvEUljE_EEvS9_T2_RKT3_T4_EUlijE_EEvlNS_15PhiloxCudaStateET1_SK_ ; -- Begin function _ZN2at6native12_GLOBAL__N_143distribution_elementwise_grid_stride_kernelIjLi4EZZZNS0_9templates4cuda13random_kernelIPNS_17CUDAGeneratorImplEEEvRNS_18TensorIteratorBaseET_ENKUlvE_clEvENKUlvE2_clEvEUlP25hiprandStatePhilox4_32_10E0_ZNS1_27distribution_nullary_kernelIlj15HIP_vector_typeIjLj4EES7_SF_ZZZNS5_IS7_EEvS9_SA_ENKSB_clEvENKSC_clEvEUljE_EEvS9_T2_RKT3_T4_EUlijE_EEvlNS_15PhiloxCudaStateET1_SK_
	.p2align	8
	.type	_ZN2at6native12_GLOBAL__N_143distribution_elementwise_grid_stride_kernelIjLi4EZZZNS0_9templates4cuda13random_kernelIPNS_17CUDAGeneratorImplEEEvRNS_18TensorIteratorBaseET_ENKUlvE_clEvENKUlvE2_clEvEUlP25hiprandStatePhilox4_32_10E0_ZNS1_27distribution_nullary_kernelIlj15HIP_vector_typeIjLj4EES7_SF_ZZZNS5_IS7_EEvS9_SA_ENKSB_clEvENKSC_clEvEUljE_EEvS9_T2_RKT3_T4_EUlijE_EEvlNS_15PhiloxCudaStateET1_SK_,@function
_ZN2at6native12_GLOBAL__N_143distribution_elementwise_grid_stride_kernelIjLi4EZZZNS0_9templates4cuda13random_kernelIPNS_17CUDAGeneratorImplEEEvRNS_18TensorIteratorBaseET_ENKUlvE_clEvENKUlvE2_clEvEUlP25hiprandStatePhilox4_32_10E0_ZNS1_27distribution_nullary_kernelIlj15HIP_vector_typeIjLj4EES7_SF_ZZZNS5_IS7_EEvS9_SA_ENKSB_clEvENKSC_clEvEUljE_EEvS9_T2_RKT3_T4_EUlijE_EEvlNS_15PhiloxCudaStateET1_SK_: ; @_ZN2at6native12_GLOBAL__N_143distribution_elementwise_grid_stride_kernelIjLi4EZZZNS0_9templates4cuda13random_kernelIPNS_17CUDAGeneratorImplEEEvRNS_18TensorIteratorBaseET_ENKUlvE_clEvENKUlvE2_clEvEUlP25hiprandStatePhilox4_32_10E0_ZNS1_27distribution_nullary_kernelIlj15HIP_vector_typeIjLj4EES7_SF_ZZZNS5_IS7_EEvS9_SA_ENKSB_clEvENKSC_clEvEUljE_EEvS9_T2_RKT3_T4_EUlijE_EEvlNS_15PhiloxCudaStateET1_SK_
; %bb.0:
	s_load_dword s7, s[4:5], 0x20
	s_load_dwordx2 s[10:11], s[4:5], 0x10
	s_load_dwordx4 s[0:3], s[4:5], 0x0
	s_mov_b32 s8, 0
	s_waitcnt lgkmcnt(0)
	s_bitcmp0_b32 s7, 0
	v_pk_mov_b32 v[2:3], s[10:11], s[10:11] op_sel:[0,1]
	v_pk_mov_b32 v[14:15], s[2:3], s[2:3] op_sel:[0,1]
	s_cbranch_scc1 .LBB82_2
; %bb.1:
	v_pk_mov_b32 v[2:3], s[10:11], s[10:11] op_sel:[0,1]
	flat_load_dwordx2 v[2:3], v[2:3]
	v_pk_mov_b32 v[4:5], s[2:3], s[2:3] op_sel:[0,1]
	flat_load_dwordx2 v[14:15], v[4:5]
	s_load_dwordx2 s[2:3], s[4:5], 0x18
	s_waitcnt lgkmcnt(0)
	v_mov_b32_e32 v1, s3
	s_waitcnt vmcnt(0)
	v_add_co_u32_e32 v2, vcc, s2, v2
	v_addc_co_u32_e32 v3, vcc, v3, v1, vcc
.LBB82_2:
	s_load_dword s2, s[4:5], 0x4c
	s_load_dword s10, s[4:5], 0x40
	s_waitcnt lgkmcnt(0)
	s_and_b32 s7, s2, 0xffff
	s_add_u32 s11, s0, -1
	s_mul_i32 s12, s10, s7
	s_addc_u32 s9, s1, -1
	s_lshl_b32 s13, s12, 2
	s_cmp_lg_u64 s[8:9], 0
	s_mov_b64 s[2:3], -1
	s_cbranch_scc0 .LBB82_27
; %bb.3:
	v_cvt_f32_u32_e32 v1, s13
	v_cvt_f32_ubyte0_e32 v4, 0
	s_sub_u32 s8, 0, s13
	s_subb_u32 s14, 0, 0
	v_madmk_f32 v1, v4, 0x4f800000, v1
	v_rcp_f32_e32 v1, v1
	v_mul_f32_e32 v1, 0x5f7ffffc, v1
	v_mul_f32_e32 v4, 0x2f800000, v1
	v_trunc_f32_e32 v4, v4
	v_madmk_f32 v1, v4, 0xcf800000, v1
	v_cvt_u32_f32_e32 v4, v4
	v_cvt_u32_f32_e32 v1, v1
	v_readfirstlane_b32 s15, v4
	v_readfirstlane_b32 s16, v1
	s_mul_i32 s17, s8, s15
	s_mul_hi_u32 s19, s8, s16
	s_mul_i32 s18, s14, s16
	s_add_i32 s17, s19, s17
	s_add_i32 s17, s17, s18
	s_mul_i32 s20, s8, s16
	s_mul_hi_u32 s18, s16, s17
	s_mul_i32 s19, s16, s17
	s_mul_hi_u32 s16, s16, s20
	s_add_u32 s16, s16, s19
	s_addc_u32 s18, 0, s18
	s_mul_hi_u32 s21, s15, s20
	s_mul_i32 s20, s15, s20
	s_add_u32 s16, s16, s20
	s_mul_hi_u32 s19, s15, s17
	s_addc_u32 s16, s18, s21
	s_addc_u32 s18, s19, 0
	s_mul_i32 s17, s15, s17
	s_add_u32 s16, s16, s17
	s_addc_u32 s17, 0, s18
	v_add_co_u32_e32 v1, vcc, s16, v1
	s_cmp_lg_u64 vcc, 0
	s_addc_u32 s15, s15, s17
	v_readfirstlane_b32 s17, v1
	s_mul_i32 s16, s8, s15
	s_mul_hi_u32 s18, s8, s17
	s_add_i32 s16, s18, s16
	s_mul_i32 s14, s14, s17
	s_add_i32 s16, s16, s14
	s_mul_i32 s8, s8, s17
	s_mul_hi_u32 s18, s15, s8
	s_mul_i32 s19, s15, s8
	s_mul_i32 s21, s17, s16
	s_mul_hi_u32 s8, s17, s8
	s_mul_hi_u32 s20, s17, s16
	s_add_u32 s8, s8, s21
	s_addc_u32 s17, 0, s20
	s_add_u32 s8, s8, s19
	s_mul_hi_u32 s14, s15, s16
	s_addc_u32 s8, s17, s18
	s_addc_u32 s14, s14, 0
	s_mul_i32 s16, s15, s16
	s_add_u32 s8, s8, s16
	s_addc_u32 s14, 0, s14
	v_add_co_u32_e32 v1, vcc, s8, v1
	s_cmp_lg_u64 vcc, 0
	s_addc_u32 s16, s15, s14
	s_ashr_i32 s14, s9, 31
	s_add_u32 s8, s11, s14
	s_mov_b32 s15, s14
	s_addc_u32 s9, s9, s14
	s_xor_b64 s[8:9], s[8:9], s[14:15]
	v_readfirstlane_b32 s19, v1
	s_mul_i32 s18, s8, s16
	s_mul_hi_u32 s20, s8, s19
	s_mul_hi_u32 s17, s8, s16
	s_add_u32 s18, s20, s18
	s_addc_u32 s17, 0, s17
	s_mul_hi_u32 s21, s9, s19
	s_mul_i32 s19, s9, s19
	s_add_u32 s18, s18, s19
	s_mul_hi_u32 s20, s9, s16
	s_addc_u32 s17, s17, s21
	s_addc_u32 s18, s20, 0
	s_mul_i32 s16, s9, s16
	s_add_u32 s16, s17, s16
	s_addc_u32 s17, 0, s18
	s_add_u32 s18, s16, 1
	s_addc_u32 s19, s17, 0
	s_add_u32 s20, s16, 2
	s_mul_i32 s22, s13, s17
	s_mul_hi_u32 s23, s13, s16
	s_addc_u32 s21, s17, 0
	s_add_i32 s23, s23, s22
	s_mul_i32 s22, s13, s16
	v_mov_b32_e32 v1, s22
	v_sub_co_u32_e32 v1, vcc, s8, v1
	s_cmp_lg_u64 vcc, 0
	s_subb_u32 s8, s9, s23
	v_subrev_co_u32_e32 v4, vcc, s13, v1
	s_cmp_lg_u64 vcc, 0
	s_subb_u32 s9, s8, 0
	v_readfirstlane_b32 s22, v4
	s_cmp_ge_u32 s22, s13
	s_cselect_b32 s22, -1, 0
	s_cmp_eq_u32 s9, 0
	s_cselect_b32 s9, s22, -1
	s_cmp_lg_u32 s9, 0
	s_cselect_b32 s9, s21, s19
	v_readfirstlane_b32 s19, v1
	s_cselect_b32 s18, s20, s18
	s_cmp_ge_u32 s19, s13
	s_cselect_b32 s19, -1, 0
	s_cmp_eq_u32 s8, 0
	s_cselect_b32 s8, s19, -1
	s_cmp_lg_u32 s8, 0
	s_cselect_b32 s9, s9, s17
	s_cselect_b32 s8, s18, s16
	s_xor_b64 s[8:9], s[8:9], s[14:15]
	s_sub_u32 s8, s8, s14
	s_subb_u32 s9, s9, s14
	s_cbranch_execnz .LBB82_5
.LBB82_4:
	v_cvt_f32_u32_e32 v1, s13
	s_sub_i32 s2, 0, s13
	s_mov_b32 s9, 0
	v_rcp_iflag_f32_e32 v1, v1
	v_mul_f32_e32 v1, 0x4f7ffffe, v1
	v_cvt_u32_f32_e32 v1, v1
	v_readfirstlane_b32 s3, v1
	s_mul_i32 s2, s2, s3
	s_mul_hi_u32 s2, s3, s2
	s_add_i32 s3, s3, s2
	s_mul_hi_u32 s2, s11, s3
	s_mul_i32 s8, s2, s13
	s_sub_i32 s8, s11, s8
	s_add_i32 s3, s2, 1
	s_sub_i32 s11, s8, s13
	s_cmp_ge_u32 s8, s13
	s_cselect_b32 s2, s3, s2
	s_cselect_b32 s8, s11, s8
	s_add_i32 s3, s2, 1
	s_cmp_ge_u32 s8, s13
	s_cselect_b32 s8, s3, s2
.LBB82_5:
	v_mov_b32_e32 v1, 0
	v_mov_b32_e32 v4, s6
	v_mad_u64_u32 v[16:17], s[2:3], s7, v4, v[0:1]
	s_add_u32 s2, s8, 1
	s_addc_u32 s3, s9, 0
	s_mul_hi_u32 s8, s10, s7
	s_mul_i32 s3, s12, s3
	s_mul_hi_u32 s9, s12, s2
	s_add_i32 s3, s9, s3
	s_mul_i32 s8, s8, s2
	s_add_i32 s3, s3, s8
	s_mul_i32 s2, s12, s2
	s_lshl_b64 s[2:3], s[2:3], 2
	v_cmp_gt_i64_e32 vcc, s[2:3], v[16:17]
	s_and_saveexec_b64 s[8:9], vcc
	s_cbranch_execz .LBB82_26
; %bb.6:
	s_load_dwordx2 s[8:9], s[4:5], 0x30
	s_load_dword s11, s[4:5], 0x38
	s_mov_b32 s4, 0x5384540f
	v_mov_b32_e32 v4, v15
	v_add_co_u32_e32 v24, vcc, s4, v14
	s_mov_b32 s4, 0x646e171e
	v_add_co_u32_e32 v25, vcc, s4, v4
	s_mov_b32 s4, 0x1715609d
	;; [unrolled: 2-line block ×6, first 2 shown]
	v_alignbit_b32 v31, v3, v2, 2
	s_mov_b32 s15, 0xd2511f53
	v_add_co_u32_e32 v30, vcc, s4, v14
	v_mad_u64_u32 v[6:7], s[4:5], v31, s15, 0
	v_and_b32_e32 v20, 3, v2
	v_xor_b32_e32 v2, v7, v15
	v_xor_b32_e32 v2, v2, v17
	s_mov_b32 s16, 0xcd9e8d57
	v_mad_u64_u32 v[8:9], s[4:5], v2, s16, 0
	v_xor_b32_e32 v2, v30, v9
	v_mad_u64_u32 v[10:11], s[4:5], v16, s16, 0
	v_xor_b32_e32 v2, v2, v10
	;; [unrolled: 2-line block ×3, first 2 shown]
	v_lshrrev_b32_e32 v32, 2, v3
	v_xor_b32_e32 v2, v2, v32
	v_xor_b32_e32 v5, v29, v13
	v_mad_u64_u32 v[2:3], s[4:5], v2, s15, 0
	v_xor_b32_e32 v2, v5, v2
	v_mad_u64_u32 v[10:11], s[4:5], v2, s16, 0
	s_mov_b32 s4, 0xbb67ae85
	v_add_co_u32_e32 v33, vcc, s4, v4
	v_xor_b32_e32 v2, v33, v3
	v_xor_b32_e32 v2, v2, v6
	v_xor_b32_e32 v5, v28, v11
	v_mad_u64_u32 v[2:3], s[4:5], v2, s16, 0
	v_xor_b32_e32 v2, v5, v2
	v_mad_u64_u32 v[6:7], s[4:5], v2, s15, 0
	s_mov_b32 s4, 0x3c6ef372
	v_add_co_u32_e32 v34, vcc, s4, v14
	v_xor_b32_e32 v2, v34, v3
	;; [unrolled: 8-line block ×6, first 2 shown]
	v_add_co_u32_e32 v23, vcc, 0xdb3d7428, v4
	v_xor_b32_e32 v2, v2, v8
	v_xor_b32_e32 v5, v23, v7
	v_mad_u64_u32 v[2:3], s[4:5], v2, s15, 0
	v_xor_b32_e32 v2, v5, v2
	v_mad_u64_u32 v[8:9], s[4:5], v2, s16, 0
	s_mov_b32 s4, 0x1fd5c5a3
	v_add_co_u32_e32 v39, vcc, s4, v4
	v_xor_b32_e32 v2, v39, v3
	v_xor_b32_e32 v2, v2, v12
	v_mad_u64_u32 v[2:3], s[4:5], v2, s16, 0
	s_mov_b32 s4, 0xf1bbcdc8
	v_add_co_u32_e32 v40, vcc, s4, v14
	v_xor_b32_e32 v3, v40, v3
	v_xor_b32_e32 v3, v3, v10
	v_mad_u64_u32 v[10:11], s[4:5], v3, s15, 0
	s_mul_i32 s4, s6, s7
	v_xor_b32_e32 v3, v11, v6
	v_add_u32_e32 v6, s4, v0
	s_waitcnt lgkmcnt(0)
	s_mul_i32 s4, s10, s11
	s_mul_i32 s4, s4, s7
	s_lshl_b32 s21, s4, 2
	s_mul_i32 s4, s10, 3
	s_add_i32 s4, s6, s4
	s_mul_i32 s4, s4, s7
	v_mul_lo_u32 v41, s11, v6
	v_add_u32_e32 v6, s4, v0
	s_lshl_b32 s4, s10, 1
	s_add_i32 s4, s6, s4
	s_mul_i32 s4, s4, s7
	v_mul_lo_u32 v42, s11, v6
	v_add_u32_e32 v6, s4, v0
	s_add_i32 s4, s6, s10
	s_mul_i32 s4, s4, s7
	s_mov_b32 s14, 0
	v_add_u32_e32 v21, 0x8ff34781, v14
	v_add_u32_e32 v22, 0x96a522ad, v15
	v_xor_b32_e32 v2, v9, v2
	v_add_u32_e32 v0, s4, v0
	v_xor_b32_e32 v2, v21, v2
	v_xor_b32_e32 v4, v22, v3
	v_mov_b32_e32 v3, v8
	v_mov_b32_e32 v5, v10
	s_lshl_b32 s17, s12, 1
	s_mov_b32 s18, s14
	s_mul_i32 s19, s12, 3
	s_mov_b32 s20, s14
	v_mul_lo_u32 v43, s11, v6
	v_mul_lo_u32 v44, s11, v0
	s_mov_b64 s[4:5], 0
	s_mov_b32 s22, s14
	v_mov_b32_e32 v45, v16
	v_mov_b32_e32 v46, v17
	s_branch .LBB82_8
.LBB82_7:                               ;   in Loop: Header=BB82_8 Depth=1
	s_or_b64 exec, exec, s[6:7]
	v_add_co_u32_e32 v16, vcc, s13, v16
	v_addc_co_u32_e32 v17, vcc, 0, v17, vcc
	v_mov_b32_e32 v9, v18
	s_add_i32 s22, s22, s21
	v_cmp_le_i64_e32 vcc, s[2:3], v[16:17]
	v_pk_mov_b32 v[2:3], v[6:7], v[6:7] op_sel:[0,1]
	s_or_b64 s[4:5], vcc, s[4:5]
	v_pk_mov_b32 v[4:5], v[8:9], v[8:9] op_sel:[0,1]
	s_barrier
	s_andn2_b64 exec, exec, s[4:5]
	s_cbranch_execz .LBB82_26
.LBB82_8:                               ; =>This Inner Loop Header: Depth=1
	v_add_co_u32_e32 v31, vcc, 1, v31
	v_cndmask_b32_e64 v0, 0, 1, vcc
	v_addc_co_u32_e32 v32, vcc, 0, v32, vcc
	v_cmp_eq_u32_e32 vcc, 0, v32
	v_cndmask_b32_e32 v0, 0, v0, vcc
	v_add_u32_e32 v45, v0, v45
	v_cmp_eq_u32_e32 vcc, 0, v45
	v_cndmask_b32_e32 v0, 0, v0, vcc
	v_mad_u64_u32 v[6:7], s[6:7], v31, s15, 0
	v_mad_u64_u32 v[8:9], s[6:7], v45, s16, 0
	v_add_u32_e32 v46, v0, v46
	v_xor_b32_e32 v0, v9, v14
	v_xor_b32_e32 v7, v7, v15
	v_xor_b32_e32 v0, v32, v0
	v_xor_b32_e32 v7, v46, v7
	v_mad_u64_u32 v[10:11], s[6:7], v0, s15, 0
	v_mad_u64_u32 v[12:13], s[6:7], v7, s16, 0
	v_xor_b32_e32 v0, v30, v13
	v_xor_b32_e32 v7, v33, v11
	v_xor_b32_e32 v0, v0, v8
	v_xor_b32_e32 v8, v7, v6
	v_mad_u64_u32 v[6:7], s[6:7], v0, s15, 0
	v_mad_u64_u32 v[8:9], s[6:7], v8, s16, 0
	;; [unrolled: 6-line block ×9, first 2 shown]
	v_xor_b32_e32 v0, v13, v6
	v_xor_b32_e32 v6, v21, v0
	;; [unrolled: 1-line block ×4, first 2 shown]
	v_mov_b32_e32 v7, v12
	v_mov_b32_e32 v8, v13
	v_cmp_lt_i32_e32 vcc, 1, v20
	s_and_saveexec_b64 s[6:7], vcc
	s_xor_b64 s[6:7], exec, s[6:7]
	s_cbranch_execnz .LBB82_18
; %bb.9:                                ;   in Loop: Header=BB82_8 Depth=1
	s_andn2_saveexec_b64 s[6:7], s[6:7]
	s_cbranch_execnz .LBB82_23
.LBB82_10:                              ;   in Loop: Header=BB82_8 Depth=1
	s_or_b64 exec, exec, s[6:7]
	v_cmp_gt_i64_e32 vcc, s[0:1], v[16:17]
	s_and_saveexec_b64 s[6:7], vcc
	s_cbranch_execz .LBB82_12
.LBB82_11:                              ;   in Loop: Header=BB82_8 Depth=1
	v_add_u32_e32 v0, s22, v41
	v_ashrrev_i32_e32 v9, 31, v0
	v_mov_b32_e32 v11, s9
	v_add_co_u32_e32 v10, vcc, s8, v0
	v_addc_co_u32_e32 v11, vcc, v11, v9, vcc
	v_mov_b32_e32 v0, v2
	global_store_dwordx2 v[10:11], v[0:1], off
.LBB82_12:                              ;   in Loop: Header=BB82_8 Depth=1
	s_or_b64 exec, exec, s[6:7]
	v_mov_b32_e32 v0, s14
	v_add_co_u32_e32 v10, vcc, s12, v16
	v_addc_co_u32_e32 v11, vcc, v0, v17, vcc
	v_cmp_gt_i64_e32 vcc, s[0:1], v[10:11]
	s_and_saveexec_b64 s[6:7], vcc
	s_cbranch_execz .LBB82_14
; %bb.13:                               ;   in Loop: Header=BB82_8 Depth=1
	v_add_u32_e32 v0, s22, v44
	v_ashrrev_i32_e32 v2, 31, v0
	v_mov_b32_e32 v9, s9
	v_add_co_u32_e32 v10, vcc, s8, v0
	v_addc_co_u32_e32 v11, vcc, v9, v2, vcc
	v_mov_b32_e32 v0, v3
	global_store_dwordx2 v[10:11], v[0:1], off
.LBB82_14:                              ;   in Loop: Header=BB82_8 Depth=1
	s_or_b64 exec, exec, s[6:7]
	v_mov_b32_e32 v0, s18
	v_add_co_u32_e32 v2, vcc, s17, v16
	v_addc_co_u32_e32 v3, vcc, v0, v17, vcc
	v_cmp_gt_i64_e32 vcc, s[0:1], v[2:3]
	s_and_saveexec_b64 s[6:7], vcc
	s_cbranch_execz .LBB82_16
; %bb.15:                               ;   in Loop: Header=BB82_8 Depth=1
	v_add_u32_e32 v0, s22, v43
	v_ashrrev_i32_e32 v3, 31, v0
	v_mov_b32_e32 v9, s9
	v_add_co_u32_e32 v2, vcc, s8, v0
	v_addc_co_u32_e32 v3, vcc, v9, v3, vcc
	v_mov_b32_e32 v0, v4
	global_store_dwordx2 v[2:3], v[0:1], off
.LBB82_16:                              ;   in Loop: Header=BB82_8 Depth=1
	s_or_b64 exec, exec, s[6:7]
	v_mov_b32_e32 v0, s20
	v_add_co_u32_e32 v2, vcc, s19, v16
	v_addc_co_u32_e32 v3, vcc, v0, v17, vcc
	v_cmp_gt_i64_e32 vcc, s[0:1], v[2:3]
	s_and_saveexec_b64 s[6:7], vcc
	s_cbranch_execz .LBB82_7
; %bb.17:                               ;   in Loop: Header=BB82_8 Depth=1
	v_add_u32_e32 v0, s22, v42
	v_ashrrev_i32_e32 v3, 31, v0
	v_mov_b32_e32 v4, s9
	v_add_co_u32_e32 v2, vcc, s8, v0
	v_addc_co_u32_e32 v3, vcc, v4, v3, vcc
	v_mov_b32_e32 v0, v5
	global_store_dwordx2 v[2:3], v[0:1], off
	s_branch .LBB82_7
.LBB82_18:                              ;   in Loop: Header=BB82_8 Depth=1
	v_cmp_lt_i32_e32 vcc, 2, v20
	s_and_saveexec_b64 s[10:11], vcc
	s_xor_b64 s[10:11], exec, s[10:11]
; %bb.19:                               ;   in Loop: Header=BB82_8 Depth=1
	v_mov_b32_e32 v10, v5
	v_mov_b32_e32 v11, v6
	v_pk_mov_b32 v[2:3], v[10:11], v[10:11] op_sel:[0,1]
	v_pk_mov_b32 v[4:5], v[12:13], v[12:13] op_sel:[0,1]
                                        ; implicit-def: $vgpr12_vgpr13
; %bb.20:                               ;   in Loop: Header=BB82_8 Depth=1
	s_andn2_saveexec_b64 s[10:11], s[10:11]
; %bb.21:                               ;   in Loop: Header=BB82_8 Depth=1
	v_mov_b32_e32 v2, v4
	v_mov_b32_e32 v3, v5
	;; [unrolled: 1-line block ×4, first 2 shown]
; %bb.22:                               ;   in Loop: Header=BB82_8 Depth=1
	s_or_b64 exec, exec, s[10:11]
	s_andn2_saveexec_b64 s[6:7], s[6:7]
	s_cbranch_execz .LBB82_10
.LBB82_23:                              ;   in Loop: Header=BB82_8 Depth=1
	v_cmp_eq_u32_e32 vcc, 1, v20
	s_and_saveexec_b64 s[10:11], vcc
; %bb.24:                               ;   in Loop: Header=BB82_8 Depth=1
	v_mov_b32_e32 v2, v3
	v_mov_b32_e32 v3, v4
	;; [unrolled: 1-line block ×4, first 2 shown]
; %bb.25:                               ;   in Loop: Header=BB82_8 Depth=1
	s_or_b64 exec, exec, s[10:11]
	s_or_b64 exec, exec, s[6:7]
	v_cmp_gt_i64_e32 vcc, s[0:1], v[16:17]
	s_and_saveexec_b64 s[6:7], vcc
	s_cbranch_execnz .LBB82_11
	s_branch .LBB82_12
.LBB82_26:
	s_endpgm
.LBB82_27:
                                        ; implicit-def: $sgpr8_sgpr9
	s_andn2_b64 vcc, exec, s[2:3]
	s_cbranch_vccz .LBB82_4
	s_branch .LBB82_5
	.section	.rodata,"a",@progbits
	.p2align	6, 0x0
	.amdhsa_kernel _ZN2at6native12_GLOBAL__N_143distribution_elementwise_grid_stride_kernelIjLi4EZZZNS0_9templates4cuda13random_kernelIPNS_17CUDAGeneratorImplEEEvRNS_18TensorIteratorBaseET_ENKUlvE_clEvENKUlvE2_clEvEUlP25hiprandStatePhilox4_32_10E0_ZNS1_27distribution_nullary_kernelIlj15HIP_vector_typeIjLj4EES7_SF_ZZZNS5_IS7_EEvS9_SA_ENKSB_clEvENKSC_clEvEUljE_EEvS9_T2_RKT3_T4_EUlijE_EEvlNS_15PhiloxCudaStateET1_SK_
		.amdhsa_group_segment_fixed_size 0
		.amdhsa_private_segment_fixed_size 0
		.amdhsa_kernarg_size 320
		.amdhsa_user_sgpr_count 6
		.amdhsa_user_sgpr_private_segment_buffer 1
		.amdhsa_user_sgpr_dispatch_ptr 0
		.amdhsa_user_sgpr_queue_ptr 0
		.amdhsa_user_sgpr_kernarg_segment_ptr 1
		.amdhsa_user_sgpr_dispatch_id 0
		.amdhsa_user_sgpr_flat_scratch_init 0
		.amdhsa_user_sgpr_kernarg_preload_length 0
		.amdhsa_user_sgpr_kernarg_preload_offset 0
		.amdhsa_user_sgpr_private_segment_size 0
		.amdhsa_uses_dynamic_stack 0
		.amdhsa_system_sgpr_private_segment_wavefront_offset 0
		.amdhsa_system_sgpr_workgroup_id_x 1
		.amdhsa_system_sgpr_workgroup_id_y 0
		.amdhsa_system_sgpr_workgroup_id_z 0
		.amdhsa_system_sgpr_workgroup_info 0
		.amdhsa_system_vgpr_workitem_id 0
		.amdhsa_next_free_vgpr 47
		.amdhsa_next_free_sgpr 24
		.amdhsa_accum_offset 48
		.amdhsa_reserve_vcc 1
		.amdhsa_reserve_flat_scratch 0
		.amdhsa_float_round_mode_32 0
		.amdhsa_float_round_mode_16_64 0
		.amdhsa_float_denorm_mode_32 3
		.amdhsa_float_denorm_mode_16_64 3
		.amdhsa_dx10_clamp 1
		.amdhsa_ieee_mode 1
		.amdhsa_fp16_overflow 0
		.amdhsa_tg_split 0
		.amdhsa_exception_fp_ieee_invalid_op 0
		.amdhsa_exception_fp_denorm_src 0
		.amdhsa_exception_fp_ieee_div_zero 0
		.amdhsa_exception_fp_ieee_overflow 0
		.amdhsa_exception_fp_ieee_underflow 0
		.amdhsa_exception_fp_ieee_inexact 0
		.amdhsa_exception_int_div_zero 0
	.end_amdhsa_kernel
	.section	.text._ZN2at6native12_GLOBAL__N_143distribution_elementwise_grid_stride_kernelIjLi4EZZZNS0_9templates4cuda13random_kernelIPNS_17CUDAGeneratorImplEEEvRNS_18TensorIteratorBaseET_ENKUlvE_clEvENKUlvE2_clEvEUlP25hiprandStatePhilox4_32_10E0_ZNS1_27distribution_nullary_kernelIlj15HIP_vector_typeIjLj4EES7_SF_ZZZNS5_IS7_EEvS9_SA_ENKSB_clEvENKSC_clEvEUljE_EEvS9_T2_RKT3_T4_EUlijE_EEvlNS_15PhiloxCudaStateET1_SK_,"axG",@progbits,_ZN2at6native12_GLOBAL__N_143distribution_elementwise_grid_stride_kernelIjLi4EZZZNS0_9templates4cuda13random_kernelIPNS_17CUDAGeneratorImplEEEvRNS_18TensorIteratorBaseET_ENKUlvE_clEvENKUlvE2_clEvEUlP25hiprandStatePhilox4_32_10E0_ZNS1_27distribution_nullary_kernelIlj15HIP_vector_typeIjLj4EES7_SF_ZZZNS5_IS7_EEvS9_SA_ENKSB_clEvENKSC_clEvEUljE_EEvS9_T2_RKT3_T4_EUlijE_EEvlNS_15PhiloxCudaStateET1_SK_,comdat
.Lfunc_end82:
	.size	_ZN2at6native12_GLOBAL__N_143distribution_elementwise_grid_stride_kernelIjLi4EZZZNS0_9templates4cuda13random_kernelIPNS_17CUDAGeneratorImplEEEvRNS_18TensorIteratorBaseET_ENKUlvE_clEvENKUlvE2_clEvEUlP25hiprandStatePhilox4_32_10E0_ZNS1_27distribution_nullary_kernelIlj15HIP_vector_typeIjLj4EES7_SF_ZZZNS5_IS7_EEvS9_SA_ENKSB_clEvENKSC_clEvEUljE_EEvS9_T2_RKT3_T4_EUlijE_EEvlNS_15PhiloxCudaStateET1_SK_, .Lfunc_end82-_ZN2at6native12_GLOBAL__N_143distribution_elementwise_grid_stride_kernelIjLi4EZZZNS0_9templates4cuda13random_kernelIPNS_17CUDAGeneratorImplEEEvRNS_18TensorIteratorBaseET_ENKUlvE_clEvENKUlvE2_clEvEUlP25hiprandStatePhilox4_32_10E0_ZNS1_27distribution_nullary_kernelIlj15HIP_vector_typeIjLj4EES7_SF_ZZZNS5_IS7_EEvS9_SA_ENKSB_clEvENKSC_clEvEUljE_EEvS9_T2_RKT3_T4_EUlijE_EEvlNS_15PhiloxCudaStateET1_SK_
                                        ; -- End function
	.section	.AMDGPU.csdata,"",@progbits
; Kernel info:
; codeLenInByte = 2352
; NumSgprs: 28
; NumVgprs: 47
; NumAgprs: 0
; TotalNumVgprs: 47
; ScratchSize: 0
; MemoryBound: 0
; FloatMode: 240
; IeeeMode: 1
; LDSByteSize: 0 bytes/workgroup (compile time only)
; SGPRBlocks: 3
; VGPRBlocks: 5
; NumSGPRsForWavesPerEU: 28
; NumVGPRsForWavesPerEU: 47
; AccumOffset: 48
; Occupancy: 8
; WaveLimiterHint : 0
; COMPUTE_PGM_RSRC2:SCRATCH_EN: 0
; COMPUTE_PGM_RSRC2:USER_SGPR: 6
; COMPUTE_PGM_RSRC2:TRAP_HANDLER: 0
; COMPUTE_PGM_RSRC2:TGID_X_EN: 1
; COMPUTE_PGM_RSRC2:TGID_Y_EN: 0
; COMPUTE_PGM_RSRC2:TGID_Z_EN: 0
; COMPUTE_PGM_RSRC2:TIDIG_COMP_CNT: 0
; COMPUTE_PGM_RSRC3_GFX90A:ACCUM_OFFSET: 11
; COMPUTE_PGM_RSRC3_GFX90A:TG_SPLIT: 0
	.section	.text._ZN2at6native12_GLOBAL__N_143distribution_elementwise_grid_stride_kernelIjLi4EZZZNS0_9templates4cuda13random_kernelIPNS_17CUDAGeneratorImplEEEvRNS_18TensorIteratorBaseET_ENKUlvE_clEvENKUlvE2_clEvEUlP25hiprandStatePhilox4_32_10E0_ZNS1_27distribution_nullary_kernelIlj15HIP_vector_typeIjLj4EES7_SF_ZZZNS5_IS7_EEvS9_SA_ENKSB_clEvENKSC_clEvEUljE_EEvS9_T2_RKT3_T4_EUlijE0_EEvlNS_15PhiloxCudaStateET1_SK_,"axG",@progbits,_ZN2at6native12_GLOBAL__N_143distribution_elementwise_grid_stride_kernelIjLi4EZZZNS0_9templates4cuda13random_kernelIPNS_17CUDAGeneratorImplEEEvRNS_18TensorIteratorBaseET_ENKUlvE_clEvENKUlvE2_clEvEUlP25hiprandStatePhilox4_32_10E0_ZNS1_27distribution_nullary_kernelIlj15HIP_vector_typeIjLj4EES7_SF_ZZZNS5_IS7_EEvS9_SA_ENKSB_clEvENKSC_clEvEUljE_EEvS9_T2_RKT3_T4_EUlijE0_EEvlNS_15PhiloxCudaStateET1_SK_,comdat
	.globl	_ZN2at6native12_GLOBAL__N_143distribution_elementwise_grid_stride_kernelIjLi4EZZZNS0_9templates4cuda13random_kernelIPNS_17CUDAGeneratorImplEEEvRNS_18TensorIteratorBaseET_ENKUlvE_clEvENKUlvE2_clEvEUlP25hiprandStatePhilox4_32_10E0_ZNS1_27distribution_nullary_kernelIlj15HIP_vector_typeIjLj4EES7_SF_ZZZNS5_IS7_EEvS9_SA_ENKSB_clEvENKSC_clEvEUljE_EEvS9_T2_RKT3_T4_EUlijE0_EEvlNS_15PhiloxCudaStateET1_SK_ ; -- Begin function _ZN2at6native12_GLOBAL__N_143distribution_elementwise_grid_stride_kernelIjLi4EZZZNS0_9templates4cuda13random_kernelIPNS_17CUDAGeneratorImplEEEvRNS_18TensorIteratorBaseET_ENKUlvE_clEvENKUlvE2_clEvEUlP25hiprandStatePhilox4_32_10E0_ZNS1_27distribution_nullary_kernelIlj15HIP_vector_typeIjLj4EES7_SF_ZZZNS5_IS7_EEvS9_SA_ENKSB_clEvENKSC_clEvEUljE_EEvS9_T2_RKT3_T4_EUlijE0_EEvlNS_15PhiloxCudaStateET1_SK_
	.p2align	8
	.type	_ZN2at6native12_GLOBAL__N_143distribution_elementwise_grid_stride_kernelIjLi4EZZZNS0_9templates4cuda13random_kernelIPNS_17CUDAGeneratorImplEEEvRNS_18TensorIteratorBaseET_ENKUlvE_clEvENKUlvE2_clEvEUlP25hiprandStatePhilox4_32_10E0_ZNS1_27distribution_nullary_kernelIlj15HIP_vector_typeIjLj4EES7_SF_ZZZNS5_IS7_EEvS9_SA_ENKSB_clEvENKSC_clEvEUljE_EEvS9_T2_RKT3_T4_EUlijE0_EEvlNS_15PhiloxCudaStateET1_SK_,@function
_ZN2at6native12_GLOBAL__N_143distribution_elementwise_grid_stride_kernelIjLi4EZZZNS0_9templates4cuda13random_kernelIPNS_17CUDAGeneratorImplEEEvRNS_18TensorIteratorBaseET_ENKUlvE_clEvENKUlvE2_clEvEUlP25hiprandStatePhilox4_32_10E0_ZNS1_27distribution_nullary_kernelIlj15HIP_vector_typeIjLj4EES7_SF_ZZZNS5_IS7_EEvS9_SA_ENKSB_clEvENKSC_clEvEUljE_EEvS9_T2_RKT3_T4_EUlijE0_EEvlNS_15PhiloxCudaStateET1_SK_: ; @_ZN2at6native12_GLOBAL__N_143distribution_elementwise_grid_stride_kernelIjLi4EZZZNS0_9templates4cuda13random_kernelIPNS_17CUDAGeneratorImplEEEvRNS_18TensorIteratorBaseET_ENKUlvE_clEvENKUlvE2_clEvEUlP25hiprandStatePhilox4_32_10E0_ZNS1_27distribution_nullary_kernelIlj15HIP_vector_typeIjLj4EES7_SF_ZZZNS5_IS7_EEvS9_SA_ENKSB_clEvENKSC_clEvEUljE_EEvS9_T2_RKT3_T4_EUlijE0_EEvlNS_15PhiloxCudaStateET1_SK_
; %bb.0:
	s_load_dword s2, s[4:5], 0x20
	s_load_dwordx2 s[0:1], s[4:5], 0x10
	s_load_dwordx4 s[24:27], s[4:5], 0x0
	s_waitcnt lgkmcnt(0)
	s_bitcmp0_b32 s2, 0
	s_mov_b32 s2, 0
	v_pk_mov_b32 v[2:3], s[0:1], s[0:1] op_sel:[0,1]
	v_pk_mov_b32 v[14:15], s[26:27], s[26:27] op_sel:[0,1]
	s_cbranch_scc1 .LBB83_2
; %bb.1:
	v_pk_mov_b32 v[2:3], s[0:1], s[0:1] op_sel:[0,1]
	flat_load_dwordx2 v[2:3], v[2:3]
	v_pk_mov_b32 v[4:5], s[26:27], s[26:27] op_sel:[0,1]
	flat_load_dwordx2 v[14:15], v[4:5]
	s_load_dwordx2 s[0:1], s[4:5], 0x18
	s_waitcnt lgkmcnt(0)
	v_mov_b32_e32 v1, s1
	s_waitcnt vmcnt(0)
	v_add_co_u32_e32 v2, vcc, s0, v2
	v_addc_co_u32_e32 v3, vcc, v3, v1, vcc
.LBB83_2:
	s_load_dword s0, s[4:5], 0x154
	s_load_dword s7, s[4:5], 0x148
	s_waitcnt lgkmcnt(0)
	s_and_b32 s8, s0, 0xffff
	s_add_u32 s9, s24, -1
	s_mul_i32 s33, s7, s8
	s_addc_u32 s3, s25, -1
	s_lshl_b32 s58, s33, 2
	s_cmp_lg_u64 s[2:3], 0
	s_mov_b64 s[0:1], -1
	s_cbranch_scc0 .LBB83_83
; %bb.3:
	v_cvt_f32_u32_e32 v1, s58
	v_cvt_f32_ubyte0_e32 v4, 0
	s_sub_u32 s2, 0, s58
	s_subb_u32 s10, 0, 0
	v_madmk_f32 v1, v4, 0x4f800000, v1
	v_rcp_f32_e32 v1, v1
	v_mul_f32_e32 v1, 0x5f7ffffc, v1
	v_mul_f32_e32 v4, 0x2f800000, v1
	v_trunc_f32_e32 v4, v4
	v_madmk_f32 v1, v4, 0xcf800000, v1
	v_cvt_u32_f32_e32 v4, v4
	v_cvt_u32_f32_e32 v1, v1
	v_readfirstlane_b32 s11, v4
	v_readfirstlane_b32 s12, v1
	s_mul_i32 s13, s2, s11
	s_mul_hi_u32 s15, s2, s12
	s_mul_i32 s14, s10, s12
	s_add_i32 s13, s15, s13
	s_add_i32 s13, s13, s14
	s_mul_i32 s16, s2, s12
	s_mul_hi_u32 s14, s12, s13
	s_mul_i32 s15, s12, s13
	s_mul_hi_u32 s12, s12, s16
	s_add_u32 s12, s12, s15
	s_addc_u32 s14, 0, s14
	s_mul_hi_u32 s17, s11, s16
	s_mul_i32 s16, s11, s16
	s_add_u32 s12, s12, s16
	s_mul_hi_u32 s15, s11, s13
	s_addc_u32 s12, s14, s17
	s_addc_u32 s14, s15, 0
	s_mul_i32 s13, s11, s13
	s_add_u32 s12, s12, s13
	s_addc_u32 s13, 0, s14
	v_add_co_u32_e32 v1, vcc, s12, v1
	s_cmp_lg_u64 vcc, 0
	s_addc_u32 s11, s11, s13
	v_readfirstlane_b32 s13, v1
	s_mul_i32 s12, s2, s11
	s_mul_hi_u32 s14, s2, s13
	s_add_i32 s12, s14, s12
	s_mul_i32 s10, s10, s13
	s_add_i32 s12, s12, s10
	s_mul_i32 s2, s2, s13
	s_mul_hi_u32 s14, s11, s2
	s_mul_i32 s15, s11, s2
	s_mul_i32 s17, s13, s12
	s_mul_hi_u32 s2, s13, s2
	s_mul_hi_u32 s16, s13, s12
	s_add_u32 s2, s2, s17
	s_addc_u32 s13, 0, s16
	s_add_u32 s2, s2, s15
	s_mul_hi_u32 s10, s11, s12
	s_addc_u32 s2, s13, s14
	s_addc_u32 s10, s10, 0
	s_mul_i32 s12, s11, s12
	s_add_u32 s2, s2, s12
	s_addc_u32 s10, 0, s10
	v_add_co_u32_e32 v1, vcc, s2, v1
	s_cmp_lg_u64 vcc, 0
	s_addc_u32 s12, s11, s10
	s_ashr_i32 s10, s3, 31
	s_add_u32 s2, s9, s10
	s_mov_b32 s11, s10
	s_addc_u32 s3, s3, s10
	s_xor_b64 s[2:3], s[2:3], s[10:11]
	v_readfirstlane_b32 s15, v1
	s_mul_i32 s14, s2, s12
	s_mul_hi_u32 s16, s2, s15
	s_mul_hi_u32 s13, s2, s12
	s_add_u32 s14, s16, s14
	s_addc_u32 s13, 0, s13
	s_mul_hi_u32 s17, s3, s15
	s_mul_i32 s15, s3, s15
	s_add_u32 s14, s14, s15
	s_mul_hi_u32 s16, s3, s12
	s_addc_u32 s13, s13, s17
	s_addc_u32 s14, s16, 0
	s_mul_i32 s12, s3, s12
	s_add_u32 s12, s13, s12
	s_addc_u32 s13, 0, s14
	s_add_u32 s14, s12, 1
	s_addc_u32 s15, s13, 0
	s_add_u32 s16, s12, 2
	s_mul_i32 s18, s58, s13
	s_mul_hi_u32 s19, s58, s12
	s_addc_u32 s17, s13, 0
	s_add_i32 s19, s19, s18
	s_mul_i32 s18, s58, s12
	v_mov_b32_e32 v1, s18
	v_sub_co_u32_e32 v1, vcc, s2, v1
	s_cmp_lg_u64 vcc, 0
	s_subb_u32 s2, s3, s19
	v_subrev_co_u32_e32 v4, vcc, s58, v1
	s_cmp_lg_u64 vcc, 0
	s_subb_u32 s3, s2, 0
	v_readfirstlane_b32 s18, v4
	s_cmp_ge_u32 s18, s58
	s_cselect_b32 s18, -1, 0
	s_cmp_eq_u32 s3, 0
	s_cselect_b32 s3, s18, -1
	s_cmp_lg_u32 s3, 0
	s_cselect_b32 s3, s17, s15
	v_readfirstlane_b32 s15, v1
	s_cselect_b32 s14, s16, s14
	s_cmp_ge_u32 s15, s58
	s_cselect_b32 s15, -1, 0
	s_cmp_eq_u32 s2, 0
	s_cselect_b32 s2, s15, -1
	s_cmp_lg_u32 s2, 0
	s_cselect_b32 s3, s3, s13
	s_cselect_b32 s2, s14, s12
	s_xor_b64 s[2:3], s[2:3], s[10:11]
	s_sub_u32 s2, s2, s10
	s_subb_u32 s3, s3, s10
	s_cbranch_execnz .LBB83_5
.LBB83_4:
	v_cvt_f32_u32_e32 v1, s58
	s_sub_i32 s0, 0, s58
	s_mov_b32 s3, 0
	v_rcp_iflag_f32_e32 v1, v1
	v_mul_f32_e32 v1, 0x4f7ffffe, v1
	v_cvt_u32_f32_e32 v1, v1
	v_readfirstlane_b32 s1, v1
	s_mul_i32 s0, s0, s1
	s_mul_hi_u32 s0, s1, s0
	s_add_i32 s1, s1, s0
	s_mul_hi_u32 s0, s9, s1
	s_mul_i32 s2, s0, s58
	s_sub_i32 s2, s9, s2
	s_add_i32 s1, s0, 1
	s_sub_i32 s9, s2, s58
	s_cmp_ge_u32 s2, s58
	s_cselect_b32 s0, s1, s0
	s_cselect_b32 s2, s9, s2
	s_add_i32 s1, s0, 1
	s_cmp_ge_u32 s2, s58
	s_cselect_b32 s2, s1, s0
.LBB83_5:
	v_mov_b32_e32 v1, 0
	v_mov_b32_e32 v4, s6
	v_mad_u64_u32 v[16:17], s[0:1], s8, v4, v[0:1]
	s_add_u32 s0, s2, 1
	s_addc_u32 s1, s3, 0
	s_mul_hi_u32 s2, s7, s8
	s_mul_i32 s1, s33, s1
	s_mul_hi_u32 s3, s33, s0
	s_add_i32 s1, s3, s1
	s_mul_i32 s2, s2, s0
	s_add_i32 s1, s1, s2
	s_mul_i32 s0, s33, s0
	s_lshl_b64 s[26:27], s[0:1], 2
	v_cmp_gt_i64_e32 vcc, s[26:27], v[16:17]
	s_and_saveexec_b64 s[0:1], vcc
	s_cbranch_execz .LBB83_82
; %bb.6:
	s_mov_b32 s0, 0x5384540f
	v_mov_b32_e32 v0, v15
	v_add_co_u32_e32 v24, vcc, s0, v14
	s_mov_b32 s0, 0x646e171e
	v_add_co_u32_e32 v25, vcc, s0, v0
	s_mov_b32 s0, 0x1715609d
	v_add_co_u32_e32 v26, vcc, s0, v14
	s_mov_b32 s0, 0xed9eba14
	v_add_co_u32_e32 v27, vcc, s0, v0
	s_mov_b32 s0, 0xdaa66d2b
	v_add_co_u32_e32 v28, vcc, s0, v14
	s_mov_b32 s0, 0x76cf5d0a
	v_add_co_u32_e32 v29, vcc, s0, v0
	s_mov_b32 s0, 0x9e3779b9
	v_alignbit_b32 v31, v3, v2, 2
	s_mov_b32 s60, 0xd2511f53
	v_add_co_u32_e32 v30, vcc, s0, v14
	v_mad_u64_u32 v[4:5], s[0:1], v31, s60, 0
	v_and_b32_e32 v20, 3, v2
	v_xor_b32_e32 v2, v5, v15
	v_xor_b32_e32 v2, v2, v17
	s_mov_b32 s61, 0xcd9e8d57
	v_mad_u64_u32 v[6:7], s[0:1], v2, s61, 0
	v_xor_b32_e32 v2, v30, v7
	v_mad_u64_u32 v[8:9], s[0:1], v16, s61, 0
	v_xor_b32_e32 v2, v2, v8
	;; [unrolled: 2-line block ×3, first 2 shown]
	v_lshrrev_b32_e32 v32, 2, v3
	v_xor_b32_e32 v2, v2, v32
	v_xor_b32_e32 v5, v29, v11
	v_mad_u64_u32 v[2:3], s[0:1], v2, s60, 0
	v_xor_b32_e32 v2, v5, v2
	v_mad_u64_u32 v[8:9], s[0:1], v2, s61, 0
	s_mov_b32 s0, 0xbb67ae85
	v_add_co_u32_e32 v33, vcc, s0, v0
	v_xor_b32_e32 v2, v33, v3
	v_xor_b32_e32 v2, v2, v4
	v_xor_b32_e32 v5, v28, v9
	v_mad_u64_u32 v[2:3], s[0:1], v2, s61, 0
	v_xor_b32_e32 v2, v5, v2
	v_mad_u64_u32 v[4:5], s[0:1], v2, s60, 0
	s_mov_b32 s0, 0x3c6ef372
	v_add_co_u32_e32 v34, vcc, s0, v14
	v_xor_b32_e32 v2, v34, v3
	;; [unrolled: 8-line block ×6, first 2 shown]
	v_add_co_u32_e32 v23, vcc, 0xdb3d7428, v0
	v_xor_b32_e32 v2, v2, v6
	v_xor_b32_e32 v5, v23, v5
	v_mad_u64_u32 v[2:3], s[0:1], v2, s60, 0
	v_xor_b32_e32 v2, v5, v2
	v_mad_u64_u32 v[6:7], s[0:1], v2, s61, 0
	s_mov_b32 s0, 0x1fd5c5a3
	v_add_co_u32_e32 v39, vcc, s0, v0
	v_xor_b32_e32 v0, v39, v3
	v_xor_b32_e32 v0, v0, v10
	v_mad_u64_u32 v[2:3], s[0:1], v0, s61, 0
	s_mov_b32 s0, 0xf1bbcdc8
	s_load_dwordx8 s[8:15], s[4:5], 0x30
	v_add_u32_e32 v21, 0x8ff34781, v14
	v_xor_b32_e32 v0, v7, v2
	v_add_co_u32_e32 v40, vcc, s0, v14
	v_xor_b32_e32 v2, v21, v0
	v_xor_b32_e32 v0, v40, v3
	;; [unrolled: 1-line block ×3, first 2 shown]
	s_add_u32 s34, s4, 48
	v_mad_u64_u32 v[8:9], s[0:1], v0, s60, 0
	s_addc_u32 s35, s5, 0
	s_waitcnt lgkmcnt(0)
	s_add_i32 s0, s8, -1
	s_cmp_gt_u32 s0, 1
	s_cselect_b64 s[36:37], -1, 0
	s_cmp_lg_u32 s8, 0
	s_cselect_b64 s[38:39], -1, 0
	s_add_u32 s40, s4, 0xf4
	s_addc_u32 s41, s5, 0
	s_min_u32 s1, s0, 15
	s_cmp_gt_u32 s8, 1
	s_cselect_b64 s[42:43], -1, 0
	s_add_i32 s1, s1, 1
	s_mov_b32 s8, s13
	s_load_dwordx2 s[44:45], s[4:5], 0xf4
	s_load_dwordx2 s[46:47], s[4:5], 0x138
	s_lshl_b32 s13, s33, 1
	s_and_b32 s64, s1, 3
	s_cmp_lg_u32 s0, 2
	s_cselect_b64 s[48:49], -1, 0
	s_and_b32 s65, s1, 28
	s_mov_b32 s59, 0
	v_add_u32_e32 v22, 0x96a522ad, v15
	v_xor_b32_e32 v0, v9, v4
	s_cmp_lg_u32 s64, 0
	v_xor_b32_e32 v4, v22, v0
	v_mov_b32_e32 v3, v6
	v_mov_b32_e32 v5, v8
	s_mov_b32 s15, s59
	s_mul_i32 s62, s33, 3
	s_mov_b32 s63, s59
	s_mov_b64 s[50:51], 0
	s_cselect_b64 s[52:53], -1, 0
	v_mov_b32_e32 v41, v16
	v_mov_b32_e32 v42, v17
	s_branch .LBB83_9
.LBB83_7:                               ;   in Loop: Header=BB83_9 Depth=1
	v_mov_b32_e32 v0, v5
	s_waitcnt lgkmcnt(0)
	global_store_dwordx2 v10, v[0:1], s[46:47]
.LBB83_8:                               ;   in Loop: Header=BB83_9 Depth=1
	s_or_b64 exec, exec, s[28:29]
	v_add_co_u32_e32 v16, vcc, s58, v16
	v_addc_co_u32_e32 v17, vcc, 0, v17, vcc
	v_mov_b32_e32 v9, v18
	v_cmp_le_i64_e32 vcc, s[26:27], v[16:17]
	v_pk_mov_b32 v[2:3], v[6:7], v[6:7] op_sel:[0,1]
	s_or_b64 s[50:51], vcc, s[50:51]
	v_pk_mov_b32 v[4:5], v[8:9], v[8:9] op_sel:[0,1]
	s_waitcnt lgkmcnt(0)
	s_barrier
	s_andn2_b64 exec, exec, s[50:51]
	s_cbranch_execz .LBB83_82
.LBB83_9:                               ; =>This Loop Header: Depth=1
                                        ;     Child Loop BB83_24 Depth 2
                                        ;     Child Loop BB83_30 Depth 2
	;; [unrolled: 1-line block ×8, first 2 shown]
	v_add_co_u32_e32 v31, vcc, 1, v31
	v_cndmask_b32_e64 v0, 0, 1, vcc
	v_addc_co_u32_e32 v32, vcc, 0, v32, vcc
	v_cmp_eq_u32_e32 vcc, 0, v32
	v_cndmask_b32_e32 v0, 0, v0, vcc
	v_add_u32_e32 v41, v0, v41
	v_cmp_eq_u32_e32 vcc, 0, v41
	v_cndmask_b32_e32 v0, 0, v0, vcc
	v_mad_u64_u32 v[6:7], s[0:1], v31, s60, 0
	v_mad_u64_u32 v[8:9], s[0:1], v41, s61, 0
	v_add_u32_e32 v42, v0, v42
	v_xor_b32_e32 v0, v9, v14
	v_xor_b32_e32 v7, v7, v15
	v_xor_b32_e32 v0, v32, v0
	v_xor_b32_e32 v7, v42, v7
	v_mad_u64_u32 v[10:11], s[0:1], v0, s60, 0
	v_mad_u64_u32 v[12:13], s[0:1], v7, s61, 0
	v_xor_b32_e32 v0, v30, v13
	v_xor_b32_e32 v7, v33, v11
	v_xor_b32_e32 v0, v0, v8
	v_xor_b32_e32 v8, v7, v6
	v_mad_u64_u32 v[6:7], s[0:1], v0, s60, 0
	v_mad_u64_u32 v[8:9], s[0:1], v8, s61, 0
	;; [unrolled: 6-line block ×9, first 2 shown]
	v_xor_b32_e32 v0, v13, v6
	v_xor_b32_e32 v6, v21, v0
	;; [unrolled: 1-line block ×4, first 2 shown]
	v_mov_b32_e32 v7, v12
	v_mov_b32_e32 v8, v13
	v_cmp_lt_i32_e32 vcc, 1, v20
	s_and_saveexec_b64 s[0:1], vcc
	s_xor_b64 s[0:1], exec, s[0:1]
	s_cbranch_execz .LBB83_15
; %bb.10:                               ;   in Loop: Header=BB83_9 Depth=1
	v_cmp_lt_i32_e32 vcc, 2, v20
	s_and_saveexec_b64 s[2:3], vcc
	s_xor_b64 s[2:3], exec, s[2:3]
; %bb.11:                               ;   in Loop: Header=BB83_9 Depth=1
	v_mov_b32_e32 v10, v5
	v_mov_b32_e32 v11, v6
	v_pk_mov_b32 v[2:3], v[10:11], v[10:11] op_sel:[0,1]
	v_pk_mov_b32 v[4:5], v[12:13], v[12:13] op_sel:[0,1]
                                        ; implicit-def: $vgpr12_vgpr13
; %bb.12:                               ;   in Loop: Header=BB83_9 Depth=1
	s_andn2_saveexec_b64 s[2:3], s[2:3]
; %bb.13:                               ;   in Loop: Header=BB83_9 Depth=1
	v_mov_b32_e32 v2, v4
	v_mov_b32_e32 v3, v5
	;; [unrolled: 1-line block ×4, first 2 shown]
; %bb.14:                               ;   in Loop: Header=BB83_9 Depth=1
	s_or_b64 exec, exec, s[2:3]
.LBB83_15:                              ;   in Loop: Header=BB83_9 Depth=1
	s_andn2_saveexec_b64 s[0:1], s[0:1]
	s_cbranch_execz .LBB83_19
; %bb.16:                               ;   in Loop: Header=BB83_9 Depth=1
	v_cmp_eq_u32_e32 vcc, 1, v20
	s_and_saveexec_b64 s[2:3], vcc
; %bb.17:                               ;   in Loop: Header=BB83_9 Depth=1
	v_mov_b32_e32 v2, v3
	v_mov_b32_e32 v3, v4
	;; [unrolled: 1-line block ×4, first 2 shown]
; %bb.18:                               ;   in Loop: Header=BB83_9 Depth=1
	s_or_b64 exec, exec, s[2:3]
.LBB83_19:                              ;   in Loop: Header=BB83_9 Depth=1
	s_or_b64 exec, exec, s[0:1]
	v_cndmask_b32_e64 v0, 0, 1, s[36:37]
	v_cmp_gt_i64_e32 vcc, s[24:25], v[16:17]
	v_cmp_ne_u32_e64 s[0:1], 1, v0
	s_and_saveexec_b64 s[2:3], vcc
	s_cbranch_execz .LBB83_35
; %bb.20:                               ;   in Loop: Header=BB83_9 Depth=1
	s_and_b64 vcc, exec, s[0:1]
	s_cbranch_vccnz .LBB83_26
; %bb.21:                               ;   in Loop: Header=BB83_9 Depth=1
	s_andn2_b64 vcc, exec, s[38:39]
	s_cbranch_vccnz .LBB83_27
; %bb.22:                               ;   in Loop: Header=BB83_9 Depth=1
	s_mov_b32 s6, 0
	s_andn2_b64 vcc, exec, s[48:49]
	v_mov_b32_e32 v10, 0
	s_cbranch_vccnz .LBB83_28
; %bb.23:                               ;   in Loop: Header=BB83_9 Depth=1
	s_mov_b32 s66, 0
	v_mov_b32_e32 v10, 0
	s_mov_b64 s[54:55], s[34:35]
	s_mov_b64 s[56:57], s[40:41]
	v_mov_b32_e32 v0, v16
.LBB83_24:                              ;   Parent Loop BB83_9 Depth=1
                                        ; =>  This Inner Loop Header: Depth=2
	s_load_dwordx8 s[16:23], s[54:55], 0x4
	s_load_dwordx4 s[4:7], s[54:55], 0x24
	s_load_dwordx4 s[28:31], s[56:57], 0x0
	s_add_u32 s54, s54, 48
	s_addc_u32 s55, s55, 0
	s_waitcnt lgkmcnt(0)
	v_mul_hi_u32 v9, s17, v0
	v_add_u32_e32 v9, v0, v9
	v_lshrrev_b32_e32 v9, s18, v9
	v_mul_lo_u32 v11, v9, s16
	v_mul_hi_u32 v12, s20, v9
	v_sub_u32_e32 v0, v0, v11
	v_add_u32_e32 v11, v9, v12
	v_lshrrev_b32_e32 v11, s21, v11
	v_mul_lo_u32 v12, v11, s19
	v_mul_hi_u32 v13, s23, v11
	v_sub_u32_e32 v9, v9, v12
	v_add_u32_e32 v12, v11, v13
	v_mul_lo_u32 v0, v0, s28
	v_mul_lo_u32 v9, v9, s29
	v_lshrrev_b32_e32 v12, s4, v12
	v_add3_u32 v9, v0, v10, v9
	v_mul_lo_u32 v0, v12, s22
	v_mul_hi_u32 v10, s6, v12
	v_sub_u32_e32 v0, v11, v0
	v_add_u32_e32 v10, v12, v10
	v_mul_lo_u32 v11, v0, s30
	v_lshrrev_b32_e32 v0, s7, v10
	s_add_i32 s66, s66, 4
	v_mul_lo_u32 v10, v0, s5
	s_add_u32 s56, s56, 16
	v_sub_u32_e32 v10, v12, v10
	s_addc_u32 s57, s57, 0
	v_mul_lo_u32 v10, v10, s31
	s_cmp_lg_u32 s65, s66
	v_add3_u32 v10, v11, v9, v10
	s_cbranch_scc1 .LBB83_24
; %bb.25:                               ;   in Loop: Header=BB83_9 Depth=1
	s_mov_b32 s6, s65
	s_andn2_b64 vcc, exec, s[52:53]
	s_cbranch_vccz .LBB83_29
	s_branch .LBB83_31
.LBB83_26:                              ;   in Loop: Header=BB83_9 Depth=1
                                        ; implicit-def: $vgpr10
	s_branch .LBB83_32
.LBB83_27:                              ;   in Loop: Header=BB83_9 Depth=1
	v_mov_b32_e32 v10, 0
	s_branch .LBB83_31
.LBB83_28:                              ;   in Loop: Header=BB83_9 Depth=1
	v_mov_b32_e32 v0, v16
	s_andn2_b64 vcc, exec, s[52:53]
	s_cbranch_vccnz .LBB83_31
.LBB83_29:                              ;   in Loop: Header=BB83_9 Depth=1
	s_lshl_b32 s4, s6, 2
	s_add_u32 s4, s40, s4
	s_addc_u32 s5, s41, 0
	s_mul_i32 s6, s6, 12
	s_add_u32 s6, s34, s6
	s_addc_u32 s7, s35, 0
	s_mov_b32 s16, s64
.LBB83_30:                              ;   Parent Loop BB83_9 Depth=1
                                        ; =>  This Inner Loop Header: Depth=2
	s_load_dwordx2 s[18:19], s[6:7], 0x4
	s_load_dword s17, s[6:7], 0xc
	s_load_dword s20, s[4:5], 0x0
	s_add_u32 s6, s6, 12
	s_addc_u32 s7, s7, 0
	s_waitcnt lgkmcnt(0)
	v_mul_hi_u32 v9, s19, v0
	v_add_u32_e32 v9, v0, v9
	v_lshrrev_b32_e32 v9, s17, v9
	s_add_u32 s4, s4, 4
	v_mul_lo_u32 v11, v9, s18
	s_addc_u32 s5, s5, 0
	s_add_i32 s16, s16, -1
	v_sub_u32_e32 v11, v0, v11
	s_cmp_lg_u32 s16, 0
	v_mov_b32_e32 v0, v9
	v_mad_u64_u32 v[10:11], s[18:19], v11, s20, v[10:11]
	s_cbranch_scc1 .LBB83_30
.LBB83_31:                              ;   in Loop: Header=BB83_9 Depth=1
	s_cbranch_execnz .LBB83_34
.LBB83_32:                              ;   in Loop: Header=BB83_9 Depth=1
	v_mul_hi_u32 v0, v16, s10
	v_add_u32_e32 v0, v0, v16
	v_lshrrev_b32_e32 v0, s11, v0
	v_mul_lo_u32 v9, v0, s9
	v_sub_u32_e32 v9, v16, v9
	s_andn2_b64 vcc, exec, s[42:43]
	s_waitcnt lgkmcnt(0)
	v_mul_lo_u32 v10, v9, s44
	s_cbranch_vccnz .LBB83_34
; %bb.33:                               ;   in Loop: Header=BB83_9 Depth=1
	v_mul_hi_u32 v9, s8, v0
	v_add_u32_e32 v9, v0, v9
	v_lshrrev_b32_e32 v9, s14, v9
	v_mul_lo_u32 v9, v9, s12
	v_sub_u32_e32 v0, v0, v9
	v_mad_u64_u32 v[10:11], s[4:5], v0, s45, v[10:11]
.LBB83_34:                              ;   in Loop: Header=BB83_9 Depth=1
	v_mov_b32_e32 v0, v2
	s_waitcnt lgkmcnt(0)
	global_store_dwordx2 v10, v[0:1], s[46:47]
.LBB83_35:                              ;   in Loop: Header=BB83_9 Depth=1
	s_or_b64 exec, exec, s[2:3]
	v_mov_b32_e32 v0, s59
	v_add_co_u32_e32 v10, vcc, s33, v16
	v_addc_co_u32_e32 v11, vcc, v17, v0, vcc
	v_cmp_gt_i64_e32 vcc, s[24:25], v[10:11]
	s_and_saveexec_b64 s[2:3], vcc
	s_cbranch_execz .LBB83_51
; %bb.36:                               ;   in Loop: Header=BB83_9 Depth=1
	s_and_b64 vcc, exec, s[0:1]
	s_cbranch_vccnz .LBB83_42
; %bb.37:                               ;   in Loop: Header=BB83_9 Depth=1
	s_andn2_b64 vcc, exec, s[38:39]
	s_cbranch_vccnz .LBB83_43
; %bb.38:                               ;   in Loop: Header=BB83_9 Depth=1
	s_mov_b32 s6, 0
	s_andn2_b64 vcc, exec, s[48:49]
	v_mov_b32_e32 v12, 0
	s_cbranch_vccnz .LBB83_44
; %bb.39:                               ;   in Loop: Header=BB83_9 Depth=1
	s_mov_b32 s66, 0
	v_mov_b32_e32 v12, 0
	s_mov_b64 s[54:55], s[34:35]
	s_mov_b64 s[56:57], s[40:41]
	v_mov_b32_e32 v0, v10
.LBB83_40:                              ;   Parent Loop BB83_9 Depth=1
                                        ; =>  This Inner Loop Header: Depth=2
	s_load_dwordx8 s[16:23], s[54:55], 0x4
	s_load_dwordx4 s[4:7], s[54:55], 0x24
	s_load_dwordx4 s[28:31], s[56:57], 0x0
	s_add_u32 s54, s54, 48
	s_addc_u32 s55, s55, 0
	s_waitcnt lgkmcnt(0)
	v_mul_hi_u32 v2, s17, v0
	v_add_u32_e32 v2, v0, v2
	v_lshrrev_b32_e32 v2, s18, v2
	v_mul_lo_u32 v9, v2, s16
	v_mul_hi_u32 v11, s20, v2
	v_sub_u32_e32 v0, v0, v9
	v_add_u32_e32 v9, v2, v11
	v_lshrrev_b32_e32 v9, s21, v9
	v_mul_lo_u32 v11, v9, s19
	v_mul_hi_u32 v13, s23, v9
	v_sub_u32_e32 v2, v2, v11
	v_add_u32_e32 v11, v9, v13
	v_mul_lo_u32 v0, v0, s28
	v_mul_lo_u32 v2, v2, s29
	v_lshrrev_b32_e32 v11, s4, v11
	v_add3_u32 v2, v0, v12, v2
	v_mul_lo_u32 v0, v11, s22
	v_mul_hi_u32 v12, s6, v11
	v_sub_u32_e32 v0, v9, v0
	v_add_u32_e32 v9, v11, v12
	v_mul_lo_u32 v12, v0, s30
	v_lshrrev_b32_e32 v0, s7, v9
	s_add_i32 s66, s66, 4
	v_mul_lo_u32 v9, v0, s5
	s_add_u32 s56, s56, 16
	v_sub_u32_e32 v9, v11, v9
	s_addc_u32 s57, s57, 0
	v_mul_lo_u32 v9, v9, s31
	s_cmp_eq_u32 s65, s66
	v_add3_u32 v12, v12, v2, v9
	s_cbranch_scc0 .LBB83_40
; %bb.41:                               ;   in Loop: Header=BB83_9 Depth=1
	s_mov_b32 s6, s65
	s_andn2_b64 vcc, exec, s[52:53]
	s_cbranch_vccz .LBB83_45
	s_branch .LBB83_47
.LBB83_42:                              ;   in Loop: Header=BB83_9 Depth=1
                                        ; implicit-def: $vgpr12
	s_branch .LBB83_48
.LBB83_43:                              ;   in Loop: Header=BB83_9 Depth=1
	v_mov_b32_e32 v12, 0
	s_branch .LBB83_47
.LBB83_44:                              ;   in Loop: Header=BB83_9 Depth=1
	v_mov_b32_e32 v0, v10
	s_andn2_b64 vcc, exec, s[52:53]
	s_cbranch_vccnz .LBB83_47
.LBB83_45:                              ;   in Loop: Header=BB83_9 Depth=1
	s_lshl_b32 s4, s6, 2
	s_add_u32 s4, s40, s4
	s_addc_u32 s5, s41, 0
	s_mul_i32 s6, s6, 12
	s_add_u32 s6, s34, s6
	s_addc_u32 s7, s35, 0
	s_mov_b32 s16, s64
.LBB83_46:                              ;   Parent Loop BB83_9 Depth=1
                                        ; =>  This Inner Loop Header: Depth=2
	s_load_dwordx2 s[18:19], s[6:7], 0x4
	s_load_dword s17, s[6:7], 0xc
	s_load_dword s20, s[4:5], 0x0
	s_add_u32 s6, s6, 12
	s_addc_u32 s7, s7, 0
	s_waitcnt lgkmcnt(0)
	v_mul_hi_u32 v2, s19, v0
	v_add_u32_e32 v2, v0, v2
	v_lshrrev_b32_e32 v2, s17, v2
	s_add_u32 s4, s4, 4
	v_mul_lo_u32 v9, v2, s18
	s_addc_u32 s5, s5, 0
	s_add_i32 s16, s16, -1
	v_sub_u32_e32 v9, v0, v9
	s_cmp_lg_u32 s16, 0
	v_mov_b32_e32 v0, v2
	v_mad_u64_u32 v[12:13], s[18:19], v9, s20, v[12:13]
	s_cbranch_scc1 .LBB83_46
.LBB83_47:                              ;   in Loop: Header=BB83_9 Depth=1
	s_cbranch_execnz .LBB83_50
.LBB83_48:                              ;   in Loop: Header=BB83_9 Depth=1
	v_mul_hi_u32 v0, v10, s10
	v_add_u32_e32 v0, v0, v10
	v_lshrrev_b32_e32 v0, s11, v0
	v_mul_lo_u32 v2, v0, s9
	v_sub_u32_e32 v2, v10, v2
	s_andn2_b64 vcc, exec, s[42:43]
	s_waitcnt lgkmcnt(0)
	v_mul_lo_u32 v12, v2, s44
	s_cbranch_vccnz .LBB83_50
; %bb.49:                               ;   in Loop: Header=BB83_9 Depth=1
	v_mul_hi_u32 v2, s8, v0
	v_add_u32_e32 v2, v0, v2
	v_lshrrev_b32_e32 v2, s14, v2
	v_mul_lo_u32 v2, v2, s12
	v_sub_u32_e32 v0, v0, v2
	v_mad_u64_u32 v[12:13], s[4:5], v0, s45, v[12:13]
.LBB83_50:                              ;   in Loop: Header=BB83_9 Depth=1
	v_mov_b32_e32 v0, v3
	s_waitcnt lgkmcnt(0)
	global_store_dwordx2 v12, v[0:1], s[46:47]
.LBB83_51:                              ;   in Loop: Header=BB83_9 Depth=1
	s_or_b64 exec, exec, s[2:3]
	v_mov_b32_e32 v0, s15
	v_add_co_u32_e32 v2, vcc, s13, v16
	v_addc_co_u32_e32 v3, vcc, v17, v0, vcc
	v_cmp_gt_i64_e32 vcc, s[24:25], v[2:3]
	s_and_saveexec_b64 s[2:3], vcc
	s_cbranch_execz .LBB83_67
; %bb.52:                               ;   in Loop: Header=BB83_9 Depth=1
	s_and_b64 vcc, exec, s[0:1]
	s_cbranch_vccnz .LBB83_58
; %bb.53:                               ;   in Loop: Header=BB83_9 Depth=1
	s_andn2_b64 vcc, exec, s[38:39]
	s_cbranch_vccnz .LBB83_59
; %bb.54:                               ;   in Loop: Header=BB83_9 Depth=1
	s_mov_b32 s6, 0
	s_andn2_b64 vcc, exec, s[48:49]
	v_mov_b32_e32 v10, 0
	s_cbranch_vccnz .LBB83_60
; %bb.55:                               ;   in Loop: Header=BB83_9 Depth=1
	s_mov_b32 s66, 0
	v_mov_b32_e32 v10, 0
	s_mov_b64 s[54:55], s[34:35]
	s_mov_b64 s[56:57], s[40:41]
	v_mov_b32_e32 v0, v2
.LBB83_56:                              ;   Parent Loop BB83_9 Depth=1
                                        ; =>  This Inner Loop Header: Depth=2
	s_load_dwordx8 s[16:23], s[54:55], 0x4
	s_load_dwordx4 s[4:7], s[54:55], 0x24
	s_load_dwordx4 s[28:31], s[56:57], 0x0
	s_add_u32 s54, s54, 48
	s_addc_u32 s55, s55, 0
	s_waitcnt lgkmcnt(0)
	v_mul_hi_u32 v3, s17, v0
	v_add_u32_e32 v3, v0, v3
	v_lshrrev_b32_e32 v3, s18, v3
	v_mul_lo_u32 v9, v3, s16
	v_mul_hi_u32 v11, s20, v3
	v_sub_u32_e32 v0, v0, v9
	v_add_u32_e32 v9, v3, v11
	v_lshrrev_b32_e32 v9, s21, v9
	v_mul_lo_u32 v11, v9, s19
	v_mul_hi_u32 v12, s23, v9
	v_sub_u32_e32 v3, v3, v11
	v_add_u32_e32 v11, v9, v12
	v_mul_lo_u32 v0, v0, s28
	v_mul_lo_u32 v3, v3, s29
	v_lshrrev_b32_e32 v11, s4, v11
	v_add3_u32 v3, v0, v10, v3
	v_mul_lo_u32 v0, v11, s22
	v_mul_hi_u32 v10, s6, v11
	v_sub_u32_e32 v0, v9, v0
	v_add_u32_e32 v9, v11, v10
	v_mul_lo_u32 v10, v0, s30
	v_lshrrev_b32_e32 v0, s7, v9
	s_add_i32 s66, s66, 4
	v_mul_lo_u32 v9, v0, s5
	s_add_u32 s56, s56, 16
	v_sub_u32_e32 v9, v11, v9
	s_addc_u32 s57, s57, 0
	v_mul_lo_u32 v9, v9, s31
	s_cmp_eq_u32 s65, s66
	v_add3_u32 v10, v10, v3, v9
	s_cbranch_scc0 .LBB83_56
; %bb.57:                               ;   in Loop: Header=BB83_9 Depth=1
	s_mov_b32 s6, s65
	s_andn2_b64 vcc, exec, s[52:53]
	s_cbranch_vccz .LBB83_61
	s_branch .LBB83_63
.LBB83_58:                              ;   in Loop: Header=BB83_9 Depth=1
                                        ; implicit-def: $vgpr10
	s_branch .LBB83_64
.LBB83_59:                              ;   in Loop: Header=BB83_9 Depth=1
	v_mov_b32_e32 v10, 0
	s_branch .LBB83_63
.LBB83_60:                              ;   in Loop: Header=BB83_9 Depth=1
	v_mov_b32_e32 v0, v2
	s_andn2_b64 vcc, exec, s[52:53]
	s_cbranch_vccnz .LBB83_63
.LBB83_61:                              ;   in Loop: Header=BB83_9 Depth=1
	s_lshl_b32 s4, s6, 2
	s_add_u32 s4, s40, s4
	s_addc_u32 s5, s41, 0
	s_mul_i32 s6, s6, 12
	s_add_u32 s6, s34, s6
	s_addc_u32 s7, s35, 0
	s_mov_b32 s16, s64
.LBB83_62:                              ;   Parent Loop BB83_9 Depth=1
                                        ; =>  This Inner Loop Header: Depth=2
	s_load_dwordx2 s[18:19], s[6:7], 0x4
	s_load_dword s17, s[6:7], 0xc
	s_load_dword s20, s[4:5], 0x0
	s_add_u32 s6, s6, 12
	s_addc_u32 s7, s7, 0
	s_waitcnt lgkmcnt(0)
	v_mul_hi_u32 v3, s19, v0
	v_add_u32_e32 v3, v0, v3
	v_lshrrev_b32_e32 v3, s17, v3
	s_add_u32 s4, s4, 4
	v_mul_lo_u32 v9, v3, s18
	s_addc_u32 s5, s5, 0
	s_add_i32 s16, s16, -1
	v_sub_u32_e32 v9, v0, v9
	s_cmp_lg_u32 s16, 0
	v_mov_b32_e32 v0, v3
	v_mad_u64_u32 v[10:11], s[18:19], v9, s20, v[10:11]
	s_cbranch_scc1 .LBB83_62
.LBB83_63:                              ;   in Loop: Header=BB83_9 Depth=1
	s_cbranch_execnz .LBB83_66
.LBB83_64:                              ;   in Loop: Header=BB83_9 Depth=1
	v_mul_hi_u32 v0, v2, s10
	v_add_u32_e32 v0, v0, v2
	v_lshrrev_b32_e32 v0, s11, v0
	v_mul_lo_u32 v3, v0, s9
	v_sub_u32_e32 v2, v2, v3
	s_andn2_b64 vcc, exec, s[42:43]
	s_waitcnt lgkmcnt(0)
	v_mul_lo_u32 v10, v2, s44
	s_cbranch_vccnz .LBB83_66
; %bb.65:                               ;   in Loop: Header=BB83_9 Depth=1
	v_mul_hi_u32 v2, s8, v0
	v_add_u32_e32 v2, v0, v2
	v_lshrrev_b32_e32 v2, s14, v2
	v_mul_lo_u32 v2, v2, s12
	v_sub_u32_e32 v0, v0, v2
	v_mad_u64_u32 v[10:11], s[4:5], v0, s45, v[10:11]
.LBB83_66:                              ;   in Loop: Header=BB83_9 Depth=1
	v_mov_b32_e32 v0, v4
	s_waitcnt lgkmcnt(0)
	global_store_dwordx2 v10, v[0:1], s[46:47]
.LBB83_67:                              ;   in Loop: Header=BB83_9 Depth=1
	s_or_b64 exec, exec, s[2:3]
	v_mov_b32_e32 v0, s63
	v_add_co_u32_e32 v2, vcc, s62, v16
	v_addc_co_u32_e32 v3, vcc, v17, v0, vcc
	v_cmp_gt_i64_e32 vcc, s[24:25], v[2:3]
	s_and_saveexec_b64 s[28:29], vcc
	s_cbranch_execz .LBB83_8
; %bb.68:                               ;   in Loop: Header=BB83_9 Depth=1
	s_and_b64 vcc, exec, s[0:1]
	s_cbranch_vccnz .LBB83_74
; %bb.69:                               ;   in Loop: Header=BB83_9 Depth=1
	s_andn2_b64 vcc, exec, s[38:39]
	s_cbranch_vccnz .LBB83_75
; %bb.70:                               ;   in Loop: Header=BB83_9 Depth=1
	s_mov_b32 s2, 0
	s_andn2_b64 vcc, exec, s[48:49]
	v_mov_b32_e32 v10, 0
	s_cbranch_vccnz .LBB83_76
; %bb.71:                               ;   in Loop: Header=BB83_9 Depth=1
	s_mov_b32 s56, 0
	v_mov_b32_e32 v10, 0
	s_mov_b64 s[30:31], s[34:35]
	s_mov_b64 s[54:55], s[40:41]
	v_mov_b32_e32 v0, v2
.LBB83_72:                              ;   Parent Loop BB83_9 Depth=1
                                        ; =>  This Inner Loop Header: Depth=2
	s_load_dwordx8 s[0:7], s[30:31], 0x4
	s_load_dwordx4 s[16:19], s[30:31], 0x24
	s_load_dwordx4 s[20:23], s[54:55], 0x0
	s_add_u32 s30, s30, 48
	s_addc_u32 s31, s31, 0
	s_waitcnt lgkmcnt(0)
	v_mul_hi_u32 v3, s1, v0
	v_add_u32_e32 v3, v0, v3
	v_lshrrev_b32_e32 v3, s2, v3
	v_mul_lo_u32 v4, v3, s0
	v_mul_hi_u32 v9, s4, v3
	v_sub_u32_e32 v0, v0, v4
	v_add_u32_e32 v4, v3, v9
	v_lshrrev_b32_e32 v4, s5, v4
	v_mul_lo_u32 v9, v4, s3
	v_mul_hi_u32 v11, s7, v4
	v_sub_u32_e32 v3, v3, v9
	v_add_u32_e32 v9, v4, v11
	v_mul_lo_u32 v0, v0, s20
	v_mul_lo_u32 v3, v3, s21
	v_lshrrev_b32_e32 v9, s16, v9
	v_add3_u32 v3, v0, v10, v3
	v_mul_lo_u32 v0, v9, s6
	v_mul_hi_u32 v10, s18, v9
	v_sub_u32_e32 v0, v4, v0
	v_add_u32_e32 v4, v9, v10
	v_mul_lo_u32 v10, v0, s22
	v_lshrrev_b32_e32 v0, s19, v4
	s_add_i32 s56, s56, 4
	v_mul_lo_u32 v4, v0, s17
	s_add_u32 s54, s54, 16
	v_sub_u32_e32 v4, v9, v4
	s_addc_u32 s55, s55, 0
	v_mul_lo_u32 v4, v4, s23
	s_cmp_eq_u32 s65, s56
	v_add3_u32 v10, v10, v3, v4
	s_cbranch_scc0 .LBB83_72
; %bb.73:                               ;   in Loop: Header=BB83_9 Depth=1
	s_mov_b32 s2, s65
	s_andn2_b64 vcc, exec, s[52:53]
	s_cbranch_vccz .LBB83_77
	s_branch .LBB83_79
.LBB83_74:                              ;   in Loop: Header=BB83_9 Depth=1
                                        ; implicit-def: $vgpr10
	s_branch .LBB83_80
.LBB83_75:                              ;   in Loop: Header=BB83_9 Depth=1
	v_mov_b32_e32 v10, 0
	s_branch .LBB83_79
.LBB83_76:                              ;   in Loop: Header=BB83_9 Depth=1
	v_mov_b32_e32 v0, v2
	s_andn2_b64 vcc, exec, s[52:53]
	s_cbranch_vccnz .LBB83_79
.LBB83_77:                              ;   in Loop: Header=BB83_9 Depth=1
	s_lshl_b32 s0, s2, 2
	s_add_u32 s0, s40, s0
	s_addc_u32 s1, s41, 0
	s_mul_i32 s2, s2, 12
	s_add_u32 s2, s34, s2
	s_addc_u32 s3, s35, 0
	s_mov_b32 s4, s64
.LBB83_78:                              ;   Parent Loop BB83_9 Depth=1
                                        ; =>  This Inner Loop Header: Depth=2
	s_load_dwordx2 s[6:7], s[2:3], 0x4
	s_load_dword s5, s[2:3], 0xc
	s_load_dword s16, s[0:1], 0x0
	s_add_u32 s2, s2, 12
	s_addc_u32 s3, s3, 0
	s_waitcnt lgkmcnt(0)
	v_mul_hi_u32 v3, s7, v0
	v_add_u32_e32 v3, v0, v3
	v_lshrrev_b32_e32 v3, s5, v3
	s_add_u32 s0, s0, 4
	v_mul_lo_u32 v4, v3, s6
	s_addc_u32 s1, s1, 0
	s_add_i32 s4, s4, -1
	v_sub_u32_e32 v4, v0, v4
	s_cmp_lg_u32 s4, 0
	v_mov_b32_e32 v0, v3
	v_mad_u64_u32 v[10:11], s[6:7], v4, s16, v[10:11]
	s_cbranch_scc1 .LBB83_78
.LBB83_79:                              ;   in Loop: Header=BB83_9 Depth=1
	s_cbranch_execnz .LBB83_7
.LBB83_80:                              ;   in Loop: Header=BB83_9 Depth=1
	v_mul_hi_u32 v0, v2, s10
	v_add_u32_e32 v0, v0, v2
	v_lshrrev_b32_e32 v0, s11, v0
	v_mul_lo_u32 v3, v0, s9
	v_sub_u32_e32 v2, v2, v3
	s_andn2_b64 vcc, exec, s[42:43]
	s_waitcnt lgkmcnt(0)
	v_mul_lo_u32 v10, v2, s44
	s_cbranch_vccnz .LBB83_7
; %bb.81:                               ;   in Loop: Header=BB83_9 Depth=1
	v_mul_hi_u32 v2, s8, v0
	v_add_u32_e32 v2, v0, v2
	v_lshrrev_b32_e32 v2, s14, v2
	v_mul_lo_u32 v2, v2, s12
	v_sub_u32_e32 v0, v0, v2
	v_mad_u64_u32 v[10:11], s[0:1], v0, s45, v[10:11]
	s_branch .LBB83_7
.LBB83_82:
	s_endpgm
.LBB83_83:
                                        ; implicit-def: $sgpr2_sgpr3
	s_andn2_b64 vcc, exec, s[0:1]
	s_cbranch_vccz .LBB83_4
	s_branch .LBB83_5
	.section	.rodata,"a",@progbits
	.p2align	6, 0x0
	.amdhsa_kernel _ZN2at6native12_GLOBAL__N_143distribution_elementwise_grid_stride_kernelIjLi4EZZZNS0_9templates4cuda13random_kernelIPNS_17CUDAGeneratorImplEEEvRNS_18TensorIteratorBaseET_ENKUlvE_clEvENKUlvE2_clEvEUlP25hiprandStatePhilox4_32_10E0_ZNS1_27distribution_nullary_kernelIlj15HIP_vector_typeIjLj4EES7_SF_ZZZNS5_IS7_EEvS9_SA_ENKSB_clEvENKSC_clEvEUljE_EEvS9_T2_RKT3_T4_EUlijE0_EEvlNS_15PhiloxCudaStateET1_SK_
		.amdhsa_group_segment_fixed_size 0
		.amdhsa_private_segment_fixed_size 0
		.amdhsa_kernarg_size 584
		.amdhsa_user_sgpr_count 6
		.amdhsa_user_sgpr_private_segment_buffer 1
		.amdhsa_user_sgpr_dispatch_ptr 0
		.amdhsa_user_sgpr_queue_ptr 0
		.amdhsa_user_sgpr_kernarg_segment_ptr 1
		.amdhsa_user_sgpr_dispatch_id 0
		.amdhsa_user_sgpr_flat_scratch_init 0
		.amdhsa_user_sgpr_kernarg_preload_length 0
		.amdhsa_user_sgpr_kernarg_preload_offset 0
		.amdhsa_user_sgpr_private_segment_size 0
		.amdhsa_uses_dynamic_stack 0
		.amdhsa_system_sgpr_private_segment_wavefront_offset 0
		.amdhsa_system_sgpr_workgroup_id_x 1
		.amdhsa_system_sgpr_workgroup_id_y 0
		.amdhsa_system_sgpr_workgroup_id_z 0
		.amdhsa_system_sgpr_workgroup_info 0
		.amdhsa_system_vgpr_workitem_id 0
		.amdhsa_next_free_vgpr 43
		.amdhsa_next_free_sgpr 67
		.amdhsa_accum_offset 44
		.amdhsa_reserve_vcc 1
		.amdhsa_reserve_flat_scratch 0
		.amdhsa_float_round_mode_32 0
		.amdhsa_float_round_mode_16_64 0
		.amdhsa_float_denorm_mode_32 3
		.amdhsa_float_denorm_mode_16_64 3
		.amdhsa_dx10_clamp 1
		.amdhsa_ieee_mode 1
		.amdhsa_fp16_overflow 0
		.amdhsa_tg_split 0
		.amdhsa_exception_fp_ieee_invalid_op 0
		.amdhsa_exception_fp_denorm_src 0
		.amdhsa_exception_fp_ieee_div_zero 0
		.amdhsa_exception_fp_ieee_overflow 0
		.amdhsa_exception_fp_ieee_underflow 0
		.amdhsa_exception_fp_ieee_inexact 0
		.amdhsa_exception_int_div_zero 0
	.end_amdhsa_kernel
	.section	.text._ZN2at6native12_GLOBAL__N_143distribution_elementwise_grid_stride_kernelIjLi4EZZZNS0_9templates4cuda13random_kernelIPNS_17CUDAGeneratorImplEEEvRNS_18TensorIteratorBaseET_ENKUlvE_clEvENKUlvE2_clEvEUlP25hiprandStatePhilox4_32_10E0_ZNS1_27distribution_nullary_kernelIlj15HIP_vector_typeIjLj4EES7_SF_ZZZNS5_IS7_EEvS9_SA_ENKSB_clEvENKSC_clEvEUljE_EEvS9_T2_RKT3_T4_EUlijE0_EEvlNS_15PhiloxCudaStateET1_SK_,"axG",@progbits,_ZN2at6native12_GLOBAL__N_143distribution_elementwise_grid_stride_kernelIjLi4EZZZNS0_9templates4cuda13random_kernelIPNS_17CUDAGeneratorImplEEEvRNS_18TensorIteratorBaseET_ENKUlvE_clEvENKUlvE2_clEvEUlP25hiprandStatePhilox4_32_10E0_ZNS1_27distribution_nullary_kernelIlj15HIP_vector_typeIjLj4EES7_SF_ZZZNS5_IS7_EEvS9_SA_ENKSB_clEvENKSC_clEvEUljE_EEvS9_T2_RKT3_T4_EUlijE0_EEvlNS_15PhiloxCudaStateET1_SK_,comdat
.Lfunc_end83:
	.size	_ZN2at6native12_GLOBAL__N_143distribution_elementwise_grid_stride_kernelIjLi4EZZZNS0_9templates4cuda13random_kernelIPNS_17CUDAGeneratorImplEEEvRNS_18TensorIteratorBaseET_ENKUlvE_clEvENKUlvE2_clEvEUlP25hiprandStatePhilox4_32_10E0_ZNS1_27distribution_nullary_kernelIlj15HIP_vector_typeIjLj4EES7_SF_ZZZNS5_IS7_EEvS9_SA_ENKSB_clEvENKSC_clEvEUljE_EEvS9_T2_RKT3_T4_EUlijE0_EEvlNS_15PhiloxCudaStateET1_SK_, .Lfunc_end83-_ZN2at6native12_GLOBAL__N_143distribution_elementwise_grid_stride_kernelIjLi4EZZZNS0_9templates4cuda13random_kernelIPNS_17CUDAGeneratorImplEEEvRNS_18TensorIteratorBaseET_ENKUlvE_clEvENKUlvE2_clEvEUlP25hiprandStatePhilox4_32_10E0_ZNS1_27distribution_nullary_kernelIlj15HIP_vector_typeIjLj4EES7_SF_ZZZNS5_IS7_EEvS9_SA_ENKSB_clEvENKSC_clEvEUljE_EEvS9_T2_RKT3_T4_EUlijE0_EEvlNS_15PhiloxCudaStateET1_SK_
                                        ; -- End function
	.section	.AMDGPU.csdata,"",@progbits
; Kernel info:
; codeLenInByte = 4348
; NumSgprs: 71
; NumVgprs: 43
; NumAgprs: 0
; TotalNumVgprs: 43
; ScratchSize: 0
; MemoryBound: 0
; FloatMode: 240
; IeeeMode: 1
; LDSByteSize: 0 bytes/workgroup (compile time only)
; SGPRBlocks: 8
; VGPRBlocks: 5
; NumSGPRsForWavesPerEU: 71
; NumVGPRsForWavesPerEU: 43
; AccumOffset: 44
; Occupancy: 8
; WaveLimiterHint : 1
; COMPUTE_PGM_RSRC2:SCRATCH_EN: 0
; COMPUTE_PGM_RSRC2:USER_SGPR: 6
; COMPUTE_PGM_RSRC2:TRAP_HANDLER: 0
; COMPUTE_PGM_RSRC2:TGID_X_EN: 1
; COMPUTE_PGM_RSRC2:TGID_Y_EN: 0
; COMPUTE_PGM_RSRC2:TGID_Z_EN: 0
; COMPUTE_PGM_RSRC2:TIDIG_COMP_CNT: 0
; COMPUTE_PGM_RSRC3_GFX90A:ACCUM_OFFSET: 10
; COMPUTE_PGM_RSRC3_GFX90A:TG_SPLIT: 0
	.section	.text._ZN2at6native12_GLOBAL__N_143distribution_elementwise_grid_stride_kernelImLi2EZZZNS0_9templates4cuda13random_kernelIPNS_17CUDAGeneratorImplEEEvRNS_18TensorIteratorBaseET_ENKUlvE_clEvENKUlvE3_clEvEUlP25hiprandStatePhilox4_32_10E_ZNS1_27distribution_nullary_kernelIsm15HIP_vector_typeIyLj2EES7_SF_ZZZNS5_IS7_EEvS9_SA_ENKSB_clEvENKSC_clEvEUlmE_EEvS9_T2_RKT3_T4_EUlimE_EEvlNS_15PhiloxCudaStateET1_SK_,"axG",@progbits,_ZN2at6native12_GLOBAL__N_143distribution_elementwise_grid_stride_kernelImLi2EZZZNS0_9templates4cuda13random_kernelIPNS_17CUDAGeneratorImplEEEvRNS_18TensorIteratorBaseET_ENKUlvE_clEvENKUlvE3_clEvEUlP25hiprandStatePhilox4_32_10E_ZNS1_27distribution_nullary_kernelIsm15HIP_vector_typeIyLj2EES7_SF_ZZZNS5_IS7_EEvS9_SA_ENKSB_clEvENKSC_clEvEUlmE_EEvS9_T2_RKT3_T4_EUlimE_EEvlNS_15PhiloxCudaStateET1_SK_,comdat
	.globl	_ZN2at6native12_GLOBAL__N_143distribution_elementwise_grid_stride_kernelImLi2EZZZNS0_9templates4cuda13random_kernelIPNS_17CUDAGeneratorImplEEEvRNS_18TensorIteratorBaseET_ENKUlvE_clEvENKUlvE3_clEvEUlP25hiprandStatePhilox4_32_10E_ZNS1_27distribution_nullary_kernelIsm15HIP_vector_typeIyLj2EES7_SF_ZZZNS5_IS7_EEvS9_SA_ENKSB_clEvENKSC_clEvEUlmE_EEvS9_T2_RKT3_T4_EUlimE_EEvlNS_15PhiloxCudaStateET1_SK_ ; -- Begin function _ZN2at6native12_GLOBAL__N_143distribution_elementwise_grid_stride_kernelImLi2EZZZNS0_9templates4cuda13random_kernelIPNS_17CUDAGeneratorImplEEEvRNS_18TensorIteratorBaseET_ENKUlvE_clEvENKUlvE3_clEvEUlP25hiprandStatePhilox4_32_10E_ZNS1_27distribution_nullary_kernelIsm15HIP_vector_typeIyLj2EES7_SF_ZZZNS5_IS7_EEvS9_SA_ENKSB_clEvENKSC_clEvEUlmE_EEvS9_T2_RKT3_T4_EUlimE_EEvlNS_15PhiloxCudaStateET1_SK_
	.p2align	8
	.type	_ZN2at6native12_GLOBAL__N_143distribution_elementwise_grid_stride_kernelImLi2EZZZNS0_9templates4cuda13random_kernelIPNS_17CUDAGeneratorImplEEEvRNS_18TensorIteratorBaseET_ENKUlvE_clEvENKUlvE3_clEvEUlP25hiprandStatePhilox4_32_10E_ZNS1_27distribution_nullary_kernelIsm15HIP_vector_typeIyLj2EES7_SF_ZZZNS5_IS7_EEvS9_SA_ENKSB_clEvENKSC_clEvEUlmE_EEvS9_T2_RKT3_T4_EUlimE_EEvlNS_15PhiloxCudaStateET1_SK_,@function
_ZN2at6native12_GLOBAL__N_143distribution_elementwise_grid_stride_kernelImLi2EZZZNS0_9templates4cuda13random_kernelIPNS_17CUDAGeneratorImplEEEvRNS_18TensorIteratorBaseET_ENKUlvE_clEvENKUlvE3_clEvEUlP25hiprandStatePhilox4_32_10E_ZNS1_27distribution_nullary_kernelIsm15HIP_vector_typeIyLj2EES7_SF_ZZZNS5_IS7_EEvS9_SA_ENKSB_clEvENKSC_clEvEUlmE_EEvS9_T2_RKT3_T4_EUlimE_EEvlNS_15PhiloxCudaStateET1_SK_: ; @_ZN2at6native12_GLOBAL__N_143distribution_elementwise_grid_stride_kernelImLi2EZZZNS0_9templates4cuda13random_kernelIPNS_17CUDAGeneratorImplEEEvRNS_18TensorIteratorBaseET_ENKUlvE_clEvENKUlvE3_clEvEUlP25hiprandStatePhilox4_32_10E_ZNS1_27distribution_nullary_kernelIsm15HIP_vector_typeIyLj2EES7_SF_ZZZNS5_IS7_EEvS9_SA_ENKSB_clEvENKSC_clEvEUlmE_EEvS9_T2_RKT3_T4_EUlimE_EEvlNS_15PhiloxCudaStateET1_SK_
; %bb.0:
	s_load_dword s7, s[4:5], 0x20
	s_load_dwordx2 s[10:11], s[4:5], 0x10
	s_load_dwordx4 s[0:3], s[4:5], 0x0
	s_mov_b32 s8, 0
	s_waitcnt lgkmcnt(0)
	s_bitcmp0_b32 s7, 0
	v_pk_mov_b32 v[2:3], s[10:11], s[10:11] op_sel:[0,1]
	v_pk_mov_b32 v[12:13], s[2:3], s[2:3] op_sel:[0,1]
	s_cbranch_scc1 .LBB84_2
; %bb.1:
	v_pk_mov_b32 v[2:3], s[10:11], s[10:11] op_sel:[0,1]
	flat_load_dwordx2 v[2:3], v[2:3]
	v_pk_mov_b32 v[4:5], s[2:3], s[2:3] op_sel:[0,1]
	flat_load_dwordx2 v[12:13], v[4:5]
	s_load_dwordx2 s[2:3], s[4:5], 0x18
	s_waitcnt lgkmcnt(0)
	v_mov_b32_e32 v1, s3
	s_waitcnt vmcnt(0)
	v_add_co_u32_e32 v2, vcc, s2, v2
	v_addc_co_u32_e32 v3, vcc, v3, v1, vcc
.LBB84_2:
	s_load_dword s2, s[4:5], 0x4c
	s_load_dword s10, s[4:5], 0x40
	s_waitcnt lgkmcnt(0)
	s_and_b32 s7, s2, 0xffff
	s_add_u32 s11, s0, -1
	s_mul_i32 s12, s10, s7
	s_addc_u32 s9, s1, -1
	s_lshl_b32 s13, s12, 1
	s_cmp_lg_u64 s[8:9], 0
	s_mov_b64 s[2:3], -1
	s_cbranch_scc0 .LBB84_23
; %bb.3:
	v_cvt_f32_u32_e32 v1, s13
	v_cvt_f32_ubyte0_e32 v4, 0
	s_sub_u32 s8, 0, s13
	s_subb_u32 s14, 0, 0
	v_madmk_f32 v1, v4, 0x4f800000, v1
	v_rcp_f32_e32 v1, v1
	v_mul_f32_e32 v1, 0x5f7ffffc, v1
	v_mul_f32_e32 v4, 0x2f800000, v1
	v_trunc_f32_e32 v4, v4
	v_madmk_f32 v1, v4, 0xcf800000, v1
	v_cvt_u32_f32_e32 v4, v4
	v_cvt_u32_f32_e32 v1, v1
	v_readfirstlane_b32 s15, v4
	v_readfirstlane_b32 s16, v1
	s_mul_i32 s17, s8, s15
	s_mul_hi_u32 s19, s8, s16
	s_mul_i32 s18, s14, s16
	s_add_i32 s17, s19, s17
	s_add_i32 s17, s17, s18
	s_mul_i32 s20, s8, s16
	s_mul_hi_u32 s18, s16, s17
	s_mul_i32 s19, s16, s17
	s_mul_hi_u32 s16, s16, s20
	s_add_u32 s16, s16, s19
	s_addc_u32 s18, 0, s18
	s_mul_hi_u32 s21, s15, s20
	s_mul_i32 s20, s15, s20
	s_add_u32 s16, s16, s20
	s_mul_hi_u32 s19, s15, s17
	s_addc_u32 s16, s18, s21
	s_addc_u32 s18, s19, 0
	s_mul_i32 s17, s15, s17
	s_add_u32 s16, s16, s17
	s_addc_u32 s17, 0, s18
	v_add_co_u32_e32 v1, vcc, s16, v1
	s_cmp_lg_u64 vcc, 0
	s_addc_u32 s15, s15, s17
	v_readfirstlane_b32 s17, v1
	s_mul_i32 s16, s8, s15
	s_mul_hi_u32 s18, s8, s17
	s_add_i32 s16, s18, s16
	s_mul_i32 s14, s14, s17
	s_add_i32 s16, s16, s14
	s_mul_i32 s8, s8, s17
	s_mul_hi_u32 s18, s15, s8
	s_mul_i32 s19, s15, s8
	s_mul_i32 s21, s17, s16
	s_mul_hi_u32 s8, s17, s8
	s_mul_hi_u32 s20, s17, s16
	s_add_u32 s8, s8, s21
	s_addc_u32 s17, 0, s20
	s_add_u32 s8, s8, s19
	s_mul_hi_u32 s14, s15, s16
	s_addc_u32 s8, s17, s18
	s_addc_u32 s14, s14, 0
	s_mul_i32 s16, s15, s16
	s_add_u32 s8, s8, s16
	s_addc_u32 s14, 0, s14
	v_add_co_u32_e32 v1, vcc, s8, v1
	s_cmp_lg_u64 vcc, 0
	s_addc_u32 s16, s15, s14
	s_ashr_i32 s14, s9, 31
	s_add_u32 s8, s11, s14
	s_mov_b32 s15, s14
	s_addc_u32 s9, s9, s14
	s_xor_b64 s[8:9], s[8:9], s[14:15]
	v_readfirstlane_b32 s19, v1
	s_mul_i32 s18, s8, s16
	s_mul_hi_u32 s20, s8, s19
	s_mul_hi_u32 s17, s8, s16
	s_add_u32 s18, s20, s18
	s_addc_u32 s17, 0, s17
	s_mul_hi_u32 s21, s9, s19
	s_mul_i32 s19, s9, s19
	s_add_u32 s18, s18, s19
	s_mul_hi_u32 s20, s9, s16
	s_addc_u32 s17, s17, s21
	s_addc_u32 s18, s20, 0
	s_mul_i32 s16, s9, s16
	s_add_u32 s16, s17, s16
	s_addc_u32 s17, 0, s18
	s_add_u32 s18, s16, 1
	s_addc_u32 s19, s17, 0
	s_add_u32 s20, s16, 2
	s_mul_i32 s22, s13, s17
	s_mul_hi_u32 s23, s13, s16
	s_addc_u32 s21, s17, 0
	s_add_i32 s23, s23, s22
	s_mul_i32 s22, s13, s16
	v_mov_b32_e32 v1, s22
	v_sub_co_u32_e32 v1, vcc, s8, v1
	s_cmp_lg_u64 vcc, 0
	s_subb_u32 s8, s9, s23
	v_subrev_co_u32_e32 v4, vcc, s13, v1
	s_cmp_lg_u64 vcc, 0
	s_subb_u32 s9, s8, 0
	v_readfirstlane_b32 s22, v4
	s_cmp_ge_u32 s22, s13
	s_cselect_b32 s22, -1, 0
	s_cmp_eq_u32 s9, 0
	s_cselect_b32 s9, s22, -1
	s_cmp_lg_u32 s9, 0
	s_cselect_b32 s9, s21, s19
	v_readfirstlane_b32 s19, v1
	s_cselect_b32 s18, s20, s18
	s_cmp_ge_u32 s19, s13
	s_cselect_b32 s19, -1, 0
	s_cmp_eq_u32 s8, 0
	s_cselect_b32 s8, s19, -1
	s_cmp_lg_u32 s8, 0
	s_cselect_b32 s9, s9, s17
	s_cselect_b32 s8, s18, s16
	s_xor_b64 s[8:9], s[8:9], s[14:15]
	s_sub_u32 s8, s8, s14
	s_subb_u32 s9, s9, s14
	s_cbranch_execnz .LBB84_5
.LBB84_4:
	v_cvt_f32_u32_e32 v1, s13
	s_sub_i32 s2, 0, s13
	s_mov_b32 s9, 0
	v_rcp_iflag_f32_e32 v1, v1
	v_mul_f32_e32 v1, 0x4f7ffffe, v1
	v_cvt_u32_f32_e32 v1, v1
	v_readfirstlane_b32 s3, v1
	s_mul_i32 s2, s2, s3
	s_mul_hi_u32 s2, s3, s2
	s_add_i32 s3, s3, s2
	s_mul_hi_u32 s2, s11, s3
	s_mul_i32 s8, s2, s13
	s_sub_i32 s8, s11, s8
	s_add_i32 s3, s2, 1
	s_sub_i32 s11, s8, s13
	s_cmp_ge_u32 s8, s13
	s_cselect_b32 s2, s3, s2
	s_cselect_b32 s8, s11, s8
	s_add_i32 s3, s2, 1
	s_cmp_ge_u32 s8, s13
	s_cselect_b32 s8, s3, s2
.LBB84_5:
	v_mov_b32_e32 v1, 0
	v_mov_b32_e32 v4, s6
	v_mad_u64_u32 v[14:15], s[2:3], s7, v4, v[0:1]
	s_add_u32 s2, s8, 1
	s_addc_u32 s3, s9, 0
	s_mul_hi_u32 s8, s10, s7
	s_mul_i32 s3, s12, s3
	s_mul_hi_u32 s9, s12, s2
	s_add_i32 s3, s9, s3
	s_mul_i32 s8, s8, s2
	s_add_i32 s3, s3, s8
	s_mul_i32 s2, s12, s2
	s_lshl_b64 s[2:3], s[2:3], 1
	v_cmp_gt_i64_e32 vcc, s[2:3], v[14:15]
	s_and_saveexec_b64 s[8:9], vcc
	s_cbranch_execz .LBB84_22
; %bb.6:
	s_load_dwordx2 s[8:9], s[4:5], 0x30
	s_load_dword s11, s[4:5], 0x38
	s_mov_b32 s4, 0x5384540f
	v_mov_b32_e32 v4, v13
	v_add_co_u32_e32 v20, vcc, s4, v12
	s_mov_b32 s4, 0x646e171e
	v_add_co_u32_e32 v21, vcc, s4, v4
	s_mov_b32 s4, 0x1715609d
	;; [unrolled: 2-line block ×6, first 2 shown]
	v_alignbit_b32 v27, v3, v2, 2
	s_mov_b32 s15, 0xd2511f53
	v_add_co_u32_e32 v26, vcc, s4, v12
	v_mad_u64_u32 v[6:7], s[4:5], v27, s15, 0
	v_xor_b32_e32 v1, v7, v13
	v_xor_b32_e32 v1, v1, v15
	s_mov_b32 s16, 0xcd9e8d57
	v_mad_u64_u32 v[8:9], s[4:5], v1, s16, 0
	v_xor_b32_e32 v1, v26, v9
	v_mad_u64_u32 v[10:11], s[4:5], v14, s16, 0
	v_and_b32_e32 v16, 3, v2
	v_xor_b32_e32 v1, v1, v10
	v_xor_b32_e32 v2, v12, v11
	v_lshrrev_b32_e32 v28, 2, v3
	v_mad_u64_u32 v[32:33], s[4:5], v1, s15, 0
	v_xor_b32_e32 v2, v2, v28
	v_xor_b32_e32 v1, v25, v33
	v_mad_u64_u32 v[2:3], s[4:5], v2, s15, 0
	v_xor_b32_e32 v1, v1, v2
	v_mad_u64_u32 v[10:11], s[4:5], v1, s16, 0
	s_mov_b32 s4, 0xbb67ae85
	v_add_co_u32_e32 v29, vcc, s4, v4
	v_xor_b32_e32 v2, v29, v3
	v_xor_b32_e32 v2, v2, v6
	v_xor_b32_e32 v1, v24, v11
	v_mad_u64_u32 v[2:3], s[4:5], v2, s16, 0
	v_xor_b32_e32 v1, v1, v2
	v_mad_u64_u32 v[6:7], s[4:5], v1, s15, 0
	s_mov_b32 s4, 0x3c6ef372
	v_add_co_u32_e32 v30, vcc, s4, v12
	v_xor_b32_e32 v2, v30, v3
	;; [unrolled: 8-line block ×6, first 2 shown]
	v_add_co_u32_e32 v19, vcc, 0xdb3d7428, v4
	v_xor_b32_e32 v2, v2, v8
	v_xor_b32_e32 v1, v19, v7
	v_mad_u64_u32 v[2:3], s[4:5], v2, s15, 0
	v_xor_b32_e32 v1, v1, v2
	v_mad_u64_u32 v[8:9], s[4:5], v1, s16, 0
	s_mov_b32 s4, 0x1fd5c5a3
	v_add_co_u32_e32 v35, vcc, s4, v4
	v_xor_b32_e32 v1, v35, v3
	v_xor_b32_e32 v1, v1, v36
	v_mad_u64_u32 v[2:3], s[4:5], v1, s16, 0
	s_mov_b32 s4, 0xf1bbcdc8
	v_add_co_u32_e32 v36, vcc, s4, v12
	v_xor_b32_e32 v1, v36, v3
	v_xor_b32_e32 v1, v1, v10
	v_mad_u64_u32 v[4:5], s[4:5], v1, s15, 0
	s_mul_i32 s4, s6, s7
	v_mov_b32_e32 v3, v4
	v_add_u32_e32 v4, s4, v0
	s_waitcnt lgkmcnt(0)
	s_mul_i32 s4, s10, s11
	s_mul_i32 s4, s4, s7
	s_lshl_b32 s17, s4, 1
	s_add_i32 s4, s6, s10
	s_mul_i32 s4, s4, s7
	s_mov_b32 s14, 0
	v_add_u32_e32 v18, 0x96a522ad, v13
	v_xor_b32_e32 v1, v5, v6
	v_add_u32_e32 v0, s4, v0
	v_add_u32_e32 v17, 0x8ff34781, v12
	v_xor_b32_e32 v2, v18, v1
	v_mov_b32_e32 v1, v8
	v_mul_lo_u32 v37, s11, v4
	v_mul_lo_u32 v38, s11, v0
	s_mov_b64 s[4:5], 0
	s_mov_b32 s18, s14
	v_mov_b32_e32 v39, v14
	v_mov_b32_e32 v40, v15
	s_branch .LBB84_8
.LBB84_7:                               ;   in Loop: Header=BB84_8 Depth=1
	s_or_b64 exec, exec, s[6:7]
	v_add_co_u32_e32 v14, vcc, s13, v14
	v_addc_co_u32_e32 v15, vcc, 0, v15, vcc
	v_mov_b32_e32 v7, v4
	s_add_i32 s18, s18, s17
	v_cmp_le_i64_e32 vcc, s[2:3], v[14:15]
	v_pk_mov_b32 v[0:1], v[4:5], v[4:5] op_sel:[0,1]
	s_or_b64 s[4:5], vcc, s[4:5]
	v_pk_mov_b32 v[2:3], v[6:7], v[6:7] op_sel:[0,1]
	s_barrier
	s_andn2_b64 exec, exec, s[4:5]
	s_cbranch_execz .LBB84_22
.LBB84_8:                               ; =>This Inner Loop Header: Depth=1
	v_add_co_u32_e32 v27, vcc, 1, v27
	v_cndmask_b32_e64 v0, 0, 1, vcc
	v_addc_co_u32_e32 v28, vcc, 0, v28, vcc
	v_cmp_eq_u32_e32 vcc, 0, v28
	v_cndmask_b32_e32 v0, 0, v0, vcc
	v_add_u32_e32 v39, v0, v39
	v_cmp_eq_u32_e32 vcc, 0, v39
	v_cndmask_b32_e32 v0, 0, v0, vcc
	v_mad_u64_u32 v[4:5], s[6:7], v27, s15, 0
	v_add_u32_e32 v40, v0, v40
	v_mad_u64_u32 v[6:7], s[6:7], v39, s16, 0
	v_xor_b32_e32 v5, v5, v13
	v_xor_b32_e32 v0, v7, v12
	v_xor_b32_e32 v5, v40, v5
	v_xor_b32_e32 v0, v28, v0
	v_mad_u64_u32 v[10:11], s[6:7], v5, s16, 0
	v_mad_u64_u32 v[8:9], s[6:7], v0, s15, 0
	v_xor_b32_e32 v0, v26, v11
	v_xor_b32_e32 v0, v0, v6
	v_xor_b32_e32 v5, v29, v9
	v_xor_b32_e32 v6, v5, v4
	v_mad_u64_u32 v[4:5], s[6:7], v0, s15, 0
	;; [unrolled: 6-line block ×9, first 2 shown]
	v_mad_u64_u32 v[4:5], s[6:7], v0, s15, 0
	v_xor_b32_e32 v0, v11, v42
	v_xor_b32_e32 v8, v17, v0
	;; [unrolled: 1-line block ×4, first 2 shown]
	v_mov_b32_e32 v5, v10
	v_mov_b32_e32 v6, v9
	v_cmp_lt_i32_e32 vcc, 1, v16
	s_and_saveexec_b64 s[6:7], vcc
	s_xor_b64 s[6:7], exec, s[6:7]
	s_cbranch_execnz .LBB84_14
; %bb.9:                                ;   in Loop: Header=BB84_8 Depth=1
	s_andn2_saveexec_b64 s[6:7], s[6:7]
	s_cbranch_execnz .LBB84_19
.LBB84_10:                              ;   in Loop: Header=BB84_8 Depth=1
	s_or_b64 exec, exec, s[6:7]
	v_cmp_gt_i64_e32 vcc, s[0:1], v[14:15]
	s_and_saveexec_b64 s[6:7], vcc
	s_cbranch_execz .LBB84_12
.LBB84_11:                              ;   in Loop: Header=BB84_8 Depth=1
	v_add_u32_e32 v0, s18, v37
	v_ashrrev_i32_e32 v2, 31, v0
	v_mov_b32_e32 v7, s9
	v_add_co_u32_e32 v8, vcc, s8, v0
	v_addc_co_u32_e32 v9, vcc, v7, v2, vcc
	v_and_b32_e32 v0, 0x7fff, v1
	global_store_short v[8:9], v0, off
.LBB84_12:                              ;   in Loop: Header=BB84_8 Depth=1
	s_or_b64 exec, exec, s[6:7]
	v_mov_b32_e32 v1, s14
	v_add_co_u32_e32 v0, vcc, s12, v14
	v_addc_co_u32_e32 v1, vcc, v1, v15, vcc
	v_cmp_gt_i64_e32 vcc, s[0:1], v[0:1]
	s_and_saveexec_b64 s[6:7], vcc
	s_cbranch_execz .LBB84_7
; %bb.13:                               ;   in Loop: Header=BB84_8 Depth=1
	v_add_u32_e32 v0, s18, v38
	v_ashrrev_i32_e32 v1, 31, v0
	v_mov_b32_e32 v2, s9
	v_add_co_u32_e32 v0, vcc, s8, v0
	v_addc_co_u32_e32 v1, vcc, v2, v1, vcc
	v_and_b32_e32 v2, 0x7fff, v3
	global_store_short v[0:1], v2, off
	s_branch .LBB84_7
.LBB84_14:                              ;   in Loop: Header=BB84_8 Depth=1
	v_cmp_lt_i32_e32 vcc, 2, v16
	s_and_saveexec_b64 s[10:11], vcc
	s_xor_b64 s[10:11], exec, s[10:11]
; %bb.15:                               ;   in Loop: Header=BB84_8 Depth=1
	v_mov_b32_e32 v7, v8
	v_pk_mov_b32 v[0:1], v[6:7], v[6:7] op_sel:[0,1]
	v_pk_mov_b32 v[2:3], v[8:9], v[8:9] op_sel:[0,1]
                                        ; implicit-def: $vgpr10_vgpr11
; %bb.16:                               ;   in Loop: Header=BB84_8 Depth=1
	s_andn2_saveexec_b64 s[10:11], s[10:11]
; %bb.17:                               ;   in Loop: Header=BB84_8 Depth=1
	v_mov_b32_e32 v1, v3
	v_mov_b32_e32 v3, v10
; %bb.18:                               ;   in Loop: Header=BB84_8 Depth=1
	s_or_b64 exec, exec, s[10:11]
                                        ; implicit-def: $vgpr8_vgpr9_vgpr10_vgpr11
	s_andn2_saveexec_b64 s[6:7], s[6:7]
	s_cbranch_execz .LBB84_10
.LBB84_19:                              ;   in Loop: Header=BB84_8 Depth=1
	v_cmp_eq_u32_e32 vcc, 1, v16
	s_and_saveexec_b64 s[10:11], vcc
; %bb.20:                               ;   in Loop: Header=BB84_8 Depth=1
	v_mov_b32_e32 v1, v2
	v_mov_b32_e32 v3, v8
; %bb.21:                               ;   in Loop: Header=BB84_8 Depth=1
	s_or_b64 exec, exec, s[10:11]
	s_or_b64 exec, exec, s[6:7]
	v_cmp_gt_i64_e32 vcc, s[0:1], v[14:15]
	s_and_saveexec_b64 s[6:7], vcc
	s_cbranch_execnz .LBB84_11
	s_branch .LBB84_12
.LBB84_22:
	s_endpgm
.LBB84_23:
                                        ; implicit-def: $sgpr8_sgpr9
	s_andn2_b64 vcc, exec, s[2:3]
	s_cbranch_vccz .LBB84_4
	s_branch .LBB84_5
	.section	.rodata,"a",@progbits
	.p2align	6, 0x0
	.amdhsa_kernel _ZN2at6native12_GLOBAL__N_143distribution_elementwise_grid_stride_kernelImLi2EZZZNS0_9templates4cuda13random_kernelIPNS_17CUDAGeneratorImplEEEvRNS_18TensorIteratorBaseET_ENKUlvE_clEvENKUlvE3_clEvEUlP25hiprandStatePhilox4_32_10E_ZNS1_27distribution_nullary_kernelIsm15HIP_vector_typeIyLj2EES7_SF_ZZZNS5_IS7_EEvS9_SA_ENKSB_clEvENKSC_clEvEUlmE_EEvS9_T2_RKT3_T4_EUlimE_EEvlNS_15PhiloxCudaStateET1_SK_
		.amdhsa_group_segment_fixed_size 0
		.amdhsa_private_segment_fixed_size 0
		.amdhsa_kernarg_size 320
		.amdhsa_user_sgpr_count 6
		.amdhsa_user_sgpr_private_segment_buffer 1
		.amdhsa_user_sgpr_dispatch_ptr 0
		.amdhsa_user_sgpr_queue_ptr 0
		.amdhsa_user_sgpr_kernarg_segment_ptr 1
		.amdhsa_user_sgpr_dispatch_id 0
		.amdhsa_user_sgpr_flat_scratch_init 0
		.amdhsa_user_sgpr_kernarg_preload_length 0
		.amdhsa_user_sgpr_kernarg_preload_offset 0
		.amdhsa_user_sgpr_private_segment_size 0
		.amdhsa_uses_dynamic_stack 0
		.amdhsa_system_sgpr_private_segment_wavefront_offset 0
		.amdhsa_system_sgpr_workgroup_id_x 1
		.amdhsa_system_sgpr_workgroup_id_y 0
		.amdhsa_system_sgpr_workgroup_id_z 0
		.amdhsa_system_sgpr_workgroup_info 0
		.amdhsa_system_vgpr_workitem_id 0
		.amdhsa_next_free_vgpr 44
		.amdhsa_next_free_sgpr 24
		.amdhsa_accum_offset 44
		.amdhsa_reserve_vcc 1
		.amdhsa_reserve_flat_scratch 0
		.amdhsa_float_round_mode_32 0
		.amdhsa_float_round_mode_16_64 0
		.amdhsa_float_denorm_mode_32 3
		.amdhsa_float_denorm_mode_16_64 3
		.amdhsa_dx10_clamp 1
		.amdhsa_ieee_mode 1
		.amdhsa_fp16_overflow 0
		.amdhsa_tg_split 0
		.amdhsa_exception_fp_ieee_invalid_op 0
		.amdhsa_exception_fp_denorm_src 0
		.amdhsa_exception_fp_ieee_div_zero 0
		.amdhsa_exception_fp_ieee_overflow 0
		.amdhsa_exception_fp_ieee_underflow 0
		.amdhsa_exception_fp_ieee_inexact 0
		.amdhsa_exception_int_div_zero 0
	.end_amdhsa_kernel
	.section	.text._ZN2at6native12_GLOBAL__N_143distribution_elementwise_grid_stride_kernelImLi2EZZZNS0_9templates4cuda13random_kernelIPNS_17CUDAGeneratorImplEEEvRNS_18TensorIteratorBaseET_ENKUlvE_clEvENKUlvE3_clEvEUlP25hiprandStatePhilox4_32_10E_ZNS1_27distribution_nullary_kernelIsm15HIP_vector_typeIyLj2EES7_SF_ZZZNS5_IS7_EEvS9_SA_ENKSB_clEvENKSC_clEvEUlmE_EEvS9_T2_RKT3_T4_EUlimE_EEvlNS_15PhiloxCudaStateET1_SK_,"axG",@progbits,_ZN2at6native12_GLOBAL__N_143distribution_elementwise_grid_stride_kernelImLi2EZZZNS0_9templates4cuda13random_kernelIPNS_17CUDAGeneratorImplEEEvRNS_18TensorIteratorBaseET_ENKUlvE_clEvENKUlvE3_clEvEUlP25hiprandStatePhilox4_32_10E_ZNS1_27distribution_nullary_kernelIsm15HIP_vector_typeIyLj2EES7_SF_ZZZNS5_IS7_EEvS9_SA_ENKSB_clEvENKSC_clEvEUlmE_EEvS9_T2_RKT3_T4_EUlimE_EEvlNS_15PhiloxCudaStateET1_SK_,comdat
.Lfunc_end84:
	.size	_ZN2at6native12_GLOBAL__N_143distribution_elementwise_grid_stride_kernelImLi2EZZZNS0_9templates4cuda13random_kernelIPNS_17CUDAGeneratorImplEEEvRNS_18TensorIteratorBaseET_ENKUlvE_clEvENKUlvE3_clEvEUlP25hiprandStatePhilox4_32_10E_ZNS1_27distribution_nullary_kernelIsm15HIP_vector_typeIyLj2EES7_SF_ZZZNS5_IS7_EEvS9_SA_ENKSB_clEvENKSC_clEvEUlmE_EEvS9_T2_RKT3_T4_EUlimE_EEvlNS_15PhiloxCudaStateET1_SK_, .Lfunc_end84-_ZN2at6native12_GLOBAL__N_143distribution_elementwise_grid_stride_kernelImLi2EZZZNS0_9templates4cuda13random_kernelIPNS_17CUDAGeneratorImplEEEvRNS_18TensorIteratorBaseET_ENKUlvE_clEvENKUlvE3_clEvEUlP25hiprandStatePhilox4_32_10E_ZNS1_27distribution_nullary_kernelIsm15HIP_vector_typeIyLj2EES7_SF_ZZZNS5_IS7_EEvS9_SA_ENKSB_clEvENKSC_clEvEUlmE_EEvS9_T2_RKT3_T4_EUlimE_EEvlNS_15PhiloxCudaStateET1_SK_
                                        ; -- End function
	.section	.AMDGPU.csdata,"",@progbits
; Kernel info:
; codeLenInByte = 2148
; NumSgprs: 28
; NumVgprs: 44
; NumAgprs: 0
; TotalNumVgprs: 44
; ScratchSize: 0
; MemoryBound: 0
; FloatMode: 240
; IeeeMode: 1
; LDSByteSize: 0 bytes/workgroup (compile time only)
; SGPRBlocks: 3
; VGPRBlocks: 5
; NumSGPRsForWavesPerEU: 28
; NumVGPRsForWavesPerEU: 44
; AccumOffset: 44
; Occupancy: 8
; WaveLimiterHint : 0
; COMPUTE_PGM_RSRC2:SCRATCH_EN: 0
; COMPUTE_PGM_RSRC2:USER_SGPR: 6
; COMPUTE_PGM_RSRC2:TRAP_HANDLER: 0
; COMPUTE_PGM_RSRC2:TGID_X_EN: 1
; COMPUTE_PGM_RSRC2:TGID_Y_EN: 0
; COMPUTE_PGM_RSRC2:TGID_Z_EN: 0
; COMPUTE_PGM_RSRC2:TIDIG_COMP_CNT: 0
; COMPUTE_PGM_RSRC3_GFX90A:ACCUM_OFFSET: 10
; COMPUTE_PGM_RSRC3_GFX90A:TG_SPLIT: 0
	.section	.text._ZN2at6native12_GLOBAL__N_143distribution_elementwise_grid_stride_kernelImLi2EZZZNS0_9templates4cuda13random_kernelIPNS_17CUDAGeneratorImplEEEvRNS_18TensorIteratorBaseET_ENKUlvE_clEvENKUlvE3_clEvEUlP25hiprandStatePhilox4_32_10E_ZNS1_27distribution_nullary_kernelIsm15HIP_vector_typeIyLj2EES7_SF_ZZZNS5_IS7_EEvS9_SA_ENKSB_clEvENKSC_clEvEUlmE_EEvS9_T2_RKT3_T4_EUlimE0_EEvlNS_15PhiloxCudaStateET1_SK_,"axG",@progbits,_ZN2at6native12_GLOBAL__N_143distribution_elementwise_grid_stride_kernelImLi2EZZZNS0_9templates4cuda13random_kernelIPNS_17CUDAGeneratorImplEEEvRNS_18TensorIteratorBaseET_ENKUlvE_clEvENKUlvE3_clEvEUlP25hiprandStatePhilox4_32_10E_ZNS1_27distribution_nullary_kernelIsm15HIP_vector_typeIyLj2EES7_SF_ZZZNS5_IS7_EEvS9_SA_ENKSB_clEvENKSC_clEvEUlmE_EEvS9_T2_RKT3_T4_EUlimE0_EEvlNS_15PhiloxCudaStateET1_SK_,comdat
	.globl	_ZN2at6native12_GLOBAL__N_143distribution_elementwise_grid_stride_kernelImLi2EZZZNS0_9templates4cuda13random_kernelIPNS_17CUDAGeneratorImplEEEvRNS_18TensorIteratorBaseET_ENKUlvE_clEvENKUlvE3_clEvEUlP25hiprandStatePhilox4_32_10E_ZNS1_27distribution_nullary_kernelIsm15HIP_vector_typeIyLj2EES7_SF_ZZZNS5_IS7_EEvS9_SA_ENKSB_clEvENKSC_clEvEUlmE_EEvS9_T2_RKT3_T4_EUlimE0_EEvlNS_15PhiloxCudaStateET1_SK_ ; -- Begin function _ZN2at6native12_GLOBAL__N_143distribution_elementwise_grid_stride_kernelImLi2EZZZNS0_9templates4cuda13random_kernelIPNS_17CUDAGeneratorImplEEEvRNS_18TensorIteratorBaseET_ENKUlvE_clEvENKUlvE3_clEvEUlP25hiprandStatePhilox4_32_10E_ZNS1_27distribution_nullary_kernelIsm15HIP_vector_typeIyLj2EES7_SF_ZZZNS5_IS7_EEvS9_SA_ENKSB_clEvENKSC_clEvEUlmE_EEvS9_T2_RKT3_T4_EUlimE0_EEvlNS_15PhiloxCudaStateET1_SK_
	.p2align	8
	.type	_ZN2at6native12_GLOBAL__N_143distribution_elementwise_grid_stride_kernelImLi2EZZZNS0_9templates4cuda13random_kernelIPNS_17CUDAGeneratorImplEEEvRNS_18TensorIteratorBaseET_ENKUlvE_clEvENKUlvE3_clEvEUlP25hiprandStatePhilox4_32_10E_ZNS1_27distribution_nullary_kernelIsm15HIP_vector_typeIyLj2EES7_SF_ZZZNS5_IS7_EEvS9_SA_ENKSB_clEvENKSC_clEvEUlmE_EEvS9_T2_RKT3_T4_EUlimE0_EEvlNS_15PhiloxCudaStateET1_SK_,@function
_ZN2at6native12_GLOBAL__N_143distribution_elementwise_grid_stride_kernelImLi2EZZZNS0_9templates4cuda13random_kernelIPNS_17CUDAGeneratorImplEEEvRNS_18TensorIteratorBaseET_ENKUlvE_clEvENKUlvE3_clEvEUlP25hiprandStatePhilox4_32_10E_ZNS1_27distribution_nullary_kernelIsm15HIP_vector_typeIyLj2EES7_SF_ZZZNS5_IS7_EEvS9_SA_ENKSB_clEvENKSC_clEvEUlmE_EEvS9_T2_RKT3_T4_EUlimE0_EEvlNS_15PhiloxCudaStateET1_SK_: ; @_ZN2at6native12_GLOBAL__N_143distribution_elementwise_grid_stride_kernelImLi2EZZZNS0_9templates4cuda13random_kernelIPNS_17CUDAGeneratorImplEEEvRNS_18TensorIteratorBaseET_ENKUlvE_clEvENKUlvE3_clEvEUlP25hiprandStatePhilox4_32_10E_ZNS1_27distribution_nullary_kernelIsm15HIP_vector_typeIyLj2EES7_SF_ZZZNS5_IS7_EEvS9_SA_ENKSB_clEvENKSC_clEvEUlmE_EEvS9_T2_RKT3_T4_EUlimE0_EEvlNS_15PhiloxCudaStateET1_SK_
; %bb.0:
	s_load_dword s2, s[4:5], 0x20
	s_load_dwordx2 s[0:1], s[4:5], 0x10
	s_load_dwordx4 s[24:27], s[4:5], 0x0
	s_waitcnt lgkmcnt(0)
	s_bitcmp0_b32 s2, 0
	s_mov_b32 s2, 0
	v_pk_mov_b32 v[2:3], s[0:1], s[0:1] op_sel:[0,1]
	v_pk_mov_b32 v[12:13], s[26:27], s[26:27] op_sel:[0,1]
	s_cbranch_scc1 .LBB85_2
; %bb.1:
	v_pk_mov_b32 v[2:3], s[0:1], s[0:1] op_sel:[0,1]
	flat_load_dwordx2 v[2:3], v[2:3]
	v_pk_mov_b32 v[4:5], s[26:27], s[26:27] op_sel:[0,1]
	flat_load_dwordx2 v[12:13], v[4:5]
	s_load_dwordx2 s[0:1], s[4:5], 0x18
	s_waitcnt lgkmcnt(0)
	v_mov_b32_e32 v1, s1
	s_waitcnt vmcnt(0)
	v_add_co_u32_e32 v2, vcc, s0, v2
	v_addc_co_u32_e32 v3, vcc, v3, v1, vcc
.LBB85_2:
	s_load_dword s0, s[4:5], 0x154
	s_load_dword s7, s[4:5], 0x148
	s_waitcnt lgkmcnt(0)
	s_and_b32 s8, s0, 0xffff
	s_add_u32 s9, s24, -1
	s_mul_i32 s33, s7, s8
	s_addc_u32 s3, s25, -1
	s_lshl_b32 s58, s33, 1
	s_cmp_lg_u64 s[2:3], 0
	s_mov_b64 s[0:1], -1
	s_cbranch_scc0 .LBB85_51
; %bb.3:
	v_cvt_f32_u32_e32 v1, s58
	v_cvt_f32_ubyte0_e32 v4, 0
	s_sub_u32 s2, 0, s58
	s_subb_u32 s10, 0, 0
	v_madmk_f32 v1, v4, 0x4f800000, v1
	v_rcp_f32_e32 v1, v1
	v_mul_f32_e32 v1, 0x5f7ffffc, v1
	v_mul_f32_e32 v4, 0x2f800000, v1
	v_trunc_f32_e32 v4, v4
	v_madmk_f32 v1, v4, 0xcf800000, v1
	v_cvt_u32_f32_e32 v4, v4
	v_cvt_u32_f32_e32 v1, v1
	v_readfirstlane_b32 s11, v4
	v_readfirstlane_b32 s12, v1
	s_mul_i32 s13, s2, s11
	s_mul_hi_u32 s15, s2, s12
	s_mul_i32 s14, s10, s12
	s_add_i32 s13, s15, s13
	s_add_i32 s13, s13, s14
	s_mul_i32 s16, s2, s12
	s_mul_hi_u32 s14, s12, s13
	s_mul_i32 s15, s12, s13
	s_mul_hi_u32 s12, s12, s16
	s_add_u32 s12, s12, s15
	s_addc_u32 s14, 0, s14
	s_mul_hi_u32 s17, s11, s16
	s_mul_i32 s16, s11, s16
	s_add_u32 s12, s12, s16
	s_mul_hi_u32 s15, s11, s13
	s_addc_u32 s12, s14, s17
	s_addc_u32 s14, s15, 0
	s_mul_i32 s13, s11, s13
	s_add_u32 s12, s12, s13
	s_addc_u32 s13, 0, s14
	v_add_co_u32_e32 v1, vcc, s12, v1
	s_cmp_lg_u64 vcc, 0
	s_addc_u32 s11, s11, s13
	v_readfirstlane_b32 s13, v1
	s_mul_i32 s12, s2, s11
	s_mul_hi_u32 s14, s2, s13
	s_add_i32 s12, s14, s12
	s_mul_i32 s10, s10, s13
	s_add_i32 s12, s12, s10
	s_mul_i32 s2, s2, s13
	s_mul_hi_u32 s14, s11, s2
	s_mul_i32 s15, s11, s2
	s_mul_i32 s17, s13, s12
	s_mul_hi_u32 s2, s13, s2
	s_mul_hi_u32 s16, s13, s12
	s_add_u32 s2, s2, s17
	s_addc_u32 s13, 0, s16
	s_add_u32 s2, s2, s15
	s_mul_hi_u32 s10, s11, s12
	s_addc_u32 s2, s13, s14
	s_addc_u32 s10, s10, 0
	s_mul_i32 s12, s11, s12
	s_add_u32 s2, s2, s12
	s_addc_u32 s10, 0, s10
	v_add_co_u32_e32 v1, vcc, s2, v1
	s_cmp_lg_u64 vcc, 0
	s_addc_u32 s12, s11, s10
	s_ashr_i32 s10, s3, 31
	s_add_u32 s2, s9, s10
	s_mov_b32 s11, s10
	s_addc_u32 s3, s3, s10
	s_xor_b64 s[2:3], s[2:3], s[10:11]
	v_readfirstlane_b32 s15, v1
	s_mul_i32 s14, s2, s12
	s_mul_hi_u32 s16, s2, s15
	s_mul_hi_u32 s13, s2, s12
	s_add_u32 s14, s16, s14
	s_addc_u32 s13, 0, s13
	s_mul_hi_u32 s17, s3, s15
	s_mul_i32 s15, s3, s15
	s_add_u32 s14, s14, s15
	s_mul_hi_u32 s16, s3, s12
	s_addc_u32 s13, s13, s17
	s_addc_u32 s14, s16, 0
	s_mul_i32 s12, s3, s12
	s_add_u32 s12, s13, s12
	s_addc_u32 s13, 0, s14
	s_add_u32 s14, s12, 1
	s_addc_u32 s15, s13, 0
	s_add_u32 s16, s12, 2
	s_mul_i32 s18, s58, s13
	s_mul_hi_u32 s19, s58, s12
	s_addc_u32 s17, s13, 0
	s_add_i32 s19, s19, s18
	s_mul_i32 s18, s58, s12
	v_mov_b32_e32 v1, s18
	v_sub_co_u32_e32 v1, vcc, s2, v1
	s_cmp_lg_u64 vcc, 0
	s_subb_u32 s2, s3, s19
	v_subrev_co_u32_e32 v4, vcc, s58, v1
	s_cmp_lg_u64 vcc, 0
	s_subb_u32 s3, s2, 0
	v_readfirstlane_b32 s18, v4
	s_cmp_ge_u32 s18, s58
	s_cselect_b32 s18, -1, 0
	s_cmp_eq_u32 s3, 0
	s_cselect_b32 s3, s18, -1
	s_cmp_lg_u32 s3, 0
	s_cselect_b32 s3, s17, s15
	v_readfirstlane_b32 s15, v1
	s_cselect_b32 s14, s16, s14
	s_cmp_ge_u32 s15, s58
	s_cselect_b32 s15, -1, 0
	s_cmp_eq_u32 s2, 0
	s_cselect_b32 s2, s15, -1
	s_cmp_lg_u32 s2, 0
	s_cselect_b32 s3, s3, s13
	s_cselect_b32 s2, s14, s12
	s_xor_b64 s[2:3], s[2:3], s[10:11]
	s_sub_u32 s2, s2, s10
	s_subb_u32 s3, s3, s10
	s_cbranch_execnz .LBB85_5
.LBB85_4:
	v_cvt_f32_u32_e32 v1, s58
	s_sub_i32 s0, 0, s58
	s_mov_b32 s3, 0
	v_rcp_iflag_f32_e32 v1, v1
	v_mul_f32_e32 v1, 0x4f7ffffe, v1
	v_cvt_u32_f32_e32 v1, v1
	v_readfirstlane_b32 s1, v1
	s_mul_i32 s0, s0, s1
	s_mul_hi_u32 s0, s1, s0
	s_add_i32 s1, s1, s0
	s_mul_hi_u32 s0, s9, s1
	s_mul_i32 s2, s0, s58
	s_sub_i32 s2, s9, s2
	s_add_i32 s1, s0, 1
	s_sub_i32 s9, s2, s58
	s_cmp_ge_u32 s2, s58
	s_cselect_b32 s0, s1, s0
	s_cselect_b32 s2, s9, s2
	s_add_i32 s1, s0, 1
	s_cmp_ge_u32 s2, s58
	s_cselect_b32 s2, s1, s0
.LBB85_5:
	v_mov_b32_e32 v1, 0
	v_mov_b32_e32 v4, s6
	v_mad_u64_u32 v[14:15], s[0:1], s8, v4, v[0:1]
	s_add_u32 s0, s2, 1
	s_addc_u32 s1, s3, 0
	s_mul_hi_u32 s2, s7, s8
	s_mul_i32 s1, s33, s1
	s_mul_hi_u32 s3, s33, s0
	s_add_i32 s1, s3, s1
	s_mul_i32 s2, s2, s0
	s_add_i32 s1, s1, s2
	s_mul_i32 s0, s33, s0
	s_lshl_b64 s[26:27], s[0:1], 1
	v_cmp_gt_i64_e32 vcc, s[26:27], v[14:15]
	s_and_saveexec_b64 s[0:1], vcc
	s_cbranch_execz .LBB85_50
; %bb.6:
	s_mov_b32 s0, 0x5384540f
	v_mov_b32_e32 v0, v13
	v_add_co_u32_e32 v20, vcc, s0, v12
	s_mov_b32 s0, 0x646e171e
	v_add_co_u32_e32 v21, vcc, s0, v0
	s_mov_b32 s0, 0x1715609d
	;; [unrolled: 2-line block ×6, first 2 shown]
	v_alignbit_b32 v27, v3, v2, 2
	s_mov_b32 s60, 0xd2511f53
	v_add_co_u32_e32 v26, vcc, s0, v12
	v_mad_u64_u32 v[4:5], s[0:1], v27, s60, 0
	v_xor_b32_e32 v1, v5, v13
	v_xor_b32_e32 v1, v1, v15
	s_mov_b32 s61, 0xcd9e8d57
	v_mad_u64_u32 v[6:7], s[0:1], v1, s61, 0
	v_xor_b32_e32 v1, v26, v7
	v_mad_u64_u32 v[8:9], s[0:1], v14, s61, 0
	v_and_b32_e32 v16, 3, v2
	v_xor_b32_e32 v1, v1, v8
	v_xor_b32_e32 v2, v12, v9
	v_lshrrev_b32_e32 v28, 2, v3
	v_mad_u64_u32 v[10:11], s[0:1], v1, s60, 0
	v_xor_b32_e32 v2, v2, v28
	v_xor_b32_e32 v1, v25, v11
	v_mad_u64_u32 v[2:3], s[0:1], v2, s60, 0
	v_xor_b32_e32 v1, v1, v2
	v_mad_u64_u32 v[8:9], s[0:1], v1, s61, 0
	s_mov_b32 s0, 0xbb67ae85
	v_add_co_u32_e32 v29, vcc, s0, v0
	v_xor_b32_e32 v2, v29, v3
	v_xor_b32_e32 v2, v2, v4
	v_xor_b32_e32 v1, v24, v9
	v_mad_u64_u32 v[2:3], s[0:1], v2, s61, 0
	v_xor_b32_e32 v1, v1, v2
	v_mad_u64_u32 v[4:5], s[0:1], v1, s60, 0
	s_mov_b32 s0, 0x3c6ef372
	v_add_co_u32_e32 v30, vcc, s0, v12
	v_xor_b32_e32 v2, v30, v3
	;; [unrolled: 8-line block ×6, first 2 shown]
	v_add_co_u32_e32 v19, vcc, 0xdb3d7428, v0
	v_xor_b32_e32 v2, v2, v6
	v_xor_b32_e32 v1, v19, v5
	v_mad_u64_u32 v[2:3], s[0:1], v2, s60, 0
	v_xor_b32_e32 v1, v1, v2
	v_mad_u64_u32 v[6:7], s[0:1], v1, s61, 0
	s_mov_b32 s0, 0x1fd5c5a3
	v_add_co_u32_e32 v35, vcc, s0, v0
	v_xor_b32_e32 v0, v35, v3
	v_xor_b32_e32 v0, v0, v10
	v_mad_u64_u32 v[0:1], s[0:1], v0, s61, 0
	s_mov_b32 s0, 0xf1bbcdc8
	s_load_dwordx8 s[8:15], s[4:5], 0x30
	v_add_co_u32_e32 v36, vcc, s0, v12
	v_xor_b32_e32 v0, v36, v1
	v_xor_b32_e32 v0, v0, v8
	s_add_u32 s34, s4, 48
	v_mad_u64_u32 v[0:1], s[0:1], v0, s60, 0
	s_addc_u32 s35, s5, 0
	s_waitcnt lgkmcnt(0)
	s_add_i32 s0, s8, -1
	s_cmp_gt_u32 s0, 1
	s_cselect_b64 s[36:37], -1, 0
	s_cmp_lg_u32 s8, 0
	s_cselect_b64 s[38:39], -1, 0
	s_add_u32 s40, s4, 0xf4
	s_addc_u32 s41, s5, 0
	s_min_u32 s1, s0, 15
	s_cmp_gt_u32 s8, 1
	s_cselect_b64 s[42:43], -1, 0
	s_add_i32 s1, s1, 1
	s_mov_b32 s8, s13
	s_load_dwordx2 s[44:45], s[4:5], 0xf4
	s_load_dwordx2 s[46:47], s[4:5], 0x138
	s_and_b32 s13, s1, 3
	s_cmp_lg_u32 s0, 2
	s_cselect_b64 s[48:49], -1, 0
	s_and_b32 s15, s1, 28
	v_add_u32_e32 v18, 0x96a522ad, v13
	v_xor_b32_e32 v1, v1, v4
	s_cmp_lg_u32 s13, 0
	s_mov_b32 s59, 0
	v_add_u32_e32 v17, 0x8ff34781, v12
	v_xor_b32_e32 v2, v18, v1
	v_mov_b32_e32 v1, v6
	v_mov_b32_e32 v3, v0
	s_mov_b64 s[50:51], 0
	s_cselect_b64 s[52:53], -1, 0
	v_mov_b32_e32 v37, v14
	v_mov_b32_e32 v38, v15
	s_branch .LBB85_9
.LBB85_7:                               ;   in Loop: Header=BB85_9 Depth=1
	v_and_b32_e32 v0, 0x7fff, v3
	s_waitcnt lgkmcnt(0)
	global_store_short v8, v0, s[46:47]
.LBB85_8:                               ;   in Loop: Header=BB85_9 Depth=1
	s_or_b64 exec, exec, s[28:29]
	v_add_co_u32_e32 v14, vcc, s58, v14
	v_addc_co_u32_e32 v15, vcc, 0, v15, vcc
	v_mov_b32_e32 v7, v4
	v_cmp_le_i64_e32 vcc, s[26:27], v[14:15]
	v_pk_mov_b32 v[0:1], v[4:5], v[4:5] op_sel:[0,1]
	s_or_b64 s[50:51], vcc, s[50:51]
	v_pk_mov_b32 v[2:3], v[6:7], v[6:7] op_sel:[0,1]
	s_waitcnt lgkmcnt(0)
	s_barrier
	s_andn2_b64 exec, exec, s[50:51]
	s_cbranch_execz .LBB85_50
.LBB85_9:                               ; =>This Loop Header: Depth=1
                                        ;     Child Loop BB85_24 Depth 2
                                        ;     Child Loop BB85_30 Depth 2
	;; [unrolled: 1-line block ×4, first 2 shown]
	v_add_co_u32_e32 v27, vcc, 1, v27
	v_cndmask_b32_e64 v0, 0, 1, vcc
	v_addc_co_u32_e32 v28, vcc, 0, v28, vcc
	v_cmp_eq_u32_e32 vcc, 0, v28
	v_cndmask_b32_e32 v0, 0, v0, vcc
	v_add_u32_e32 v37, v0, v37
	v_cmp_eq_u32_e32 vcc, 0, v37
	v_cndmask_b32_e32 v0, 0, v0, vcc
	v_mad_u64_u32 v[4:5], s[0:1], v27, s60, 0
	v_add_u32_e32 v38, v0, v38
	v_mad_u64_u32 v[6:7], s[0:1], v37, s61, 0
	v_xor_b32_e32 v5, v5, v13
	v_xor_b32_e32 v0, v7, v12
	v_xor_b32_e32 v5, v38, v5
	v_xor_b32_e32 v0, v28, v0
	v_mad_u64_u32 v[10:11], s[0:1], v5, s61, 0
	v_mad_u64_u32 v[8:9], s[0:1], v0, s60, 0
	v_xor_b32_e32 v0, v26, v11
	v_xor_b32_e32 v0, v0, v6
	v_xor_b32_e32 v5, v29, v9
	v_xor_b32_e32 v6, v5, v4
	v_mad_u64_u32 v[4:5], s[0:1], v0, s60, 0
	;; [unrolled: 6-line block ×9, first 2 shown]
	v_mad_u64_u32 v[4:5], s[0:1], v0, s60, 0
	v_xor_b32_e32 v0, v11, v40
	v_xor_b32_e32 v8, v17, v0
	;; [unrolled: 1-line block ×4, first 2 shown]
	v_mov_b32_e32 v5, v10
	v_mov_b32_e32 v6, v9
	v_cmp_lt_i32_e32 vcc, 1, v16
	s_and_saveexec_b64 s[0:1], vcc
	s_xor_b64 s[0:1], exec, s[0:1]
	s_cbranch_execz .LBB85_15
; %bb.10:                               ;   in Loop: Header=BB85_9 Depth=1
	v_cmp_lt_i32_e32 vcc, 2, v16
	s_and_saveexec_b64 s[2:3], vcc
	s_xor_b64 s[2:3], exec, s[2:3]
; %bb.11:                               ;   in Loop: Header=BB85_9 Depth=1
	v_mov_b32_e32 v7, v8
	v_pk_mov_b32 v[0:1], v[6:7], v[6:7] op_sel:[0,1]
	v_pk_mov_b32 v[2:3], v[8:9], v[8:9] op_sel:[0,1]
                                        ; implicit-def: $vgpr10_vgpr11
; %bb.12:                               ;   in Loop: Header=BB85_9 Depth=1
	s_andn2_saveexec_b64 s[2:3], s[2:3]
; %bb.13:                               ;   in Loop: Header=BB85_9 Depth=1
	v_mov_b32_e32 v1, v3
	v_mov_b32_e32 v3, v10
; %bb.14:                               ;   in Loop: Header=BB85_9 Depth=1
	s_or_b64 exec, exec, s[2:3]
                                        ; implicit-def: $vgpr8_vgpr9_vgpr10_vgpr11
.LBB85_15:                              ;   in Loop: Header=BB85_9 Depth=1
	s_andn2_saveexec_b64 s[0:1], s[0:1]
	s_cbranch_execz .LBB85_19
; %bb.16:                               ;   in Loop: Header=BB85_9 Depth=1
	v_cmp_eq_u32_e32 vcc, 1, v16
	s_and_saveexec_b64 s[2:3], vcc
; %bb.17:                               ;   in Loop: Header=BB85_9 Depth=1
	v_mov_b32_e32 v1, v2
	v_mov_b32_e32 v3, v8
; %bb.18:                               ;   in Loop: Header=BB85_9 Depth=1
	s_or_b64 exec, exec, s[2:3]
.LBB85_19:                              ;   in Loop: Header=BB85_9 Depth=1
	s_or_b64 exec, exec, s[0:1]
	v_cndmask_b32_e64 v0, 0, 1, s[36:37]
	v_cmp_gt_i64_e32 vcc, s[24:25], v[14:15]
	v_cmp_ne_u32_e64 s[0:1], 1, v0
	s_and_saveexec_b64 s[2:3], vcc
	s_cbranch_execz .LBB85_35
; %bb.20:                               ;   in Loop: Header=BB85_9 Depth=1
	s_and_b64 vcc, exec, s[0:1]
	s_cbranch_vccnz .LBB85_26
; %bb.21:                               ;   in Loop: Header=BB85_9 Depth=1
	s_andn2_b64 vcc, exec, s[38:39]
	s_cbranch_vccnz .LBB85_27
; %bb.22:                               ;   in Loop: Header=BB85_9 Depth=1
	s_mov_b32 s6, 0
	s_andn2_b64 vcc, exec, s[48:49]
	v_mov_b32_e32 v8, 0
	s_cbranch_vccnz .LBB85_28
; %bb.23:                               ;   in Loop: Header=BB85_9 Depth=1
	s_mov_b32 s62, 0
	v_mov_b32_e32 v8, 0
	s_mov_b64 s[54:55], s[34:35]
	s_mov_b64 s[56:57], s[40:41]
	v_mov_b32_e32 v0, v14
.LBB85_24:                              ;   Parent Loop BB85_9 Depth=1
                                        ; =>  This Inner Loop Header: Depth=2
	s_load_dwordx8 s[16:23], s[54:55], 0x4
	s_load_dwordx4 s[4:7], s[54:55], 0x24
	s_load_dwordx4 s[28:31], s[56:57], 0x0
	s_add_u32 s54, s54, 48
	s_addc_u32 s55, s55, 0
	s_waitcnt lgkmcnt(0)
	v_mul_hi_u32 v2, s17, v0
	v_add_u32_e32 v2, v0, v2
	v_lshrrev_b32_e32 v2, s18, v2
	v_mul_lo_u32 v7, v2, s16
	v_mul_hi_u32 v9, s20, v2
	v_sub_u32_e32 v0, v0, v7
	v_add_u32_e32 v7, v2, v9
	v_lshrrev_b32_e32 v7, s21, v7
	v_mul_lo_u32 v9, v7, s19
	v_mul_hi_u32 v10, s23, v7
	v_sub_u32_e32 v2, v2, v9
	v_add_u32_e32 v9, v7, v10
	v_mul_lo_u32 v0, v0, s28
	v_mul_lo_u32 v2, v2, s29
	v_lshrrev_b32_e32 v9, s4, v9
	v_add3_u32 v2, v0, v8, v2
	v_mul_lo_u32 v0, v9, s22
	v_mul_hi_u32 v8, s6, v9
	v_sub_u32_e32 v0, v7, v0
	v_add_u32_e32 v7, v9, v8
	v_mul_lo_u32 v8, v0, s30
	v_lshrrev_b32_e32 v0, s7, v7
	s_add_i32 s62, s62, 4
	v_mul_lo_u32 v7, v0, s5
	s_add_u32 s56, s56, 16
	v_sub_u32_e32 v7, v9, v7
	s_addc_u32 s57, s57, 0
	v_mul_lo_u32 v7, v7, s31
	s_cmp_lg_u32 s15, s62
	v_add3_u32 v8, v8, v2, v7
	s_cbranch_scc1 .LBB85_24
; %bb.25:                               ;   in Loop: Header=BB85_9 Depth=1
	s_mov_b32 s6, s15
	s_andn2_b64 vcc, exec, s[52:53]
	s_cbranch_vccz .LBB85_29
	s_branch .LBB85_31
.LBB85_26:                              ;   in Loop: Header=BB85_9 Depth=1
                                        ; implicit-def: $vgpr8
	s_branch .LBB85_32
.LBB85_27:                              ;   in Loop: Header=BB85_9 Depth=1
	v_mov_b32_e32 v8, 0
	s_branch .LBB85_31
.LBB85_28:                              ;   in Loop: Header=BB85_9 Depth=1
	v_mov_b32_e32 v0, v14
	s_andn2_b64 vcc, exec, s[52:53]
	s_cbranch_vccnz .LBB85_31
.LBB85_29:                              ;   in Loop: Header=BB85_9 Depth=1
	s_lshl_b32 s4, s6, 2
	s_add_u32 s4, s40, s4
	s_addc_u32 s5, s41, 0
	s_mul_i32 s6, s6, 12
	s_add_u32 s6, s34, s6
	s_addc_u32 s7, s35, 0
	s_mov_b32 s16, s13
.LBB85_30:                              ;   Parent Loop BB85_9 Depth=1
                                        ; =>  This Inner Loop Header: Depth=2
	s_load_dwordx2 s[18:19], s[6:7], 0x4
	s_load_dword s17, s[6:7], 0xc
	s_load_dword s20, s[4:5], 0x0
	s_add_u32 s6, s6, 12
	s_addc_u32 s7, s7, 0
	s_waitcnt lgkmcnt(0)
	v_mul_hi_u32 v2, s19, v0
	v_add_u32_e32 v2, v0, v2
	v_lshrrev_b32_e32 v2, s17, v2
	s_add_u32 s4, s4, 4
	v_mul_lo_u32 v7, v2, s18
	s_addc_u32 s5, s5, 0
	s_add_i32 s16, s16, -1
	v_sub_u32_e32 v7, v0, v7
	s_cmp_lg_u32 s16, 0
	v_mov_b32_e32 v0, v2
	v_mad_u64_u32 v[8:9], s[18:19], v7, s20, v[8:9]
	s_cbranch_scc1 .LBB85_30
.LBB85_31:                              ;   in Loop: Header=BB85_9 Depth=1
	s_cbranch_execnz .LBB85_34
.LBB85_32:                              ;   in Loop: Header=BB85_9 Depth=1
	v_mul_hi_u32 v0, v14, s10
	v_add_u32_e32 v0, v0, v14
	v_lshrrev_b32_e32 v0, s11, v0
	v_mul_lo_u32 v2, v0, s9
	v_sub_u32_e32 v2, v14, v2
	s_andn2_b64 vcc, exec, s[42:43]
	s_waitcnt lgkmcnt(0)
	v_mul_lo_u32 v8, v2, s44
	s_cbranch_vccnz .LBB85_34
; %bb.33:                               ;   in Loop: Header=BB85_9 Depth=1
	v_mul_hi_u32 v2, s8, v0
	v_add_u32_e32 v2, v0, v2
	v_lshrrev_b32_e32 v2, s14, v2
	v_mul_lo_u32 v2, v2, s12
	v_sub_u32_e32 v0, v0, v2
	v_mad_u64_u32 v[8:9], s[4:5], v0, s45, v[8:9]
.LBB85_34:                              ;   in Loop: Header=BB85_9 Depth=1
	v_and_b32_e32 v0, 0x7fff, v1
	s_waitcnt lgkmcnt(0)
	global_store_short v8, v0, s[46:47]
.LBB85_35:                              ;   in Loop: Header=BB85_9 Depth=1
	s_or_b64 exec, exec, s[2:3]
	v_mov_b32_e32 v1, s59
	v_add_co_u32_e32 v0, vcc, s33, v14
	v_addc_co_u32_e32 v1, vcc, v15, v1, vcc
	v_cmp_gt_i64_e32 vcc, s[24:25], v[0:1]
	s_and_saveexec_b64 s[28:29], vcc
	s_cbranch_execz .LBB85_8
; %bb.36:                               ;   in Loop: Header=BB85_9 Depth=1
	s_and_b64 vcc, exec, s[0:1]
	s_cbranch_vccnz .LBB85_42
; %bb.37:                               ;   in Loop: Header=BB85_9 Depth=1
	s_andn2_b64 vcc, exec, s[38:39]
	s_cbranch_vccnz .LBB85_43
; %bb.38:                               ;   in Loop: Header=BB85_9 Depth=1
	s_mov_b32 s2, 0
	s_andn2_b64 vcc, exec, s[48:49]
	v_mov_b32_e32 v8, 0
	s_cbranch_vccnz .LBB85_44
; %bb.39:                               ;   in Loop: Header=BB85_9 Depth=1
	s_mov_b32 s56, 0
	v_mov_b32_e32 v8, 0
	s_mov_b64 s[30:31], s[34:35]
	s_mov_b64 s[54:55], s[40:41]
	v_mov_b32_e32 v1, v0
.LBB85_40:                              ;   Parent Loop BB85_9 Depth=1
                                        ; =>  This Inner Loop Header: Depth=2
	s_load_dwordx8 s[0:7], s[30:31], 0x4
	s_load_dwordx4 s[16:19], s[30:31], 0x24
	s_load_dwordx4 s[20:23], s[54:55], 0x0
	s_add_u32 s30, s30, 48
	s_addc_u32 s31, s31, 0
	s_waitcnt lgkmcnt(0)
	v_mul_hi_u32 v2, s1, v1
	v_add_u32_e32 v2, v1, v2
	v_lshrrev_b32_e32 v2, s2, v2
	v_mul_lo_u32 v7, v2, s0
	v_mul_hi_u32 v9, s4, v2
	v_sub_u32_e32 v1, v1, v7
	v_add_u32_e32 v7, v2, v9
	v_lshrrev_b32_e32 v7, s5, v7
	v_mul_lo_u32 v9, v7, s3
	v_mul_hi_u32 v10, s7, v7
	v_sub_u32_e32 v2, v2, v9
	v_add_u32_e32 v9, v7, v10
	v_mul_lo_u32 v1, v1, s20
	v_mul_lo_u32 v2, v2, s21
	v_lshrrev_b32_e32 v9, s16, v9
	v_add3_u32 v2, v1, v8, v2
	v_mul_lo_u32 v1, v9, s6
	v_mul_hi_u32 v8, s18, v9
	v_sub_u32_e32 v1, v7, v1
	v_add_u32_e32 v7, v9, v8
	v_mul_lo_u32 v8, v1, s22
	v_lshrrev_b32_e32 v1, s19, v7
	s_add_i32 s56, s56, 4
	v_mul_lo_u32 v7, v1, s17
	s_add_u32 s54, s54, 16
	v_sub_u32_e32 v7, v9, v7
	s_addc_u32 s55, s55, 0
	v_mul_lo_u32 v7, v7, s23
	s_cmp_eq_u32 s15, s56
	v_add3_u32 v8, v8, v2, v7
	s_cbranch_scc0 .LBB85_40
; %bb.41:                               ;   in Loop: Header=BB85_9 Depth=1
	s_mov_b32 s2, s15
	s_andn2_b64 vcc, exec, s[52:53]
	s_cbranch_vccz .LBB85_45
	s_branch .LBB85_47
.LBB85_42:                              ;   in Loop: Header=BB85_9 Depth=1
                                        ; implicit-def: $vgpr8
	s_branch .LBB85_48
.LBB85_43:                              ;   in Loop: Header=BB85_9 Depth=1
	v_mov_b32_e32 v8, 0
	s_branch .LBB85_47
.LBB85_44:                              ;   in Loop: Header=BB85_9 Depth=1
	v_mov_b32_e32 v1, v0
	s_andn2_b64 vcc, exec, s[52:53]
	s_cbranch_vccnz .LBB85_47
.LBB85_45:                              ;   in Loop: Header=BB85_9 Depth=1
	s_lshl_b32 s0, s2, 2
	s_add_u32 s0, s40, s0
	s_addc_u32 s1, s41, 0
	s_mul_i32 s2, s2, 12
	s_add_u32 s2, s34, s2
	s_addc_u32 s3, s35, 0
	s_mov_b32 s4, s13
.LBB85_46:                              ;   Parent Loop BB85_9 Depth=1
                                        ; =>  This Inner Loop Header: Depth=2
	s_load_dwordx2 s[6:7], s[2:3], 0x4
	s_load_dword s5, s[2:3], 0xc
	s_load_dword s16, s[0:1], 0x0
	s_add_u32 s2, s2, 12
	s_addc_u32 s3, s3, 0
	s_waitcnt lgkmcnt(0)
	v_mul_hi_u32 v2, s7, v1
	v_add_u32_e32 v2, v1, v2
	v_lshrrev_b32_e32 v2, s5, v2
	s_add_u32 s0, s0, 4
	v_mul_lo_u32 v7, v2, s6
	s_addc_u32 s1, s1, 0
	s_add_i32 s4, s4, -1
	v_sub_u32_e32 v7, v1, v7
	s_cmp_lg_u32 s4, 0
	v_mov_b32_e32 v1, v2
	v_mad_u64_u32 v[8:9], s[6:7], v7, s16, v[8:9]
	s_cbranch_scc1 .LBB85_46
.LBB85_47:                              ;   in Loop: Header=BB85_9 Depth=1
	s_cbranch_execnz .LBB85_7
.LBB85_48:                              ;   in Loop: Header=BB85_9 Depth=1
	v_mul_hi_u32 v1, v0, s10
	v_add_u32_e32 v1, v1, v0
	v_lshrrev_b32_e32 v1, s11, v1
	v_mul_lo_u32 v2, v1, s9
	v_sub_u32_e32 v0, v0, v2
	s_andn2_b64 vcc, exec, s[42:43]
	s_waitcnt lgkmcnt(0)
	v_mul_lo_u32 v8, v0, s44
	s_cbranch_vccnz .LBB85_7
; %bb.49:                               ;   in Loop: Header=BB85_9 Depth=1
	v_mul_hi_u32 v0, s8, v1
	v_add_u32_e32 v0, v1, v0
	v_lshrrev_b32_e32 v0, s14, v0
	v_mul_lo_u32 v0, v0, s12
	v_sub_u32_e32 v0, v1, v0
	v_mad_u64_u32 v[8:9], s[0:1], v0, s45, v[8:9]
	s_branch .LBB85_7
.LBB85_50:
	s_endpgm
.LBB85_51:
                                        ; implicit-def: $sgpr2_sgpr3
	s_andn2_b64 vcc, exec, s[0:1]
	s_cbranch_vccz .LBB85_4
	s_branch .LBB85_5
	.section	.rodata,"a",@progbits
	.p2align	6, 0x0
	.amdhsa_kernel _ZN2at6native12_GLOBAL__N_143distribution_elementwise_grid_stride_kernelImLi2EZZZNS0_9templates4cuda13random_kernelIPNS_17CUDAGeneratorImplEEEvRNS_18TensorIteratorBaseET_ENKUlvE_clEvENKUlvE3_clEvEUlP25hiprandStatePhilox4_32_10E_ZNS1_27distribution_nullary_kernelIsm15HIP_vector_typeIyLj2EES7_SF_ZZZNS5_IS7_EEvS9_SA_ENKSB_clEvENKSC_clEvEUlmE_EEvS9_T2_RKT3_T4_EUlimE0_EEvlNS_15PhiloxCudaStateET1_SK_
		.amdhsa_group_segment_fixed_size 0
		.amdhsa_private_segment_fixed_size 0
		.amdhsa_kernarg_size 584
		.amdhsa_user_sgpr_count 6
		.amdhsa_user_sgpr_private_segment_buffer 1
		.amdhsa_user_sgpr_dispatch_ptr 0
		.amdhsa_user_sgpr_queue_ptr 0
		.amdhsa_user_sgpr_kernarg_segment_ptr 1
		.amdhsa_user_sgpr_dispatch_id 0
		.amdhsa_user_sgpr_flat_scratch_init 0
		.amdhsa_user_sgpr_kernarg_preload_length 0
		.amdhsa_user_sgpr_kernarg_preload_offset 0
		.amdhsa_user_sgpr_private_segment_size 0
		.amdhsa_uses_dynamic_stack 0
		.amdhsa_system_sgpr_private_segment_wavefront_offset 0
		.amdhsa_system_sgpr_workgroup_id_x 1
		.amdhsa_system_sgpr_workgroup_id_y 0
		.amdhsa_system_sgpr_workgroup_id_z 0
		.amdhsa_system_sgpr_workgroup_info 0
		.amdhsa_system_vgpr_workitem_id 0
		.amdhsa_next_free_vgpr 42
		.amdhsa_next_free_sgpr 63
		.amdhsa_accum_offset 44
		.amdhsa_reserve_vcc 1
		.amdhsa_reserve_flat_scratch 0
		.amdhsa_float_round_mode_32 0
		.amdhsa_float_round_mode_16_64 0
		.amdhsa_float_denorm_mode_32 3
		.amdhsa_float_denorm_mode_16_64 3
		.amdhsa_dx10_clamp 1
		.amdhsa_ieee_mode 1
		.amdhsa_fp16_overflow 0
		.amdhsa_tg_split 0
		.amdhsa_exception_fp_ieee_invalid_op 0
		.amdhsa_exception_fp_denorm_src 0
		.amdhsa_exception_fp_ieee_div_zero 0
		.amdhsa_exception_fp_ieee_overflow 0
		.amdhsa_exception_fp_ieee_underflow 0
		.amdhsa_exception_fp_ieee_inexact 0
		.amdhsa_exception_int_div_zero 0
	.end_amdhsa_kernel
	.section	.text._ZN2at6native12_GLOBAL__N_143distribution_elementwise_grid_stride_kernelImLi2EZZZNS0_9templates4cuda13random_kernelIPNS_17CUDAGeneratorImplEEEvRNS_18TensorIteratorBaseET_ENKUlvE_clEvENKUlvE3_clEvEUlP25hiprandStatePhilox4_32_10E_ZNS1_27distribution_nullary_kernelIsm15HIP_vector_typeIyLj2EES7_SF_ZZZNS5_IS7_EEvS9_SA_ENKSB_clEvENKSC_clEvEUlmE_EEvS9_T2_RKT3_T4_EUlimE0_EEvlNS_15PhiloxCudaStateET1_SK_,"axG",@progbits,_ZN2at6native12_GLOBAL__N_143distribution_elementwise_grid_stride_kernelImLi2EZZZNS0_9templates4cuda13random_kernelIPNS_17CUDAGeneratorImplEEEvRNS_18TensorIteratorBaseET_ENKUlvE_clEvENKUlvE3_clEvEUlP25hiprandStatePhilox4_32_10E_ZNS1_27distribution_nullary_kernelIsm15HIP_vector_typeIyLj2EES7_SF_ZZZNS5_IS7_EEvS9_SA_ENKSB_clEvENKSC_clEvEUlmE_EEvS9_T2_RKT3_T4_EUlimE0_EEvlNS_15PhiloxCudaStateET1_SK_,comdat
.Lfunc_end85:
	.size	_ZN2at6native12_GLOBAL__N_143distribution_elementwise_grid_stride_kernelImLi2EZZZNS0_9templates4cuda13random_kernelIPNS_17CUDAGeneratorImplEEEvRNS_18TensorIteratorBaseET_ENKUlvE_clEvENKUlvE3_clEvEUlP25hiprandStatePhilox4_32_10E_ZNS1_27distribution_nullary_kernelIsm15HIP_vector_typeIyLj2EES7_SF_ZZZNS5_IS7_EEvS9_SA_ENKSB_clEvENKSC_clEvEUlmE_EEvS9_T2_RKT3_T4_EUlimE0_EEvlNS_15PhiloxCudaStateET1_SK_, .Lfunc_end85-_ZN2at6native12_GLOBAL__N_143distribution_elementwise_grid_stride_kernelImLi2EZZZNS0_9templates4cuda13random_kernelIPNS_17CUDAGeneratorImplEEEvRNS_18TensorIteratorBaseET_ENKUlvE_clEvENKUlvE3_clEvEUlP25hiprandStatePhilox4_32_10E_ZNS1_27distribution_nullary_kernelIsm15HIP_vector_typeIyLj2EES7_SF_ZZZNS5_IS7_EEvS9_SA_ENKSB_clEvENKSC_clEvEUlmE_EEvS9_T2_RKT3_T4_EUlimE0_EEvlNS_15PhiloxCudaStateET1_SK_
                                        ; -- End function
	.section	.AMDGPU.csdata,"",@progbits
; Kernel info:
; codeLenInByte = 3184
; NumSgprs: 67
; NumVgprs: 42
; NumAgprs: 0
; TotalNumVgprs: 42
; ScratchSize: 0
; MemoryBound: 0
; FloatMode: 240
; IeeeMode: 1
; LDSByteSize: 0 bytes/workgroup (compile time only)
; SGPRBlocks: 8
; VGPRBlocks: 5
; NumSGPRsForWavesPerEU: 67
; NumVGPRsForWavesPerEU: 42
; AccumOffset: 44
; Occupancy: 8
; WaveLimiterHint : 1
; COMPUTE_PGM_RSRC2:SCRATCH_EN: 0
; COMPUTE_PGM_RSRC2:USER_SGPR: 6
; COMPUTE_PGM_RSRC2:TRAP_HANDLER: 0
; COMPUTE_PGM_RSRC2:TGID_X_EN: 1
; COMPUTE_PGM_RSRC2:TGID_Y_EN: 0
; COMPUTE_PGM_RSRC2:TGID_Z_EN: 0
; COMPUTE_PGM_RSRC2:TIDIG_COMP_CNT: 0
; COMPUTE_PGM_RSRC3_GFX90A:ACCUM_OFFSET: 10
; COMPUTE_PGM_RSRC3_GFX90A:TG_SPLIT: 0
	.section	.text._ZN2at6native12_GLOBAL__N_143distribution_elementwise_grid_stride_kernelIjLi4EZZZNS0_9templates4cuda13random_kernelIPNS_17CUDAGeneratorImplEEEvRNS_18TensorIteratorBaseET_ENKUlvE_clEvENKUlvE3_clEvEUlP25hiprandStatePhilox4_32_10E0_ZNS1_27distribution_nullary_kernelIsj15HIP_vector_typeIjLj4EES7_SF_ZZZNS5_IS7_EEvS9_SA_ENKSB_clEvENKSC_clEvEUljE_EEvS9_T2_RKT3_T4_EUlijE_EEvlNS_15PhiloxCudaStateET1_SK_,"axG",@progbits,_ZN2at6native12_GLOBAL__N_143distribution_elementwise_grid_stride_kernelIjLi4EZZZNS0_9templates4cuda13random_kernelIPNS_17CUDAGeneratorImplEEEvRNS_18TensorIteratorBaseET_ENKUlvE_clEvENKUlvE3_clEvEUlP25hiprandStatePhilox4_32_10E0_ZNS1_27distribution_nullary_kernelIsj15HIP_vector_typeIjLj4EES7_SF_ZZZNS5_IS7_EEvS9_SA_ENKSB_clEvENKSC_clEvEUljE_EEvS9_T2_RKT3_T4_EUlijE_EEvlNS_15PhiloxCudaStateET1_SK_,comdat
	.globl	_ZN2at6native12_GLOBAL__N_143distribution_elementwise_grid_stride_kernelIjLi4EZZZNS0_9templates4cuda13random_kernelIPNS_17CUDAGeneratorImplEEEvRNS_18TensorIteratorBaseET_ENKUlvE_clEvENKUlvE3_clEvEUlP25hiprandStatePhilox4_32_10E0_ZNS1_27distribution_nullary_kernelIsj15HIP_vector_typeIjLj4EES7_SF_ZZZNS5_IS7_EEvS9_SA_ENKSB_clEvENKSC_clEvEUljE_EEvS9_T2_RKT3_T4_EUlijE_EEvlNS_15PhiloxCudaStateET1_SK_ ; -- Begin function _ZN2at6native12_GLOBAL__N_143distribution_elementwise_grid_stride_kernelIjLi4EZZZNS0_9templates4cuda13random_kernelIPNS_17CUDAGeneratorImplEEEvRNS_18TensorIteratorBaseET_ENKUlvE_clEvENKUlvE3_clEvEUlP25hiprandStatePhilox4_32_10E0_ZNS1_27distribution_nullary_kernelIsj15HIP_vector_typeIjLj4EES7_SF_ZZZNS5_IS7_EEvS9_SA_ENKSB_clEvENKSC_clEvEUljE_EEvS9_T2_RKT3_T4_EUlijE_EEvlNS_15PhiloxCudaStateET1_SK_
	.p2align	8
	.type	_ZN2at6native12_GLOBAL__N_143distribution_elementwise_grid_stride_kernelIjLi4EZZZNS0_9templates4cuda13random_kernelIPNS_17CUDAGeneratorImplEEEvRNS_18TensorIteratorBaseET_ENKUlvE_clEvENKUlvE3_clEvEUlP25hiprandStatePhilox4_32_10E0_ZNS1_27distribution_nullary_kernelIsj15HIP_vector_typeIjLj4EES7_SF_ZZZNS5_IS7_EEvS9_SA_ENKSB_clEvENKSC_clEvEUljE_EEvS9_T2_RKT3_T4_EUlijE_EEvlNS_15PhiloxCudaStateET1_SK_,@function
_ZN2at6native12_GLOBAL__N_143distribution_elementwise_grid_stride_kernelIjLi4EZZZNS0_9templates4cuda13random_kernelIPNS_17CUDAGeneratorImplEEEvRNS_18TensorIteratorBaseET_ENKUlvE_clEvENKUlvE3_clEvEUlP25hiprandStatePhilox4_32_10E0_ZNS1_27distribution_nullary_kernelIsj15HIP_vector_typeIjLj4EES7_SF_ZZZNS5_IS7_EEvS9_SA_ENKSB_clEvENKSC_clEvEUljE_EEvS9_T2_RKT3_T4_EUlijE_EEvlNS_15PhiloxCudaStateET1_SK_: ; @_ZN2at6native12_GLOBAL__N_143distribution_elementwise_grid_stride_kernelIjLi4EZZZNS0_9templates4cuda13random_kernelIPNS_17CUDAGeneratorImplEEEvRNS_18TensorIteratorBaseET_ENKUlvE_clEvENKUlvE3_clEvEUlP25hiprandStatePhilox4_32_10E0_ZNS1_27distribution_nullary_kernelIsj15HIP_vector_typeIjLj4EES7_SF_ZZZNS5_IS7_EEvS9_SA_ENKSB_clEvENKSC_clEvEUljE_EEvS9_T2_RKT3_T4_EUlijE_EEvlNS_15PhiloxCudaStateET1_SK_
; %bb.0:
	s_load_dword s7, s[4:5], 0x20
	s_load_dwordx2 s[10:11], s[4:5], 0x10
	s_load_dwordx4 s[0:3], s[4:5], 0x0
	s_mov_b32 s8, 0
	s_waitcnt lgkmcnt(0)
	s_bitcmp0_b32 s7, 0
	v_pk_mov_b32 v[2:3], s[10:11], s[10:11] op_sel:[0,1]
	v_pk_mov_b32 v[14:15], s[2:3], s[2:3] op_sel:[0,1]
	s_cbranch_scc1 .LBB86_2
; %bb.1:
	v_pk_mov_b32 v[2:3], s[10:11], s[10:11] op_sel:[0,1]
	flat_load_dwordx2 v[2:3], v[2:3]
	v_pk_mov_b32 v[4:5], s[2:3], s[2:3] op_sel:[0,1]
	flat_load_dwordx2 v[14:15], v[4:5]
	s_load_dwordx2 s[2:3], s[4:5], 0x18
	s_waitcnt lgkmcnt(0)
	v_mov_b32_e32 v1, s3
	s_waitcnt vmcnt(0)
	v_add_co_u32_e32 v2, vcc, s2, v2
	v_addc_co_u32_e32 v3, vcc, v3, v1, vcc
.LBB86_2:
	s_load_dword s2, s[4:5], 0x4c
	s_load_dword s10, s[4:5], 0x40
	s_waitcnt lgkmcnt(0)
	s_and_b32 s7, s2, 0xffff
	s_add_u32 s11, s0, -1
	s_mul_i32 s12, s10, s7
	s_addc_u32 s9, s1, -1
	s_lshl_b32 s13, s12, 2
	s_cmp_lg_u64 s[8:9], 0
	s_mov_b64 s[2:3], -1
	s_cbranch_scc0 .LBB86_27
; %bb.3:
	v_cvt_f32_u32_e32 v1, s13
	v_cvt_f32_ubyte0_e32 v4, 0
	s_sub_u32 s8, 0, s13
	s_subb_u32 s14, 0, 0
	v_madmk_f32 v1, v4, 0x4f800000, v1
	v_rcp_f32_e32 v1, v1
	v_mul_f32_e32 v1, 0x5f7ffffc, v1
	v_mul_f32_e32 v4, 0x2f800000, v1
	v_trunc_f32_e32 v4, v4
	v_madmk_f32 v1, v4, 0xcf800000, v1
	v_cvt_u32_f32_e32 v4, v4
	v_cvt_u32_f32_e32 v1, v1
	v_readfirstlane_b32 s15, v4
	v_readfirstlane_b32 s16, v1
	s_mul_i32 s17, s8, s15
	s_mul_hi_u32 s19, s8, s16
	s_mul_i32 s18, s14, s16
	s_add_i32 s17, s19, s17
	s_add_i32 s17, s17, s18
	s_mul_i32 s20, s8, s16
	s_mul_hi_u32 s18, s16, s17
	s_mul_i32 s19, s16, s17
	s_mul_hi_u32 s16, s16, s20
	s_add_u32 s16, s16, s19
	s_addc_u32 s18, 0, s18
	s_mul_hi_u32 s21, s15, s20
	s_mul_i32 s20, s15, s20
	s_add_u32 s16, s16, s20
	s_mul_hi_u32 s19, s15, s17
	s_addc_u32 s16, s18, s21
	s_addc_u32 s18, s19, 0
	s_mul_i32 s17, s15, s17
	s_add_u32 s16, s16, s17
	s_addc_u32 s17, 0, s18
	v_add_co_u32_e32 v1, vcc, s16, v1
	s_cmp_lg_u64 vcc, 0
	s_addc_u32 s15, s15, s17
	v_readfirstlane_b32 s17, v1
	s_mul_i32 s16, s8, s15
	s_mul_hi_u32 s18, s8, s17
	s_add_i32 s16, s18, s16
	s_mul_i32 s14, s14, s17
	s_add_i32 s16, s16, s14
	s_mul_i32 s8, s8, s17
	s_mul_hi_u32 s18, s15, s8
	s_mul_i32 s19, s15, s8
	s_mul_i32 s21, s17, s16
	s_mul_hi_u32 s8, s17, s8
	s_mul_hi_u32 s20, s17, s16
	s_add_u32 s8, s8, s21
	s_addc_u32 s17, 0, s20
	s_add_u32 s8, s8, s19
	s_mul_hi_u32 s14, s15, s16
	s_addc_u32 s8, s17, s18
	s_addc_u32 s14, s14, 0
	s_mul_i32 s16, s15, s16
	s_add_u32 s8, s8, s16
	s_addc_u32 s14, 0, s14
	v_add_co_u32_e32 v1, vcc, s8, v1
	s_cmp_lg_u64 vcc, 0
	s_addc_u32 s16, s15, s14
	s_ashr_i32 s14, s9, 31
	s_add_u32 s8, s11, s14
	s_mov_b32 s15, s14
	s_addc_u32 s9, s9, s14
	s_xor_b64 s[8:9], s[8:9], s[14:15]
	v_readfirstlane_b32 s19, v1
	s_mul_i32 s18, s8, s16
	s_mul_hi_u32 s20, s8, s19
	s_mul_hi_u32 s17, s8, s16
	s_add_u32 s18, s20, s18
	s_addc_u32 s17, 0, s17
	s_mul_hi_u32 s21, s9, s19
	s_mul_i32 s19, s9, s19
	s_add_u32 s18, s18, s19
	s_mul_hi_u32 s20, s9, s16
	s_addc_u32 s17, s17, s21
	s_addc_u32 s18, s20, 0
	s_mul_i32 s16, s9, s16
	s_add_u32 s16, s17, s16
	s_addc_u32 s17, 0, s18
	s_add_u32 s18, s16, 1
	s_addc_u32 s19, s17, 0
	s_add_u32 s20, s16, 2
	s_mul_i32 s22, s13, s17
	s_mul_hi_u32 s23, s13, s16
	s_addc_u32 s21, s17, 0
	s_add_i32 s23, s23, s22
	s_mul_i32 s22, s13, s16
	v_mov_b32_e32 v1, s22
	v_sub_co_u32_e32 v1, vcc, s8, v1
	s_cmp_lg_u64 vcc, 0
	s_subb_u32 s8, s9, s23
	v_subrev_co_u32_e32 v4, vcc, s13, v1
	s_cmp_lg_u64 vcc, 0
	s_subb_u32 s9, s8, 0
	v_readfirstlane_b32 s22, v4
	s_cmp_ge_u32 s22, s13
	s_cselect_b32 s22, -1, 0
	s_cmp_eq_u32 s9, 0
	s_cselect_b32 s9, s22, -1
	s_cmp_lg_u32 s9, 0
	s_cselect_b32 s9, s21, s19
	v_readfirstlane_b32 s19, v1
	s_cselect_b32 s18, s20, s18
	s_cmp_ge_u32 s19, s13
	s_cselect_b32 s19, -1, 0
	s_cmp_eq_u32 s8, 0
	s_cselect_b32 s8, s19, -1
	s_cmp_lg_u32 s8, 0
	s_cselect_b32 s9, s9, s17
	s_cselect_b32 s8, s18, s16
	s_xor_b64 s[8:9], s[8:9], s[14:15]
	s_sub_u32 s8, s8, s14
	s_subb_u32 s9, s9, s14
	s_cbranch_execnz .LBB86_5
.LBB86_4:
	v_cvt_f32_u32_e32 v1, s13
	s_sub_i32 s2, 0, s13
	s_mov_b32 s9, 0
	v_rcp_iflag_f32_e32 v1, v1
	v_mul_f32_e32 v1, 0x4f7ffffe, v1
	v_cvt_u32_f32_e32 v1, v1
	v_readfirstlane_b32 s3, v1
	s_mul_i32 s2, s2, s3
	s_mul_hi_u32 s2, s3, s2
	s_add_i32 s3, s3, s2
	s_mul_hi_u32 s2, s11, s3
	s_mul_i32 s8, s2, s13
	s_sub_i32 s8, s11, s8
	s_add_i32 s3, s2, 1
	s_sub_i32 s11, s8, s13
	s_cmp_ge_u32 s8, s13
	s_cselect_b32 s2, s3, s2
	s_cselect_b32 s8, s11, s8
	s_add_i32 s3, s2, 1
	s_cmp_ge_u32 s8, s13
	s_cselect_b32 s8, s3, s2
.LBB86_5:
	v_mov_b32_e32 v1, 0
	v_mov_b32_e32 v4, s6
	v_mad_u64_u32 v[16:17], s[2:3], s7, v4, v[0:1]
	s_add_u32 s2, s8, 1
	s_addc_u32 s3, s9, 0
	s_mul_hi_u32 s8, s10, s7
	s_mul_i32 s3, s12, s3
	s_mul_hi_u32 s9, s12, s2
	s_add_i32 s3, s9, s3
	s_mul_i32 s8, s8, s2
	s_add_i32 s3, s3, s8
	s_mul_i32 s2, s12, s2
	s_lshl_b64 s[2:3], s[2:3], 2
	v_cmp_gt_i64_e32 vcc, s[2:3], v[16:17]
	s_and_saveexec_b64 s[8:9], vcc
	s_cbranch_execz .LBB86_26
; %bb.6:
	s_load_dwordx2 s[8:9], s[4:5], 0x30
	s_load_dword s11, s[4:5], 0x38
	s_mov_b32 s4, 0x5384540f
	v_mov_b32_e32 v4, v15
	v_add_co_u32_e32 v22, vcc, s4, v14
	s_mov_b32 s4, 0x646e171e
	v_add_co_u32_e32 v23, vcc, s4, v4
	s_mov_b32 s4, 0x1715609d
	;; [unrolled: 2-line block ×6, first 2 shown]
	v_alignbit_b32 v29, v3, v2, 2
	s_mov_b32 s15, 0xd2511f53
	v_add_co_u32_e32 v28, vcc, s4, v14
	v_mad_u64_u32 v[6:7], s[4:5], v29, s15, 0
	v_xor_b32_e32 v1, v7, v15
	v_xor_b32_e32 v1, v1, v17
	s_mov_b32 s16, 0xcd9e8d57
	v_mad_u64_u32 v[8:9], s[4:5], v1, s16, 0
	v_xor_b32_e32 v1, v28, v9
	v_mad_u64_u32 v[10:11], s[4:5], v16, s16, 0
	v_and_b32_e32 v18, 3, v2
	v_xor_b32_e32 v1, v1, v10
	v_xor_b32_e32 v2, v14, v11
	v_lshrrev_b32_e32 v30, 2, v3
	v_mad_u64_u32 v[12:13], s[4:5], v1, s15, 0
	v_xor_b32_e32 v2, v2, v30
	v_xor_b32_e32 v1, v27, v13
	v_mad_u64_u32 v[2:3], s[4:5], v2, s15, 0
	v_xor_b32_e32 v1, v1, v2
	v_mad_u64_u32 v[10:11], s[4:5], v1, s16, 0
	s_mov_b32 s4, 0xbb67ae85
	v_add_co_u32_e32 v31, vcc, s4, v4
	v_xor_b32_e32 v2, v31, v3
	v_xor_b32_e32 v2, v2, v6
	v_xor_b32_e32 v1, v26, v11
	v_mad_u64_u32 v[2:3], s[4:5], v2, s16, 0
	v_xor_b32_e32 v1, v1, v2
	v_mad_u64_u32 v[6:7], s[4:5], v1, s15, 0
	s_mov_b32 s4, 0x3c6ef372
	v_add_co_u32_e32 v32, vcc, s4, v14
	v_xor_b32_e32 v2, v32, v3
	;; [unrolled: 8-line block ×6, first 2 shown]
	v_add_co_u32_e32 v21, vcc, 0xdb3d7428, v4
	v_xor_b32_e32 v2, v2, v8
	v_xor_b32_e32 v1, v21, v7
	v_mad_u64_u32 v[2:3], s[4:5], v2, s15, 0
	v_xor_b32_e32 v1, v1, v2
	v_mad_u64_u32 v[8:9], s[4:5], v1, s16, 0
	s_mov_b32 s4, 0x1fd5c5a3
	v_add_co_u32_e32 v37, vcc, s4, v4
	v_xor_b32_e32 v1, v37, v3
	v_xor_b32_e32 v1, v1, v12
	v_mad_u64_u32 v[2:3], s[4:5], v1, s16, 0
	s_mov_b32 s4, 0xf1bbcdc8
	v_add_u32_e32 v19, 0x8ff34781, v14
	v_xor_b32_e32 v1, v9, v2
	v_add_co_u32_e32 v38, vcc, s4, v14
	v_xor_b32_e32 v2, v19, v1
	v_xor_b32_e32 v1, v38, v3
	;; [unrolled: 1-line block ×3, first 2 shown]
	v_mad_u64_u32 v[10:11], s[4:5], v1, s15, 0
	v_add_u32_e32 v20, 0x96a522ad, v15
	v_xor_b32_e32 v1, v11, v6
	s_mul_i32 s4, s6, s7
	v_xor_b32_e32 v4, v20, v1
	v_add_u32_e32 v1, s4, v0
	s_waitcnt lgkmcnt(0)
	s_mul_i32 s4, s10, s11
	s_mul_i32 s4, s4, s7
	s_lshl_b32 s21, s4, 2
	s_mul_i32 s4, s10, 3
	s_add_i32 s4, s6, s4
	s_mul_i32 s4, s4, s7
	v_mul_lo_u32 v39, s11, v1
	v_add_u32_e32 v1, s4, v0
	s_lshl_b32 s4, s10, 1
	s_add_i32 s4, s6, s4
	s_mul_i32 s4, s4, s7
	v_mul_lo_u32 v40, s11, v1
	v_add_u32_e32 v1, s4, v0
	s_add_i32 s4, s6, s10
	s_mul_i32 s4, s4, s7
	s_mov_b32 s14, 0
	v_add_u32_e32 v0, s4, v0
	v_mov_b32_e32 v3, v8
	v_mov_b32_e32 v5, v10
	s_lshl_b32 s17, s12, 1
	s_mov_b32 s18, s14
	s_mul_i32 s19, s12, 3
	s_mov_b32 s20, s14
	v_mul_lo_u32 v41, s11, v1
	v_mul_lo_u32 v42, s11, v0
	s_mov_b64 s[4:5], 0
	s_mov_b32 s22, s14
	v_mov_b32_e32 v43, v16
	v_mov_b32_e32 v44, v17
	s_branch .LBB86_8
.LBB86_7:                               ;   in Loop: Header=BB86_8 Depth=1
	s_or_b64 exec, exec, s[6:7]
	v_add_co_u32_e32 v16, vcc, s13, v16
	v_addc_co_u32_e32 v17, vcc, 0, v17, vcc
	v_mov_b32_e32 v9, v0
	s_add_i32 s22, s22, s21
	v_cmp_le_i64_e32 vcc, s[2:3], v[16:17]
	v_pk_mov_b32 v[2:3], v[6:7], v[6:7] op_sel:[0,1]
	s_or_b64 s[4:5], vcc, s[4:5]
	v_pk_mov_b32 v[4:5], v[8:9], v[8:9] op_sel:[0,1]
	s_barrier
	s_andn2_b64 exec, exec, s[4:5]
	s_cbranch_execz .LBB86_26
.LBB86_8:                               ; =>This Inner Loop Header: Depth=1
	v_add_co_u32_e32 v29, vcc, 1, v29
	v_cndmask_b32_e64 v0, 0, 1, vcc
	v_addc_co_u32_e32 v30, vcc, 0, v30, vcc
	v_cmp_eq_u32_e32 vcc, 0, v30
	v_cndmask_b32_e32 v0, 0, v0, vcc
	v_add_u32_e32 v43, v0, v43
	v_cmp_eq_u32_e32 vcc, 0, v43
	v_cndmask_b32_e32 v0, 0, v0, vcc
	v_add_u32_e32 v44, v0, v44
	v_mad_u64_u32 v[0:1], s[6:7], v29, s15, 0
	v_mad_u64_u32 v[6:7], s[6:7], v43, s16, 0
	v_xor_b32_e32 v1, v1, v15
	v_xor_b32_e32 v7, v7, v14
	v_xor_b32_e32 v1, v44, v1
	v_xor_b32_e32 v7, v30, v7
	v_mad_u64_u32 v[10:11], s[6:7], v1, s16, 0
	v_mad_u64_u32 v[8:9], s[6:7], v7, s15, 0
	v_xor_b32_e32 v1, v28, v11
	v_xor_b32_e32 v1, v1, v6
	v_xor_b32_e32 v6, v31, v9
	v_xor_b32_e32 v6, v6, v0
	;; [unrolled: 6-line block ×10, first 2 shown]
	v_mov_b32_e32 v7, v12
	v_mov_b32_e32 v8, v13
	v_cmp_lt_i32_e32 vcc, 1, v18
	s_and_saveexec_b64 s[6:7], vcc
	s_xor_b64 s[6:7], exec, s[6:7]
	s_cbranch_execnz .LBB86_18
; %bb.9:                                ;   in Loop: Header=BB86_8 Depth=1
	s_andn2_saveexec_b64 s[6:7], s[6:7]
	s_cbranch_execnz .LBB86_23
.LBB86_10:                              ;   in Loop: Header=BB86_8 Depth=1
	s_or_b64 exec, exec, s[6:7]
	v_cmp_gt_i64_e32 vcc, s[0:1], v[16:17]
	s_and_saveexec_b64 s[6:7], vcc
	s_cbranch_execz .LBB86_12
.LBB86_11:                              ;   in Loop: Header=BB86_8 Depth=1
	v_add_u32_e32 v1, s22, v39
	v_ashrrev_i32_e32 v9, 31, v1
	v_mov_b32_e32 v11, s9
	v_add_co_u32_e32 v10, vcc, s8, v1
	v_addc_co_u32_e32 v11, vcc, v11, v9, vcc
	v_and_b32_e32 v1, 0x7fff, v2
	global_store_short v[10:11], v1, off
.LBB86_12:                              ;   in Loop: Header=BB86_8 Depth=1
	s_or_b64 exec, exec, s[6:7]
	v_mov_b32_e32 v1, s14
	v_add_co_u32_e32 v10, vcc, s12, v16
	v_addc_co_u32_e32 v11, vcc, v1, v17, vcc
	v_cmp_gt_i64_e32 vcc, s[0:1], v[10:11]
	s_and_saveexec_b64 s[6:7], vcc
	s_cbranch_execz .LBB86_14
; %bb.13:                               ;   in Loop: Header=BB86_8 Depth=1
	v_add_u32_e32 v1, s22, v42
	v_ashrrev_i32_e32 v2, 31, v1
	v_mov_b32_e32 v9, s9
	v_add_co_u32_e32 v10, vcc, s8, v1
	v_addc_co_u32_e32 v11, vcc, v9, v2, vcc
	v_and_b32_e32 v1, 0x7fff, v3
	global_store_short v[10:11], v1, off
.LBB86_14:                              ;   in Loop: Header=BB86_8 Depth=1
	s_or_b64 exec, exec, s[6:7]
	v_mov_b32_e32 v1, s18
	v_add_co_u32_e32 v2, vcc, s17, v16
	v_addc_co_u32_e32 v3, vcc, v1, v17, vcc
	v_cmp_gt_i64_e32 vcc, s[0:1], v[2:3]
	s_and_saveexec_b64 s[6:7], vcc
	s_cbranch_execz .LBB86_16
; %bb.15:                               ;   in Loop: Header=BB86_8 Depth=1
	v_add_u32_e32 v1, s22, v41
	v_ashrrev_i32_e32 v3, 31, v1
	v_mov_b32_e32 v9, s9
	v_add_co_u32_e32 v2, vcc, s8, v1
	v_addc_co_u32_e32 v3, vcc, v9, v3, vcc
	v_and_b32_e32 v1, 0x7fff, v4
	global_store_short v[2:3], v1, off
.LBB86_16:                              ;   in Loop: Header=BB86_8 Depth=1
	s_or_b64 exec, exec, s[6:7]
	v_mov_b32_e32 v1, s20
	v_add_co_u32_e32 v2, vcc, s19, v16
	v_addc_co_u32_e32 v3, vcc, v1, v17, vcc
	v_cmp_gt_i64_e32 vcc, s[0:1], v[2:3]
	s_and_saveexec_b64 s[6:7], vcc
	s_cbranch_execz .LBB86_7
; %bb.17:                               ;   in Loop: Header=BB86_8 Depth=1
	v_add_u32_e32 v1, s22, v40
	v_ashrrev_i32_e32 v3, 31, v1
	v_mov_b32_e32 v4, s9
	v_add_co_u32_e32 v2, vcc, s8, v1
	v_addc_co_u32_e32 v3, vcc, v4, v3, vcc
	v_and_b32_e32 v1, 0x7fff, v5
	global_store_short v[2:3], v1, off
	s_branch .LBB86_7
.LBB86_18:                              ;   in Loop: Header=BB86_8 Depth=1
	v_cmp_lt_i32_e32 vcc, 2, v18
	s_and_saveexec_b64 s[10:11], vcc
	s_xor_b64 s[10:11], exec, s[10:11]
; %bb.19:                               ;   in Loop: Header=BB86_8 Depth=1
	v_mov_b32_e32 v10, v5
	v_mov_b32_e32 v11, v6
	v_pk_mov_b32 v[2:3], v[10:11], v[10:11] op_sel:[0,1]
	v_pk_mov_b32 v[4:5], v[12:13], v[12:13] op_sel:[0,1]
                                        ; implicit-def: $vgpr12_vgpr13
; %bb.20:                               ;   in Loop: Header=BB86_8 Depth=1
	s_andn2_saveexec_b64 s[10:11], s[10:11]
; %bb.21:                               ;   in Loop: Header=BB86_8 Depth=1
	v_mov_b32_e32 v2, v4
	v_mov_b32_e32 v3, v5
	;; [unrolled: 1-line block ×4, first 2 shown]
; %bb.22:                               ;   in Loop: Header=BB86_8 Depth=1
	s_or_b64 exec, exec, s[10:11]
	s_andn2_saveexec_b64 s[6:7], s[6:7]
	s_cbranch_execz .LBB86_10
.LBB86_23:                              ;   in Loop: Header=BB86_8 Depth=1
	v_cmp_eq_u32_e32 vcc, 1, v18
	s_and_saveexec_b64 s[10:11], vcc
; %bb.24:                               ;   in Loop: Header=BB86_8 Depth=1
	v_mov_b32_e32 v2, v3
	v_mov_b32_e32 v3, v4
	;; [unrolled: 1-line block ×4, first 2 shown]
; %bb.25:                               ;   in Loop: Header=BB86_8 Depth=1
	s_or_b64 exec, exec, s[10:11]
	s_or_b64 exec, exec, s[6:7]
	v_cmp_gt_i64_e32 vcc, s[0:1], v[16:17]
	s_and_saveexec_b64 s[6:7], vcc
	s_cbranch_execnz .LBB86_11
	s_branch .LBB86_12
.LBB86_26:
	s_endpgm
.LBB86_27:
                                        ; implicit-def: $sgpr8_sgpr9
	s_andn2_b64 vcc, exec, s[2:3]
	s_cbranch_vccz .LBB86_4
	s_branch .LBB86_5
	.section	.rodata,"a",@progbits
	.p2align	6, 0x0
	.amdhsa_kernel _ZN2at6native12_GLOBAL__N_143distribution_elementwise_grid_stride_kernelIjLi4EZZZNS0_9templates4cuda13random_kernelIPNS_17CUDAGeneratorImplEEEvRNS_18TensorIteratorBaseET_ENKUlvE_clEvENKUlvE3_clEvEUlP25hiprandStatePhilox4_32_10E0_ZNS1_27distribution_nullary_kernelIsj15HIP_vector_typeIjLj4EES7_SF_ZZZNS5_IS7_EEvS9_SA_ENKSB_clEvENKSC_clEvEUljE_EEvS9_T2_RKT3_T4_EUlijE_EEvlNS_15PhiloxCudaStateET1_SK_
		.amdhsa_group_segment_fixed_size 0
		.amdhsa_private_segment_fixed_size 0
		.amdhsa_kernarg_size 320
		.amdhsa_user_sgpr_count 6
		.amdhsa_user_sgpr_private_segment_buffer 1
		.amdhsa_user_sgpr_dispatch_ptr 0
		.amdhsa_user_sgpr_queue_ptr 0
		.amdhsa_user_sgpr_kernarg_segment_ptr 1
		.amdhsa_user_sgpr_dispatch_id 0
		.amdhsa_user_sgpr_flat_scratch_init 0
		.amdhsa_user_sgpr_kernarg_preload_length 0
		.amdhsa_user_sgpr_kernarg_preload_offset 0
		.amdhsa_user_sgpr_private_segment_size 0
		.amdhsa_uses_dynamic_stack 0
		.amdhsa_system_sgpr_private_segment_wavefront_offset 0
		.amdhsa_system_sgpr_workgroup_id_x 1
		.amdhsa_system_sgpr_workgroup_id_y 0
		.amdhsa_system_sgpr_workgroup_id_z 0
		.amdhsa_system_sgpr_workgroup_info 0
		.amdhsa_system_vgpr_workitem_id 0
		.amdhsa_next_free_vgpr 48
		.amdhsa_next_free_sgpr 24
		.amdhsa_accum_offset 48
		.amdhsa_reserve_vcc 1
		.amdhsa_reserve_flat_scratch 0
		.amdhsa_float_round_mode_32 0
		.amdhsa_float_round_mode_16_64 0
		.amdhsa_float_denorm_mode_32 3
		.amdhsa_float_denorm_mode_16_64 3
		.amdhsa_dx10_clamp 1
		.amdhsa_ieee_mode 1
		.amdhsa_fp16_overflow 0
		.amdhsa_tg_split 0
		.amdhsa_exception_fp_ieee_invalid_op 0
		.amdhsa_exception_fp_denorm_src 0
		.amdhsa_exception_fp_ieee_div_zero 0
		.amdhsa_exception_fp_ieee_overflow 0
		.amdhsa_exception_fp_ieee_underflow 0
		.amdhsa_exception_fp_ieee_inexact 0
		.amdhsa_exception_int_div_zero 0
	.end_amdhsa_kernel
	.section	.text._ZN2at6native12_GLOBAL__N_143distribution_elementwise_grid_stride_kernelIjLi4EZZZNS0_9templates4cuda13random_kernelIPNS_17CUDAGeneratorImplEEEvRNS_18TensorIteratorBaseET_ENKUlvE_clEvENKUlvE3_clEvEUlP25hiprandStatePhilox4_32_10E0_ZNS1_27distribution_nullary_kernelIsj15HIP_vector_typeIjLj4EES7_SF_ZZZNS5_IS7_EEvS9_SA_ENKSB_clEvENKSC_clEvEUljE_EEvS9_T2_RKT3_T4_EUlijE_EEvlNS_15PhiloxCudaStateET1_SK_,"axG",@progbits,_ZN2at6native12_GLOBAL__N_143distribution_elementwise_grid_stride_kernelIjLi4EZZZNS0_9templates4cuda13random_kernelIPNS_17CUDAGeneratorImplEEEvRNS_18TensorIteratorBaseET_ENKUlvE_clEvENKUlvE3_clEvEUlP25hiprandStatePhilox4_32_10E0_ZNS1_27distribution_nullary_kernelIsj15HIP_vector_typeIjLj4EES7_SF_ZZZNS5_IS7_EEvS9_SA_ENKSB_clEvENKSC_clEvEUljE_EEvS9_T2_RKT3_T4_EUlijE_EEvlNS_15PhiloxCudaStateET1_SK_,comdat
.Lfunc_end86:
	.size	_ZN2at6native12_GLOBAL__N_143distribution_elementwise_grid_stride_kernelIjLi4EZZZNS0_9templates4cuda13random_kernelIPNS_17CUDAGeneratorImplEEEvRNS_18TensorIteratorBaseET_ENKUlvE_clEvENKUlvE3_clEvEUlP25hiprandStatePhilox4_32_10E0_ZNS1_27distribution_nullary_kernelIsj15HIP_vector_typeIjLj4EES7_SF_ZZZNS5_IS7_EEvS9_SA_ENKSB_clEvENKSC_clEvEUljE_EEvS9_T2_RKT3_T4_EUlijE_EEvlNS_15PhiloxCudaStateET1_SK_, .Lfunc_end86-_ZN2at6native12_GLOBAL__N_143distribution_elementwise_grid_stride_kernelIjLi4EZZZNS0_9templates4cuda13random_kernelIPNS_17CUDAGeneratorImplEEEvRNS_18TensorIteratorBaseET_ENKUlvE_clEvENKUlvE3_clEvEUlP25hiprandStatePhilox4_32_10E0_ZNS1_27distribution_nullary_kernelIsj15HIP_vector_typeIjLj4EES7_SF_ZZZNS5_IS7_EEvS9_SA_ENKSB_clEvENKSC_clEvEUljE_EEvS9_T2_RKT3_T4_EUlijE_EEvlNS_15PhiloxCudaStateET1_SK_
                                        ; -- End function
	.section	.AMDGPU.csdata,"",@progbits
; Kernel info:
; codeLenInByte = 2368
; NumSgprs: 28
; NumVgprs: 48
; NumAgprs: 0
; TotalNumVgprs: 48
; ScratchSize: 0
; MemoryBound: 0
; FloatMode: 240
; IeeeMode: 1
; LDSByteSize: 0 bytes/workgroup (compile time only)
; SGPRBlocks: 3
; VGPRBlocks: 5
; NumSGPRsForWavesPerEU: 28
; NumVGPRsForWavesPerEU: 48
; AccumOffset: 48
; Occupancy: 8
; WaveLimiterHint : 0
; COMPUTE_PGM_RSRC2:SCRATCH_EN: 0
; COMPUTE_PGM_RSRC2:USER_SGPR: 6
; COMPUTE_PGM_RSRC2:TRAP_HANDLER: 0
; COMPUTE_PGM_RSRC2:TGID_X_EN: 1
; COMPUTE_PGM_RSRC2:TGID_Y_EN: 0
; COMPUTE_PGM_RSRC2:TGID_Z_EN: 0
; COMPUTE_PGM_RSRC2:TIDIG_COMP_CNT: 0
; COMPUTE_PGM_RSRC3_GFX90A:ACCUM_OFFSET: 11
; COMPUTE_PGM_RSRC3_GFX90A:TG_SPLIT: 0
	.section	.text._ZN2at6native12_GLOBAL__N_143distribution_elementwise_grid_stride_kernelIjLi4EZZZNS0_9templates4cuda13random_kernelIPNS_17CUDAGeneratorImplEEEvRNS_18TensorIteratorBaseET_ENKUlvE_clEvENKUlvE3_clEvEUlP25hiprandStatePhilox4_32_10E0_ZNS1_27distribution_nullary_kernelIsj15HIP_vector_typeIjLj4EES7_SF_ZZZNS5_IS7_EEvS9_SA_ENKSB_clEvENKSC_clEvEUljE_EEvS9_T2_RKT3_T4_EUlijE0_EEvlNS_15PhiloxCudaStateET1_SK_,"axG",@progbits,_ZN2at6native12_GLOBAL__N_143distribution_elementwise_grid_stride_kernelIjLi4EZZZNS0_9templates4cuda13random_kernelIPNS_17CUDAGeneratorImplEEEvRNS_18TensorIteratorBaseET_ENKUlvE_clEvENKUlvE3_clEvEUlP25hiprandStatePhilox4_32_10E0_ZNS1_27distribution_nullary_kernelIsj15HIP_vector_typeIjLj4EES7_SF_ZZZNS5_IS7_EEvS9_SA_ENKSB_clEvENKSC_clEvEUljE_EEvS9_T2_RKT3_T4_EUlijE0_EEvlNS_15PhiloxCudaStateET1_SK_,comdat
	.globl	_ZN2at6native12_GLOBAL__N_143distribution_elementwise_grid_stride_kernelIjLi4EZZZNS0_9templates4cuda13random_kernelIPNS_17CUDAGeneratorImplEEEvRNS_18TensorIteratorBaseET_ENKUlvE_clEvENKUlvE3_clEvEUlP25hiprandStatePhilox4_32_10E0_ZNS1_27distribution_nullary_kernelIsj15HIP_vector_typeIjLj4EES7_SF_ZZZNS5_IS7_EEvS9_SA_ENKSB_clEvENKSC_clEvEUljE_EEvS9_T2_RKT3_T4_EUlijE0_EEvlNS_15PhiloxCudaStateET1_SK_ ; -- Begin function _ZN2at6native12_GLOBAL__N_143distribution_elementwise_grid_stride_kernelIjLi4EZZZNS0_9templates4cuda13random_kernelIPNS_17CUDAGeneratorImplEEEvRNS_18TensorIteratorBaseET_ENKUlvE_clEvENKUlvE3_clEvEUlP25hiprandStatePhilox4_32_10E0_ZNS1_27distribution_nullary_kernelIsj15HIP_vector_typeIjLj4EES7_SF_ZZZNS5_IS7_EEvS9_SA_ENKSB_clEvENKSC_clEvEUljE_EEvS9_T2_RKT3_T4_EUlijE0_EEvlNS_15PhiloxCudaStateET1_SK_
	.p2align	8
	.type	_ZN2at6native12_GLOBAL__N_143distribution_elementwise_grid_stride_kernelIjLi4EZZZNS0_9templates4cuda13random_kernelIPNS_17CUDAGeneratorImplEEEvRNS_18TensorIteratorBaseET_ENKUlvE_clEvENKUlvE3_clEvEUlP25hiprandStatePhilox4_32_10E0_ZNS1_27distribution_nullary_kernelIsj15HIP_vector_typeIjLj4EES7_SF_ZZZNS5_IS7_EEvS9_SA_ENKSB_clEvENKSC_clEvEUljE_EEvS9_T2_RKT3_T4_EUlijE0_EEvlNS_15PhiloxCudaStateET1_SK_,@function
_ZN2at6native12_GLOBAL__N_143distribution_elementwise_grid_stride_kernelIjLi4EZZZNS0_9templates4cuda13random_kernelIPNS_17CUDAGeneratorImplEEEvRNS_18TensorIteratorBaseET_ENKUlvE_clEvENKUlvE3_clEvEUlP25hiprandStatePhilox4_32_10E0_ZNS1_27distribution_nullary_kernelIsj15HIP_vector_typeIjLj4EES7_SF_ZZZNS5_IS7_EEvS9_SA_ENKSB_clEvENKSC_clEvEUljE_EEvS9_T2_RKT3_T4_EUlijE0_EEvlNS_15PhiloxCudaStateET1_SK_: ; @_ZN2at6native12_GLOBAL__N_143distribution_elementwise_grid_stride_kernelIjLi4EZZZNS0_9templates4cuda13random_kernelIPNS_17CUDAGeneratorImplEEEvRNS_18TensorIteratorBaseET_ENKUlvE_clEvENKUlvE3_clEvEUlP25hiprandStatePhilox4_32_10E0_ZNS1_27distribution_nullary_kernelIsj15HIP_vector_typeIjLj4EES7_SF_ZZZNS5_IS7_EEvS9_SA_ENKSB_clEvENKSC_clEvEUljE_EEvS9_T2_RKT3_T4_EUlijE0_EEvlNS_15PhiloxCudaStateET1_SK_
; %bb.0:
	s_load_dword s2, s[4:5], 0x20
	s_load_dwordx2 s[0:1], s[4:5], 0x10
	s_load_dwordx4 s[24:27], s[4:5], 0x0
	s_waitcnt lgkmcnt(0)
	s_bitcmp0_b32 s2, 0
	s_mov_b32 s2, 0
	v_pk_mov_b32 v[2:3], s[0:1], s[0:1] op_sel:[0,1]
	v_pk_mov_b32 v[12:13], s[26:27], s[26:27] op_sel:[0,1]
	s_cbranch_scc1 .LBB87_2
; %bb.1:
	v_pk_mov_b32 v[2:3], s[0:1], s[0:1] op_sel:[0,1]
	flat_load_dwordx2 v[2:3], v[2:3]
	v_pk_mov_b32 v[4:5], s[26:27], s[26:27] op_sel:[0,1]
	flat_load_dwordx2 v[12:13], v[4:5]
	s_load_dwordx2 s[0:1], s[4:5], 0x18
	s_waitcnt lgkmcnt(0)
	v_mov_b32_e32 v1, s1
	s_waitcnt vmcnt(0)
	v_add_co_u32_e32 v2, vcc, s0, v2
	v_addc_co_u32_e32 v3, vcc, v3, v1, vcc
.LBB87_2:
	s_load_dword s0, s[4:5], 0x154
	s_load_dword s7, s[4:5], 0x148
	s_waitcnt lgkmcnt(0)
	s_and_b32 s8, s0, 0xffff
	s_add_u32 s9, s24, -1
	s_mul_i32 s33, s7, s8
	s_addc_u32 s3, s25, -1
	s_lshl_b32 s58, s33, 2
	s_cmp_lg_u64 s[2:3], 0
	s_mov_b64 s[0:1], -1
	s_cbranch_scc0 .LBB87_83
; %bb.3:
	v_cvt_f32_u32_e32 v1, s58
	v_cvt_f32_ubyte0_e32 v4, 0
	s_sub_u32 s2, 0, s58
	s_subb_u32 s10, 0, 0
	v_madmk_f32 v1, v4, 0x4f800000, v1
	v_rcp_f32_e32 v1, v1
	v_mul_f32_e32 v1, 0x5f7ffffc, v1
	v_mul_f32_e32 v4, 0x2f800000, v1
	v_trunc_f32_e32 v4, v4
	v_madmk_f32 v1, v4, 0xcf800000, v1
	v_cvt_u32_f32_e32 v4, v4
	v_cvt_u32_f32_e32 v1, v1
	v_readfirstlane_b32 s11, v4
	v_readfirstlane_b32 s12, v1
	s_mul_i32 s13, s2, s11
	s_mul_hi_u32 s15, s2, s12
	s_mul_i32 s14, s10, s12
	s_add_i32 s13, s15, s13
	s_add_i32 s13, s13, s14
	s_mul_i32 s16, s2, s12
	s_mul_hi_u32 s14, s12, s13
	s_mul_i32 s15, s12, s13
	s_mul_hi_u32 s12, s12, s16
	s_add_u32 s12, s12, s15
	s_addc_u32 s14, 0, s14
	s_mul_hi_u32 s17, s11, s16
	s_mul_i32 s16, s11, s16
	s_add_u32 s12, s12, s16
	s_mul_hi_u32 s15, s11, s13
	s_addc_u32 s12, s14, s17
	s_addc_u32 s14, s15, 0
	s_mul_i32 s13, s11, s13
	s_add_u32 s12, s12, s13
	s_addc_u32 s13, 0, s14
	v_add_co_u32_e32 v1, vcc, s12, v1
	s_cmp_lg_u64 vcc, 0
	s_addc_u32 s11, s11, s13
	v_readfirstlane_b32 s13, v1
	s_mul_i32 s12, s2, s11
	s_mul_hi_u32 s14, s2, s13
	s_add_i32 s12, s14, s12
	s_mul_i32 s10, s10, s13
	s_add_i32 s12, s12, s10
	s_mul_i32 s2, s2, s13
	s_mul_hi_u32 s14, s11, s2
	s_mul_i32 s15, s11, s2
	s_mul_i32 s17, s13, s12
	s_mul_hi_u32 s2, s13, s2
	s_mul_hi_u32 s16, s13, s12
	s_add_u32 s2, s2, s17
	s_addc_u32 s13, 0, s16
	s_add_u32 s2, s2, s15
	s_mul_hi_u32 s10, s11, s12
	s_addc_u32 s2, s13, s14
	s_addc_u32 s10, s10, 0
	s_mul_i32 s12, s11, s12
	s_add_u32 s2, s2, s12
	s_addc_u32 s10, 0, s10
	v_add_co_u32_e32 v1, vcc, s2, v1
	s_cmp_lg_u64 vcc, 0
	s_addc_u32 s12, s11, s10
	s_ashr_i32 s10, s3, 31
	s_add_u32 s2, s9, s10
	s_mov_b32 s11, s10
	s_addc_u32 s3, s3, s10
	s_xor_b64 s[2:3], s[2:3], s[10:11]
	v_readfirstlane_b32 s15, v1
	s_mul_i32 s14, s2, s12
	s_mul_hi_u32 s16, s2, s15
	s_mul_hi_u32 s13, s2, s12
	s_add_u32 s14, s16, s14
	s_addc_u32 s13, 0, s13
	s_mul_hi_u32 s17, s3, s15
	s_mul_i32 s15, s3, s15
	s_add_u32 s14, s14, s15
	s_mul_hi_u32 s16, s3, s12
	s_addc_u32 s13, s13, s17
	s_addc_u32 s14, s16, 0
	s_mul_i32 s12, s3, s12
	s_add_u32 s12, s13, s12
	s_addc_u32 s13, 0, s14
	s_add_u32 s14, s12, 1
	s_addc_u32 s15, s13, 0
	s_add_u32 s16, s12, 2
	s_mul_i32 s18, s58, s13
	s_mul_hi_u32 s19, s58, s12
	s_addc_u32 s17, s13, 0
	s_add_i32 s19, s19, s18
	s_mul_i32 s18, s58, s12
	v_mov_b32_e32 v1, s18
	v_sub_co_u32_e32 v1, vcc, s2, v1
	s_cmp_lg_u64 vcc, 0
	s_subb_u32 s2, s3, s19
	v_subrev_co_u32_e32 v4, vcc, s58, v1
	s_cmp_lg_u64 vcc, 0
	s_subb_u32 s3, s2, 0
	v_readfirstlane_b32 s18, v4
	s_cmp_ge_u32 s18, s58
	s_cselect_b32 s18, -1, 0
	s_cmp_eq_u32 s3, 0
	s_cselect_b32 s3, s18, -1
	s_cmp_lg_u32 s3, 0
	s_cselect_b32 s3, s17, s15
	v_readfirstlane_b32 s15, v1
	s_cselect_b32 s14, s16, s14
	s_cmp_ge_u32 s15, s58
	s_cselect_b32 s15, -1, 0
	s_cmp_eq_u32 s2, 0
	s_cselect_b32 s2, s15, -1
	s_cmp_lg_u32 s2, 0
	s_cselect_b32 s3, s3, s13
	s_cselect_b32 s2, s14, s12
	s_xor_b64 s[2:3], s[2:3], s[10:11]
	s_sub_u32 s2, s2, s10
	s_subb_u32 s3, s3, s10
	s_cbranch_execnz .LBB87_5
.LBB87_4:
	v_cvt_f32_u32_e32 v1, s58
	s_sub_i32 s0, 0, s58
	s_mov_b32 s3, 0
	v_rcp_iflag_f32_e32 v1, v1
	v_mul_f32_e32 v1, 0x4f7ffffe, v1
	v_cvt_u32_f32_e32 v1, v1
	v_readfirstlane_b32 s1, v1
	s_mul_i32 s0, s0, s1
	s_mul_hi_u32 s0, s1, s0
	s_add_i32 s1, s1, s0
	s_mul_hi_u32 s0, s9, s1
	s_mul_i32 s2, s0, s58
	s_sub_i32 s2, s9, s2
	s_add_i32 s1, s0, 1
	s_sub_i32 s9, s2, s58
	s_cmp_ge_u32 s2, s58
	s_cselect_b32 s0, s1, s0
	s_cselect_b32 s2, s9, s2
	s_add_i32 s1, s0, 1
	s_cmp_ge_u32 s2, s58
	s_cselect_b32 s2, s1, s0
.LBB87_5:
	v_mov_b32_e32 v1, 0
	v_mov_b32_e32 v4, s6
	v_mad_u64_u32 v[14:15], s[0:1], s8, v4, v[0:1]
	s_add_u32 s0, s2, 1
	s_addc_u32 s1, s3, 0
	s_mul_hi_u32 s2, s7, s8
	s_mul_i32 s1, s33, s1
	s_mul_hi_u32 s3, s33, s0
	s_add_i32 s1, s3, s1
	s_mul_i32 s2, s2, s0
	s_add_i32 s1, s1, s2
	s_mul_i32 s0, s33, s0
	s_lshl_b64 s[26:27], s[0:1], 2
	v_cmp_gt_i64_e32 vcc, s[26:27], v[14:15]
	s_and_saveexec_b64 s[0:1], vcc
	s_cbranch_execz .LBB87_82
; %bb.6:
	s_mov_b32 s0, 0x5384540f
	v_mov_b32_e32 v0, v13
	v_add_co_u32_e32 v22, vcc, s0, v12
	s_mov_b32 s0, 0x646e171e
	v_add_co_u32_e32 v23, vcc, s0, v0
	s_mov_b32 s0, 0x1715609d
	;; [unrolled: 2-line block ×6, first 2 shown]
	v_alignbit_b32 v29, v3, v2, 2
	s_mov_b32 s60, 0xd2511f53
	v_add_co_u32_e32 v28, vcc, s0, v12
	v_mad_u64_u32 v[4:5], s[0:1], v29, s60, 0
	v_xor_b32_e32 v1, v5, v13
	v_xor_b32_e32 v1, v1, v15
	s_mov_b32 s61, 0xcd9e8d57
	v_mad_u64_u32 v[6:7], s[0:1], v1, s61, 0
	v_xor_b32_e32 v1, v28, v7
	v_mad_u64_u32 v[8:9], s[0:1], v14, s61, 0
	v_and_b32_e32 v18, 3, v2
	v_xor_b32_e32 v1, v1, v8
	v_xor_b32_e32 v2, v12, v9
	v_lshrrev_b32_e32 v30, 2, v3
	v_mad_u64_u32 v[10:11], s[0:1], v1, s60, 0
	v_xor_b32_e32 v2, v2, v30
	v_xor_b32_e32 v1, v27, v11
	v_mad_u64_u32 v[2:3], s[0:1], v2, s60, 0
	v_xor_b32_e32 v1, v1, v2
	v_mad_u64_u32 v[8:9], s[0:1], v1, s61, 0
	s_mov_b32 s0, 0xbb67ae85
	v_add_co_u32_e32 v31, vcc, s0, v0
	v_xor_b32_e32 v2, v31, v3
	v_xor_b32_e32 v2, v2, v4
	v_xor_b32_e32 v1, v26, v9
	v_mad_u64_u32 v[2:3], s[0:1], v2, s61, 0
	v_xor_b32_e32 v1, v1, v2
	v_mad_u64_u32 v[4:5], s[0:1], v1, s60, 0
	s_mov_b32 s0, 0x3c6ef372
	v_add_co_u32_e32 v32, vcc, s0, v12
	v_xor_b32_e32 v2, v32, v3
	;; [unrolled: 8-line block ×6, first 2 shown]
	v_add_co_u32_e32 v21, vcc, 0xdb3d7428, v0
	v_xor_b32_e32 v2, v2, v6
	v_xor_b32_e32 v1, v21, v5
	v_mad_u64_u32 v[2:3], s[0:1], v2, s60, 0
	v_xor_b32_e32 v1, v1, v2
	v_mad_u64_u32 v[6:7], s[0:1], v1, s61, 0
	s_mov_b32 s0, 0x1fd5c5a3
	v_add_co_u32_e32 v37, vcc, s0, v0
	v_xor_b32_e32 v0, v37, v3
	v_xor_b32_e32 v0, v0, v10
	v_mad_u64_u32 v[0:1], s[0:1], v0, s61, 0
	s_mov_b32 s0, 0xf1bbcdc8
	s_load_dwordx8 s[8:15], s[4:5], 0x30
	v_add_co_u32_e32 v38, vcc, s0, v12
	v_xor_b32_e32 v1, v38, v1
	v_xor_b32_e32 v1, v1, v8
	s_add_u32 s34, s4, 48
	v_mad_u64_u32 v[8:9], s[0:1], v1, s60, 0
	s_addc_u32 s35, s5, 0
	s_waitcnt lgkmcnt(0)
	s_add_i32 s0, s8, -1
	s_cmp_gt_u32 s0, 1
	s_cselect_b64 s[36:37], -1, 0
	s_cmp_lg_u32 s8, 0
	s_cselect_b64 s[38:39], -1, 0
	s_add_u32 s40, s4, 0xf4
	s_addc_u32 s41, s5, 0
	s_min_u32 s1, s0, 15
	s_cmp_gt_u32 s8, 1
	s_cselect_b64 s[42:43], -1, 0
	s_add_i32 s1, s1, 1
	s_mov_b32 s8, s13
	s_load_dwordx2 s[44:45], s[4:5], 0xf4
	s_load_dwordx2 s[46:47], s[4:5], 0x138
	s_lshl_b32 s13, s33, 1
	s_and_b32 s64, s1, 3
	s_cmp_lg_u32 s0, 2
	s_cselect_b64 s[48:49], -1, 0
	s_and_b32 s65, s1, 28
	s_mov_b32 s59, 0
	v_add_u32_e32 v19, 0x8ff34781, v12
	v_add_u32_e32 v20, 0x96a522ad, v13
	v_xor_b32_e32 v0, v7, v0
	v_xor_b32_e32 v1, v9, v4
	s_cmp_lg_u32 s64, 0
	v_xor_b32_e32 v0, v19, v0
	v_xor_b32_e32 v2, v20, v1
	v_mov_b32_e32 v1, v6
	v_mov_b32_e32 v3, v8
	s_mov_b32 s15, s59
	s_mul_i32 s62, s33, 3
	s_mov_b32 s63, s59
	s_mov_b64 s[50:51], 0
	s_cselect_b64 s[52:53], -1, 0
	v_mov_b32_e32 v39, v14
	v_mov_b32_e32 v40, v15
	s_branch .LBB87_9
.LBB87_7:                               ;   in Loop: Header=BB87_9 Depth=1
	v_and_b32_e32 v0, 0x7fff, v3
	s_waitcnt lgkmcnt(0)
	global_store_short v8, v0, s[46:47]
.LBB87_8:                               ;   in Loop: Header=BB87_9 Depth=1
	s_or_b64 exec, exec, s[28:29]
	v_add_co_u32_e32 v14, vcc, s58, v14
	v_addc_co_u32_e32 v15, vcc, 0, v15, vcc
	v_mov_b32_e32 v7, v16
	v_cmp_le_i64_e32 vcc, s[26:27], v[14:15]
	v_pk_mov_b32 v[0:1], v[4:5], v[4:5] op_sel:[0,1]
	s_or_b64 s[50:51], vcc, s[50:51]
	v_pk_mov_b32 v[2:3], v[6:7], v[6:7] op_sel:[0,1]
	s_waitcnt lgkmcnt(0)
	s_barrier
	s_andn2_b64 exec, exec, s[50:51]
	s_cbranch_execz .LBB87_82
.LBB87_9:                               ; =>This Loop Header: Depth=1
                                        ;     Child Loop BB87_24 Depth 2
                                        ;     Child Loop BB87_30 Depth 2
	;; [unrolled: 1-line block ×8, first 2 shown]
	v_add_co_u32_e32 v29, vcc, 1, v29
	v_cndmask_b32_e64 v4, 0, 1, vcc
	v_addc_co_u32_e32 v30, vcc, 0, v30, vcc
	v_cmp_eq_u32_e32 vcc, 0, v30
	v_cndmask_b32_e32 v4, 0, v4, vcc
	v_add_u32_e32 v39, v4, v39
	v_cmp_eq_u32_e32 vcc, 0, v39
	v_cndmask_b32_e32 v4, 0, v4, vcc
	v_add_u32_e32 v40, v4, v40
	v_mad_u64_u32 v[4:5], s[0:1], v29, s60, 0
	v_mad_u64_u32 v[6:7], s[0:1], v39, s61, 0
	v_xor_b32_e32 v5, v5, v13
	v_xor_b32_e32 v7, v7, v12
	v_xor_b32_e32 v5, v40, v5
	v_xor_b32_e32 v7, v30, v7
	v_mad_u64_u32 v[10:11], s[0:1], v5, s61, 0
	v_mad_u64_u32 v[8:9], s[0:1], v7, s60, 0
	v_xor_b32_e32 v5, v28, v11
	v_xor_b32_e32 v5, v5, v6
	v_xor_b32_e32 v6, v31, v9
	v_xor_b32_e32 v6, v6, v4
	;; [unrolled: 6-line block ×10, first 2 shown]
	v_mov_b32_e32 v5, v10
	v_mov_b32_e32 v6, v11
	v_cmp_lt_i32_e32 vcc, 1, v18
	s_and_saveexec_b64 s[0:1], vcc
	s_xor_b64 s[0:1], exec, s[0:1]
	s_cbranch_execz .LBB87_15
; %bb.10:                               ;   in Loop: Header=BB87_9 Depth=1
	v_cmp_lt_i32_e32 vcc, 2, v18
	s_and_saveexec_b64 s[2:3], vcc
	s_xor_b64 s[2:3], exec, s[2:3]
; %bb.11:                               ;   in Loop: Header=BB87_9 Depth=1
	v_mov_b32_e32 v8, v3
	v_mov_b32_e32 v9, v4
	v_pk_mov_b32 v[0:1], v[8:9], v[8:9] op_sel:[0,1]
	v_pk_mov_b32 v[2:3], v[10:11], v[10:11] op_sel:[0,1]
                                        ; implicit-def: $vgpr10_vgpr11
; %bb.12:                               ;   in Loop: Header=BB87_9 Depth=1
	s_andn2_saveexec_b64 s[2:3], s[2:3]
; %bb.13:                               ;   in Loop: Header=BB87_9 Depth=1
	v_mov_b32_e32 v0, v2
	v_mov_b32_e32 v1, v3
	;; [unrolled: 1-line block ×4, first 2 shown]
; %bb.14:                               ;   in Loop: Header=BB87_9 Depth=1
	s_or_b64 exec, exec, s[2:3]
.LBB87_15:                              ;   in Loop: Header=BB87_9 Depth=1
	s_andn2_saveexec_b64 s[0:1], s[0:1]
	s_cbranch_execz .LBB87_19
; %bb.16:                               ;   in Loop: Header=BB87_9 Depth=1
	v_cmp_eq_u32_e32 vcc, 1, v18
	s_and_saveexec_b64 s[2:3], vcc
; %bb.17:                               ;   in Loop: Header=BB87_9 Depth=1
	v_mov_b32_e32 v0, v1
	v_mov_b32_e32 v1, v2
	;; [unrolled: 1-line block ×4, first 2 shown]
; %bb.18:                               ;   in Loop: Header=BB87_9 Depth=1
	s_or_b64 exec, exec, s[2:3]
.LBB87_19:                              ;   in Loop: Header=BB87_9 Depth=1
	s_or_b64 exec, exec, s[0:1]
	v_cndmask_b32_e64 v7, 0, 1, s[36:37]
	v_cmp_gt_i64_e32 vcc, s[24:25], v[14:15]
	v_cmp_ne_u32_e64 s[0:1], 1, v7
	s_and_saveexec_b64 s[2:3], vcc
	s_cbranch_execz .LBB87_35
; %bb.20:                               ;   in Loop: Header=BB87_9 Depth=1
	s_and_b64 vcc, exec, s[0:1]
	s_cbranch_vccnz .LBB87_26
; %bb.21:                               ;   in Loop: Header=BB87_9 Depth=1
	s_andn2_b64 vcc, exec, s[38:39]
	s_cbranch_vccnz .LBB87_27
; %bb.22:                               ;   in Loop: Header=BB87_9 Depth=1
	s_mov_b32 s6, 0
	s_andn2_b64 vcc, exec, s[48:49]
	v_mov_b32_e32 v8, 0
	s_cbranch_vccnz .LBB87_28
; %bb.23:                               ;   in Loop: Header=BB87_9 Depth=1
	s_mov_b32 s66, 0
	v_mov_b32_e32 v8, 0
	s_mov_b64 s[54:55], s[34:35]
	s_mov_b64 s[56:57], s[40:41]
	v_mov_b32_e32 v7, v14
.LBB87_24:                              ;   Parent Loop BB87_9 Depth=1
                                        ; =>  This Inner Loop Header: Depth=2
	s_load_dwordx8 s[16:23], s[54:55], 0x4
	s_load_dwordx4 s[4:7], s[54:55], 0x24
	s_load_dwordx4 s[28:31], s[56:57], 0x0
	s_add_u32 s54, s54, 48
	s_addc_u32 s55, s55, 0
	s_waitcnt lgkmcnt(0)
	v_mul_hi_u32 v9, s17, v7
	v_add_u32_e32 v9, v7, v9
	v_lshrrev_b32_e32 v9, s18, v9
	v_mul_lo_u32 v10, v9, s16
	v_mul_hi_u32 v11, s20, v9
	v_sub_u32_e32 v7, v7, v10
	v_add_u32_e32 v10, v9, v11
	v_lshrrev_b32_e32 v10, s21, v10
	v_mul_lo_u32 v11, v10, s19
	v_mul_hi_u32 v17, s23, v10
	v_sub_u32_e32 v9, v9, v11
	v_add_u32_e32 v11, v10, v17
	v_mul_lo_u32 v7, v7, s28
	v_mul_lo_u32 v9, v9, s29
	v_lshrrev_b32_e32 v11, s4, v11
	v_add3_u32 v8, v7, v8, v9
	v_mul_lo_u32 v7, v11, s22
	v_mul_hi_u32 v9, s6, v11
	v_sub_u32_e32 v7, v10, v7
	v_add_u32_e32 v9, v11, v9
	v_mul_lo_u32 v10, v7, s30
	v_lshrrev_b32_e32 v7, s7, v9
	s_add_i32 s66, s66, 4
	v_mul_lo_u32 v9, v7, s5
	s_add_u32 s56, s56, 16
	v_sub_u32_e32 v9, v11, v9
	s_addc_u32 s57, s57, 0
	v_mul_lo_u32 v9, v9, s31
	s_cmp_lg_u32 s65, s66
	v_add3_u32 v8, v10, v8, v9
	s_cbranch_scc1 .LBB87_24
; %bb.25:                               ;   in Loop: Header=BB87_9 Depth=1
	s_mov_b32 s6, s65
	s_andn2_b64 vcc, exec, s[52:53]
	s_cbranch_vccz .LBB87_29
	s_branch .LBB87_31
.LBB87_26:                              ;   in Loop: Header=BB87_9 Depth=1
                                        ; implicit-def: $vgpr8
	s_branch .LBB87_32
.LBB87_27:                              ;   in Loop: Header=BB87_9 Depth=1
	v_mov_b32_e32 v8, 0
	s_branch .LBB87_31
.LBB87_28:                              ;   in Loop: Header=BB87_9 Depth=1
	v_mov_b32_e32 v7, v14
	s_andn2_b64 vcc, exec, s[52:53]
	s_cbranch_vccnz .LBB87_31
.LBB87_29:                              ;   in Loop: Header=BB87_9 Depth=1
	s_lshl_b32 s4, s6, 2
	s_add_u32 s4, s40, s4
	s_addc_u32 s5, s41, 0
	s_mul_i32 s6, s6, 12
	s_add_u32 s6, s34, s6
	s_addc_u32 s7, s35, 0
	s_mov_b32 s16, s64
.LBB87_30:                              ;   Parent Loop BB87_9 Depth=1
                                        ; =>  This Inner Loop Header: Depth=2
	s_load_dwordx2 s[18:19], s[6:7], 0x4
	s_load_dword s17, s[6:7], 0xc
	s_load_dword s20, s[4:5], 0x0
	s_add_u32 s6, s6, 12
	s_addc_u32 s7, s7, 0
	s_waitcnt lgkmcnt(0)
	v_mul_hi_u32 v9, s19, v7
	v_add_u32_e32 v9, v7, v9
	v_lshrrev_b32_e32 v9, s17, v9
	s_add_u32 s4, s4, 4
	v_mul_lo_u32 v10, v9, s18
	s_addc_u32 s5, s5, 0
	s_add_i32 s16, s16, -1
	v_sub_u32_e32 v10, v7, v10
	s_cmp_lg_u32 s16, 0
	v_mov_b32_e32 v7, v9
	v_mad_u64_u32 v[8:9], s[18:19], v10, s20, v[8:9]
	s_cbranch_scc1 .LBB87_30
.LBB87_31:                              ;   in Loop: Header=BB87_9 Depth=1
	s_cbranch_execnz .LBB87_34
.LBB87_32:                              ;   in Loop: Header=BB87_9 Depth=1
	v_mul_hi_u32 v7, v14, s10
	v_add_u32_e32 v7, v7, v14
	v_lshrrev_b32_e32 v7, s11, v7
	v_mul_lo_u32 v8, v7, s9
	v_sub_u32_e32 v8, v14, v8
	s_andn2_b64 vcc, exec, s[42:43]
	s_waitcnt lgkmcnt(0)
	v_mul_lo_u32 v8, v8, s44
	s_cbranch_vccnz .LBB87_34
; %bb.33:                               ;   in Loop: Header=BB87_9 Depth=1
	v_mul_hi_u32 v9, s8, v7
	v_add_u32_e32 v9, v7, v9
	v_lshrrev_b32_e32 v9, s14, v9
	v_mul_lo_u32 v9, v9, s12
	v_sub_u32_e32 v7, v7, v9
	v_mad_u64_u32 v[8:9], s[4:5], v7, s45, v[8:9]
.LBB87_34:                              ;   in Loop: Header=BB87_9 Depth=1
	v_and_b32_e32 v0, 0x7fff, v0
	s_waitcnt lgkmcnt(0)
	global_store_short v8, v0, s[46:47]
.LBB87_35:                              ;   in Loop: Header=BB87_9 Depth=1
	s_or_b64 exec, exec, s[2:3]
	v_mov_b32_e32 v0, s59
	v_add_co_u32_e32 v8, vcc, s33, v14
	v_addc_co_u32_e32 v9, vcc, v15, v0, vcc
	v_cmp_gt_i64_e32 vcc, s[24:25], v[8:9]
	s_and_saveexec_b64 s[2:3], vcc
	s_cbranch_execz .LBB87_51
; %bb.36:                               ;   in Loop: Header=BB87_9 Depth=1
	s_and_b64 vcc, exec, s[0:1]
	s_cbranch_vccnz .LBB87_42
; %bb.37:                               ;   in Loop: Header=BB87_9 Depth=1
	s_andn2_b64 vcc, exec, s[38:39]
	s_cbranch_vccnz .LBB87_43
; %bb.38:                               ;   in Loop: Header=BB87_9 Depth=1
	s_mov_b32 s6, 0
	s_andn2_b64 vcc, exec, s[48:49]
	v_mov_b32_e32 v10, 0
	s_cbranch_vccnz .LBB87_44
; %bb.39:                               ;   in Loop: Header=BB87_9 Depth=1
	s_mov_b32 s66, 0
	v_mov_b32_e32 v10, 0
	s_mov_b64 s[54:55], s[34:35]
	s_mov_b64 s[56:57], s[40:41]
	v_mov_b32_e32 v0, v8
.LBB87_40:                              ;   Parent Loop BB87_9 Depth=1
                                        ; =>  This Inner Loop Header: Depth=2
	s_load_dwordx8 s[16:23], s[54:55], 0x4
	s_load_dwordx4 s[4:7], s[54:55], 0x24
	s_load_dwordx4 s[28:31], s[56:57], 0x0
	s_add_u32 s54, s54, 48
	s_addc_u32 s55, s55, 0
	s_waitcnt lgkmcnt(0)
	v_mul_hi_u32 v7, s17, v0
	v_add_u32_e32 v7, v0, v7
	v_lshrrev_b32_e32 v7, s18, v7
	v_mul_lo_u32 v9, v7, s16
	v_mul_hi_u32 v11, s20, v7
	v_sub_u32_e32 v0, v0, v9
	v_add_u32_e32 v9, v7, v11
	v_lshrrev_b32_e32 v9, s21, v9
	v_mul_lo_u32 v11, v9, s19
	v_mul_hi_u32 v17, s23, v9
	v_sub_u32_e32 v7, v7, v11
	v_add_u32_e32 v11, v9, v17
	v_mul_lo_u32 v0, v0, s28
	v_mul_lo_u32 v7, v7, s29
	v_lshrrev_b32_e32 v11, s4, v11
	v_add3_u32 v7, v0, v10, v7
	v_mul_lo_u32 v0, v11, s22
	v_mul_hi_u32 v10, s6, v11
	v_sub_u32_e32 v0, v9, v0
	v_add_u32_e32 v9, v11, v10
	v_mul_lo_u32 v10, v0, s30
	v_lshrrev_b32_e32 v0, s7, v9
	s_add_i32 s66, s66, 4
	v_mul_lo_u32 v9, v0, s5
	s_add_u32 s56, s56, 16
	v_sub_u32_e32 v9, v11, v9
	s_addc_u32 s57, s57, 0
	v_mul_lo_u32 v9, v9, s31
	s_cmp_eq_u32 s65, s66
	v_add3_u32 v10, v10, v7, v9
	s_cbranch_scc0 .LBB87_40
; %bb.41:                               ;   in Loop: Header=BB87_9 Depth=1
	s_mov_b32 s6, s65
	s_andn2_b64 vcc, exec, s[52:53]
	s_cbranch_vccz .LBB87_45
	s_branch .LBB87_47
.LBB87_42:                              ;   in Loop: Header=BB87_9 Depth=1
                                        ; implicit-def: $vgpr10
	s_branch .LBB87_48
.LBB87_43:                              ;   in Loop: Header=BB87_9 Depth=1
	v_mov_b32_e32 v10, 0
	s_branch .LBB87_47
.LBB87_44:                              ;   in Loop: Header=BB87_9 Depth=1
	v_mov_b32_e32 v0, v8
	s_andn2_b64 vcc, exec, s[52:53]
	s_cbranch_vccnz .LBB87_47
.LBB87_45:                              ;   in Loop: Header=BB87_9 Depth=1
	s_lshl_b32 s4, s6, 2
	s_add_u32 s4, s40, s4
	s_addc_u32 s5, s41, 0
	s_mul_i32 s6, s6, 12
	s_add_u32 s6, s34, s6
	s_addc_u32 s7, s35, 0
	s_mov_b32 s16, s64
.LBB87_46:                              ;   Parent Loop BB87_9 Depth=1
                                        ; =>  This Inner Loop Header: Depth=2
	s_load_dwordx2 s[18:19], s[6:7], 0x4
	s_load_dword s17, s[6:7], 0xc
	s_load_dword s20, s[4:5], 0x0
	s_add_u32 s6, s6, 12
	s_addc_u32 s7, s7, 0
	s_waitcnt lgkmcnt(0)
	v_mul_hi_u32 v7, s19, v0
	v_add_u32_e32 v7, v0, v7
	v_lshrrev_b32_e32 v7, s17, v7
	s_add_u32 s4, s4, 4
	v_mul_lo_u32 v9, v7, s18
	s_addc_u32 s5, s5, 0
	s_add_i32 s16, s16, -1
	v_sub_u32_e32 v9, v0, v9
	s_cmp_lg_u32 s16, 0
	v_mov_b32_e32 v0, v7
	v_mad_u64_u32 v[10:11], s[18:19], v9, s20, v[10:11]
	s_cbranch_scc1 .LBB87_46
.LBB87_47:                              ;   in Loop: Header=BB87_9 Depth=1
	s_cbranch_execnz .LBB87_50
.LBB87_48:                              ;   in Loop: Header=BB87_9 Depth=1
	v_mul_hi_u32 v0, v8, s10
	v_add_u32_e32 v0, v0, v8
	v_lshrrev_b32_e32 v0, s11, v0
	v_mul_lo_u32 v7, v0, s9
	v_sub_u32_e32 v7, v8, v7
	s_andn2_b64 vcc, exec, s[42:43]
	s_waitcnt lgkmcnt(0)
	v_mul_lo_u32 v10, v7, s44
	s_cbranch_vccnz .LBB87_50
; %bb.49:                               ;   in Loop: Header=BB87_9 Depth=1
	v_mul_hi_u32 v7, s8, v0
	v_add_u32_e32 v7, v0, v7
	v_lshrrev_b32_e32 v7, s14, v7
	v_mul_lo_u32 v7, v7, s12
	v_sub_u32_e32 v0, v0, v7
	v_mad_u64_u32 v[10:11], s[4:5], v0, s45, v[10:11]
.LBB87_50:                              ;   in Loop: Header=BB87_9 Depth=1
	v_and_b32_e32 v0, 0x7fff, v1
	s_waitcnt lgkmcnt(0)
	global_store_short v10, v0, s[46:47]
.LBB87_51:                              ;   in Loop: Header=BB87_9 Depth=1
	s_or_b64 exec, exec, s[2:3]
	v_mov_b32_e32 v1, s15
	v_add_co_u32_e32 v0, vcc, s13, v14
	v_addc_co_u32_e32 v1, vcc, v15, v1, vcc
	v_cmp_gt_i64_e32 vcc, s[24:25], v[0:1]
	s_and_saveexec_b64 s[2:3], vcc
	s_cbranch_execz .LBB87_67
; %bb.52:                               ;   in Loop: Header=BB87_9 Depth=1
	s_and_b64 vcc, exec, s[0:1]
	s_cbranch_vccnz .LBB87_58
; %bb.53:                               ;   in Loop: Header=BB87_9 Depth=1
	s_andn2_b64 vcc, exec, s[38:39]
	s_cbranch_vccnz .LBB87_59
; %bb.54:                               ;   in Loop: Header=BB87_9 Depth=1
	s_mov_b32 s6, 0
	s_andn2_b64 vcc, exec, s[48:49]
	v_mov_b32_e32 v8, 0
	s_cbranch_vccnz .LBB87_60
; %bb.55:                               ;   in Loop: Header=BB87_9 Depth=1
	s_mov_b32 s66, 0
	v_mov_b32_e32 v8, 0
	s_mov_b64 s[54:55], s[34:35]
	s_mov_b64 s[56:57], s[40:41]
	v_mov_b32_e32 v1, v0
.LBB87_56:                              ;   Parent Loop BB87_9 Depth=1
                                        ; =>  This Inner Loop Header: Depth=2
	s_load_dwordx8 s[16:23], s[54:55], 0x4
	s_load_dwordx4 s[4:7], s[54:55], 0x24
	s_load_dwordx4 s[28:31], s[56:57], 0x0
	s_add_u32 s54, s54, 48
	s_addc_u32 s55, s55, 0
	s_waitcnt lgkmcnt(0)
	v_mul_hi_u32 v7, s17, v1
	v_add_u32_e32 v7, v1, v7
	v_lshrrev_b32_e32 v7, s18, v7
	v_mul_lo_u32 v9, v7, s16
	v_mul_hi_u32 v10, s20, v7
	v_sub_u32_e32 v1, v1, v9
	v_add_u32_e32 v9, v7, v10
	v_lshrrev_b32_e32 v9, s21, v9
	v_mul_lo_u32 v10, v9, s19
	v_mul_hi_u32 v11, s23, v9
	v_sub_u32_e32 v7, v7, v10
	v_add_u32_e32 v10, v9, v11
	v_mul_lo_u32 v1, v1, s28
	v_mul_lo_u32 v7, v7, s29
	v_lshrrev_b32_e32 v10, s4, v10
	v_add3_u32 v7, v1, v8, v7
	v_mul_lo_u32 v1, v10, s22
	v_mul_hi_u32 v8, s6, v10
	v_sub_u32_e32 v1, v9, v1
	v_add_u32_e32 v8, v10, v8
	v_mul_lo_u32 v9, v1, s30
	v_lshrrev_b32_e32 v1, s7, v8
	s_add_i32 s66, s66, 4
	v_mul_lo_u32 v8, v1, s5
	s_add_u32 s56, s56, 16
	v_sub_u32_e32 v8, v10, v8
	s_addc_u32 s57, s57, 0
	v_mul_lo_u32 v8, v8, s31
	s_cmp_eq_u32 s65, s66
	v_add3_u32 v8, v9, v7, v8
	s_cbranch_scc0 .LBB87_56
; %bb.57:                               ;   in Loop: Header=BB87_9 Depth=1
	s_mov_b32 s6, s65
	s_andn2_b64 vcc, exec, s[52:53]
	s_cbranch_vccz .LBB87_61
	s_branch .LBB87_63
.LBB87_58:                              ;   in Loop: Header=BB87_9 Depth=1
                                        ; implicit-def: $vgpr8
	s_branch .LBB87_64
.LBB87_59:                              ;   in Loop: Header=BB87_9 Depth=1
	v_mov_b32_e32 v8, 0
	s_branch .LBB87_63
.LBB87_60:                              ;   in Loop: Header=BB87_9 Depth=1
	v_mov_b32_e32 v1, v0
	s_andn2_b64 vcc, exec, s[52:53]
	s_cbranch_vccnz .LBB87_63
.LBB87_61:                              ;   in Loop: Header=BB87_9 Depth=1
	s_lshl_b32 s4, s6, 2
	s_add_u32 s4, s40, s4
	s_addc_u32 s5, s41, 0
	s_mul_i32 s6, s6, 12
	s_add_u32 s6, s34, s6
	s_addc_u32 s7, s35, 0
	s_mov_b32 s16, s64
.LBB87_62:                              ;   Parent Loop BB87_9 Depth=1
                                        ; =>  This Inner Loop Header: Depth=2
	s_load_dwordx2 s[18:19], s[6:7], 0x4
	s_load_dword s17, s[6:7], 0xc
	s_load_dword s20, s[4:5], 0x0
	s_add_u32 s6, s6, 12
	s_addc_u32 s7, s7, 0
	s_waitcnt lgkmcnt(0)
	v_mul_hi_u32 v7, s19, v1
	v_add_u32_e32 v7, v1, v7
	v_lshrrev_b32_e32 v7, s17, v7
	s_add_u32 s4, s4, 4
	v_mul_lo_u32 v9, v7, s18
	s_addc_u32 s5, s5, 0
	s_add_i32 s16, s16, -1
	v_sub_u32_e32 v9, v1, v9
	s_cmp_lg_u32 s16, 0
	v_mov_b32_e32 v1, v7
	v_mad_u64_u32 v[8:9], s[18:19], v9, s20, v[8:9]
	s_cbranch_scc1 .LBB87_62
.LBB87_63:                              ;   in Loop: Header=BB87_9 Depth=1
	s_cbranch_execnz .LBB87_66
.LBB87_64:                              ;   in Loop: Header=BB87_9 Depth=1
	v_mul_hi_u32 v1, v0, s10
	v_add_u32_e32 v1, v1, v0
	v_lshrrev_b32_e32 v1, s11, v1
	v_mul_lo_u32 v7, v1, s9
	v_sub_u32_e32 v0, v0, v7
	s_andn2_b64 vcc, exec, s[42:43]
	s_waitcnt lgkmcnt(0)
	v_mul_lo_u32 v8, v0, s44
	s_cbranch_vccnz .LBB87_66
; %bb.65:                               ;   in Loop: Header=BB87_9 Depth=1
	v_mul_hi_u32 v0, s8, v1
	v_add_u32_e32 v0, v1, v0
	v_lshrrev_b32_e32 v0, s14, v0
	v_mul_lo_u32 v0, v0, s12
	v_sub_u32_e32 v0, v1, v0
	v_mad_u64_u32 v[8:9], s[4:5], v0, s45, v[8:9]
.LBB87_66:                              ;   in Loop: Header=BB87_9 Depth=1
	v_and_b32_e32 v0, 0x7fff, v2
	s_waitcnt lgkmcnt(0)
	global_store_short v8, v0, s[46:47]
.LBB87_67:                              ;   in Loop: Header=BB87_9 Depth=1
	s_or_b64 exec, exec, s[2:3]
	v_mov_b32_e32 v1, s63
	v_add_co_u32_e32 v0, vcc, s62, v14
	v_addc_co_u32_e32 v1, vcc, v15, v1, vcc
	v_cmp_gt_i64_e32 vcc, s[24:25], v[0:1]
	s_and_saveexec_b64 s[28:29], vcc
	s_cbranch_execz .LBB87_8
; %bb.68:                               ;   in Loop: Header=BB87_9 Depth=1
	s_and_b64 vcc, exec, s[0:1]
	s_cbranch_vccnz .LBB87_74
; %bb.69:                               ;   in Loop: Header=BB87_9 Depth=1
	s_andn2_b64 vcc, exec, s[38:39]
	s_cbranch_vccnz .LBB87_75
; %bb.70:                               ;   in Loop: Header=BB87_9 Depth=1
	s_mov_b32 s2, 0
	s_andn2_b64 vcc, exec, s[48:49]
	v_mov_b32_e32 v8, 0
	s_cbranch_vccnz .LBB87_76
; %bb.71:                               ;   in Loop: Header=BB87_9 Depth=1
	s_mov_b32 s56, 0
	v_mov_b32_e32 v8, 0
	s_mov_b64 s[30:31], s[34:35]
	s_mov_b64 s[54:55], s[40:41]
	v_mov_b32_e32 v1, v0
.LBB87_72:                              ;   Parent Loop BB87_9 Depth=1
                                        ; =>  This Inner Loop Header: Depth=2
	s_load_dwordx8 s[0:7], s[30:31], 0x4
	s_load_dwordx4 s[16:19], s[30:31], 0x24
	s_load_dwordx4 s[20:23], s[54:55], 0x0
	s_add_u32 s30, s30, 48
	s_addc_u32 s31, s31, 0
	s_waitcnt lgkmcnt(0)
	v_mul_hi_u32 v2, s1, v1
	v_add_u32_e32 v2, v1, v2
	v_lshrrev_b32_e32 v2, s2, v2
	v_mul_lo_u32 v7, v2, s0
	v_mul_hi_u32 v9, s4, v2
	v_sub_u32_e32 v1, v1, v7
	v_add_u32_e32 v7, v2, v9
	v_lshrrev_b32_e32 v7, s5, v7
	v_mul_lo_u32 v9, v7, s3
	v_mul_hi_u32 v10, s7, v7
	v_sub_u32_e32 v2, v2, v9
	v_add_u32_e32 v9, v7, v10
	v_mul_lo_u32 v1, v1, s20
	v_mul_lo_u32 v2, v2, s21
	v_lshrrev_b32_e32 v9, s16, v9
	v_add3_u32 v2, v1, v8, v2
	v_mul_lo_u32 v1, v9, s6
	v_mul_hi_u32 v8, s18, v9
	v_sub_u32_e32 v1, v7, v1
	v_add_u32_e32 v7, v9, v8
	v_mul_lo_u32 v8, v1, s22
	v_lshrrev_b32_e32 v1, s19, v7
	s_add_i32 s56, s56, 4
	v_mul_lo_u32 v7, v1, s17
	s_add_u32 s54, s54, 16
	v_sub_u32_e32 v7, v9, v7
	s_addc_u32 s55, s55, 0
	v_mul_lo_u32 v7, v7, s23
	s_cmp_eq_u32 s65, s56
	v_add3_u32 v8, v8, v2, v7
	s_cbranch_scc0 .LBB87_72
; %bb.73:                               ;   in Loop: Header=BB87_9 Depth=1
	s_mov_b32 s2, s65
	s_andn2_b64 vcc, exec, s[52:53]
	s_cbranch_vccz .LBB87_77
	s_branch .LBB87_79
.LBB87_74:                              ;   in Loop: Header=BB87_9 Depth=1
                                        ; implicit-def: $vgpr8
	s_branch .LBB87_80
.LBB87_75:                              ;   in Loop: Header=BB87_9 Depth=1
	v_mov_b32_e32 v8, 0
	s_branch .LBB87_79
.LBB87_76:                              ;   in Loop: Header=BB87_9 Depth=1
	v_mov_b32_e32 v1, v0
	s_andn2_b64 vcc, exec, s[52:53]
	s_cbranch_vccnz .LBB87_79
.LBB87_77:                              ;   in Loop: Header=BB87_9 Depth=1
	s_lshl_b32 s0, s2, 2
	s_add_u32 s0, s40, s0
	s_addc_u32 s1, s41, 0
	s_mul_i32 s2, s2, 12
	s_add_u32 s2, s34, s2
	s_addc_u32 s3, s35, 0
	s_mov_b32 s4, s64
.LBB87_78:                              ;   Parent Loop BB87_9 Depth=1
                                        ; =>  This Inner Loop Header: Depth=2
	s_load_dwordx2 s[6:7], s[2:3], 0x4
	s_load_dword s5, s[2:3], 0xc
	s_load_dword s16, s[0:1], 0x0
	s_add_u32 s2, s2, 12
	s_addc_u32 s3, s3, 0
	s_waitcnt lgkmcnt(0)
	v_mul_hi_u32 v2, s7, v1
	v_add_u32_e32 v2, v1, v2
	v_lshrrev_b32_e32 v2, s5, v2
	s_add_u32 s0, s0, 4
	v_mul_lo_u32 v7, v2, s6
	s_addc_u32 s1, s1, 0
	s_add_i32 s4, s4, -1
	v_sub_u32_e32 v7, v1, v7
	s_cmp_lg_u32 s4, 0
	v_mov_b32_e32 v1, v2
	v_mad_u64_u32 v[8:9], s[6:7], v7, s16, v[8:9]
	s_cbranch_scc1 .LBB87_78
.LBB87_79:                              ;   in Loop: Header=BB87_9 Depth=1
	s_cbranch_execnz .LBB87_7
.LBB87_80:                              ;   in Loop: Header=BB87_9 Depth=1
	v_mul_hi_u32 v1, v0, s10
	v_add_u32_e32 v1, v1, v0
	v_lshrrev_b32_e32 v1, s11, v1
	v_mul_lo_u32 v2, v1, s9
	v_sub_u32_e32 v0, v0, v2
	s_andn2_b64 vcc, exec, s[42:43]
	s_waitcnt lgkmcnt(0)
	v_mul_lo_u32 v8, v0, s44
	s_cbranch_vccnz .LBB87_7
; %bb.81:                               ;   in Loop: Header=BB87_9 Depth=1
	v_mul_hi_u32 v0, s8, v1
	v_add_u32_e32 v0, v1, v0
	v_lshrrev_b32_e32 v0, s14, v0
	v_mul_lo_u32 v0, v0, s12
	v_sub_u32_e32 v0, v1, v0
	v_mad_u64_u32 v[8:9], s[0:1], v0, s45, v[8:9]
	s_branch .LBB87_7
.LBB87_82:
	s_endpgm
.LBB87_83:
                                        ; implicit-def: $sgpr2_sgpr3
	s_andn2_b64 vcc, exec, s[0:1]
	s_cbranch_vccz .LBB87_4
	s_branch .LBB87_5
	.section	.rodata,"a",@progbits
	.p2align	6, 0x0
	.amdhsa_kernel _ZN2at6native12_GLOBAL__N_143distribution_elementwise_grid_stride_kernelIjLi4EZZZNS0_9templates4cuda13random_kernelIPNS_17CUDAGeneratorImplEEEvRNS_18TensorIteratorBaseET_ENKUlvE_clEvENKUlvE3_clEvEUlP25hiprandStatePhilox4_32_10E0_ZNS1_27distribution_nullary_kernelIsj15HIP_vector_typeIjLj4EES7_SF_ZZZNS5_IS7_EEvS9_SA_ENKSB_clEvENKSC_clEvEUljE_EEvS9_T2_RKT3_T4_EUlijE0_EEvlNS_15PhiloxCudaStateET1_SK_
		.amdhsa_group_segment_fixed_size 0
		.amdhsa_private_segment_fixed_size 0
		.amdhsa_kernarg_size 584
		.amdhsa_user_sgpr_count 6
		.amdhsa_user_sgpr_private_segment_buffer 1
		.amdhsa_user_sgpr_dispatch_ptr 0
		.amdhsa_user_sgpr_queue_ptr 0
		.amdhsa_user_sgpr_kernarg_segment_ptr 1
		.amdhsa_user_sgpr_dispatch_id 0
		.amdhsa_user_sgpr_flat_scratch_init 0
		.amdhsa_user_sgpr_kernarg_preload_length 0
		.amdhsa_user_sgpr_kernarg_preload_offset 0
		.amdhsa_user_sgpr_private_segment_size 0
		.amdhsa_uses_dynamic_stack 0
		.amdhsa_system_sgpr_private_segment_wavefront_offset 0
		.amdhsa_system_sgpr_workgroup_id_x 1
		.amdhsa_system_sgpr_workgroup_id_y 0
		.amdhsa_system_sgpr_workgroup_id_z 0
		.amdhsa_system_sgpr_workgroup_info 0
		.amdhsa_system_vgpr_workitem_id 0
		.amdhsa_next_free_vgpr 41
		.amdhsa_next_free_sgpr 67
		.amdhsa_accum_offset 44
		.amdhsa_reserve_vcc 1
		.amdhsa_reserve_flat_scratch 0
		.amdhsa_float_round_mode_32 0
		.amdhsa_float_round_mode_16_64 0
		.amdhsa_float_denorm_mode_32 3
		.amdhsa_float_denorm_mode_16_64 3
		.amdhsa_dx10_clamp 1
		.amdhsa_ieee_mode 1
		.amdhsa_fp16_overflow 0
		.amdhsa_tg_split 0
		.amdhsa_exception_fp_ieee_invalid_op 0
		.amdhsa_exception_fp_denorm_src 0
		.amdhsa_exception_fp_ieee_div_zero 0
		.amdhsa_exception_fp_ieee_overflow 0
		.amdhsa_exception_fp_ieee_underflow 0
		.amdhsa_exception_fp_ieee_inexact 0
		.amdhsa_exception_int_div_zero 0
	.end_amdhsa_kernel
	.section	.text._ZN2at6native12_GLOBAL__N_143distribution_elementwise_grid_stride_kernelIjLi4EZZZNS0_9templates4cuda13random_kernelIPNS_17CUDAGeneratorImplEEEvRNS_18TensorIteratorBaseET_ENKUlvE_clEvENKUlvE3_clEvEUlP25hiprandStatePhilox4_32_10E0_ZNS1_27distribution_nullary_kernelIsj15HIP_vector_typeIjLj4EES7_SF_ZZZNS5_IS7_EEvS9_SA_ENKSB_clEvENKSC_clEvEUljE_EEvS9_T2_RKT3_T4_EUlijE0_EEvlNS_15PhiloxCudaStateET1_SK_,"axG",@progbits,_ZN2at6native12_GLOBAL__N_143distribution_elementwise_grid_stride_kernelIjLi4EZZZNS0_9templates4cuda13random_kernelIPNS_17CUDAGeneratorImplEEEvRNS_18TensorIteratorBaseET_ENKUlvE_clEvENKUlvE3_clEvEUlP25hiprandStatePhilox4_32_10E0_ZNS1_27distribution_nullary_kernelIsj15HIP_vector_typeIjLj4EES7_SF_ZZZNS5_IS7_EEvS9_SA_ENKSB_clEvENKSC_clEvEUljE_EEvS9_T2_RKT3_T4_EUlijE0_EEvlNS_15PhiloxCudaStateET1_SK_,comdat
.Lfunc_end87:
	.size	_ZN2at6native12_GLOBAL__N_143distribution_elementwise_grid_stride_kernelIjLi4EZZZNS0_9templates4cuda13random_kernelIPNS_17CUDAGeneratorImplEEEvRNS_18TensorIteratorBaseET_ENKUlvE_clEvENKUlvE3_clEvEUlP25hiprandStatePhilox4_32_10E0_ZNS1_27distribution_nullary_kernelIsj15HIP_vector_typeIjLj4EES7_SF_ZZZNS5_IS7_EEvS9_SA_ENKSB_clEvENKSC_clEvEUljE_EEvS9_T2_RKT3_T4_EUlijE0_EEvlNS_15PhiloxCudaStateET1_SK_, .Lfunc_end87-_ZN2at6native12_GLOBAL__N_143distribution_elementwise_grid_stride_kernelIjLi4EZZZNS0_9templates4cuda13random_kernelIPNS_17CUDAGeneratorImplEEEvRNS_18TensorIteratorBaseET_ENKUlvE_clEvENKUlvE3_clEvEUlP25hiprandStatePhilox4_32_10E0_ZNS1_27distribution_nullary_kernelIsj15HIP_vector_typeIjLj4EES7_SF_ZZZNS5_IS7_EEvS9_SA_ENKSB_clEvENKSC_clEvEUljE_EEvS9_T2_RKT3_T4_EUlijE0_EEvlNS_15PhiloxCudaStateET1_SK_
                                        ; -- End function
	.section	.AMDGPU.csdata,"",@progbits
; Kernel info:
; codeLenInByte = 4364
; NumSgprs: 71
; NumVgprs: 41
; NumAgprs: 0
; TotalNumVgprs: 41
; ScratchSize: 0
; MemoryBound: 0
; FloatMode: 240
; IeeeMode: 1
; LDSByteSize: 0 bytes/workgroup (compile time only)
; SGPRBlocks: 8
; VGPRBlocks: 5
; NumSGPRsForWavesPerEU: 71
; NumVGPRsForWavesPerEU: 41
; AccumOffset: 44
; Occupancy: 8
; WaveLimiterHint : 1
; COMPUTE_PGM_RSRC2:SCRATCH_EN: 0
; COMPUTE_PGM_RSRC2:USER_SGPR: 6
; COMPUTE_PGM_RSRC2:TRAP_HANDLER: 0
; COMPUTE_PGM_RSRC2:TGID_X_EN: 1
; COMPUTE_PGM_RSRC2:TGID_Y_EN: 0
; COMPUTE_PGM_RSRC2:TGID_Z_EN: 0
; COMPUTE_PGM_RSRC2:TIDIG_COMP_CNT: 0
; COMPUTE_PGM_RSRC3_GFX90A:ACCUM_OFFSET: 10
; COMPUTE_PGM_RSRC3_GFX90A:TG_SPLIT: 0
	.section	.text._ZN2at6native12_GLOBAL__N_143distribution_elementwise_grid_stride_kernelImLi2EZZZNS0_9templates4cuda13random_kernelIPNS_17CUDAGeneratorImplEEEvRNS_18TensorIteratorBaseET_ENKUlvE_clEvENKUlvE4_clEvEUlP25hiprandStatePhilox4_32_10E_ZNS1_27distribution_nullary_kernelIdm15HIP_vector_typeIyLj2EES7_SF_ZZZNS5_IS7_EEvS9_SA_ENKSB_clEvENKSC_clEvEUlmE_EEvS9_T2_RKT3_T4_EUlimE_EEvlNS_15PhiloxCudaStateET1_SK_,"axG",@progbits,_ZN2at6native12_GLOBAL__N_143distribution_elementwise_grid_stride_kernelImLi2EZZZNS0_9templates4cuda13random_kernelIPNS_17CUDAGeneratorImplEEEvRNS_18TensorIteratorBaseET_ENKUlvE_clEvENKUlvE4_clEvEUlP25hiprandStatePhilox4_32_10E_ZNS1_27distribution_nullary_kernelIdm15HIP_vector_typeIyLj2EES7_SF_ZZZNS5_IS7_EEvS9_SA_ENKSB_clEvENKSC_clEvEUlmE_EEvS9_T2_RKT3_T4_EUlimE_EEvlNS_15PhiloxCudaStateET1_SK_,comdat
	.globl	_ZN2at6native12_GLOBAL__N_143distribution_elementwise_grid_stride_kernelImLi2EZZZNS0_9templates4cuda13random_kernelIPNS_17CUDAGeneratorImplEEEvRNS_18TensorIteratorBaseET_ENKUlvE_clEvENKUlvE4_clEvEUlP25hiprandStatePhilox4_32_10E_ZNS1_27distribution_nullary_kernelIdm15HIP_vector_typeIyLj2EES7_SF_ZZZNS5_IS7_EEvS9_SA_ENKSB_clEvENKSC_clEvEUlmE_EEvS9_T2_RKT3_T4_EUlimE_EEvlNS_15PhiloxCudaStateET1_SK_ ; -- Begin function _ZN2at6native12_GLOBAL__N_143distribution_elementwise_grid_stride_kernelImLi2EZZZNS0_9templates4cuda13random_kernelIPNS_17CUDAGeneratorImplEEEvRNS_18TensorIteratorBaseET_ENKUlvE_clEvENKUlvE4_clEvEUlP25hiprandStatePhilox4_32_10E_ZNS1_27distribution_nullary_kernelIdm15HIP_vector_typeIyLj2EES7_SF_ZZZNS5_IS7_EEvS9_SA_ENKSB_clEvENKSC_clEvEUlmE_EEvS9_T2_RKT3_T4_EUlimE_EEvlNS_15PhiloxCudaStateET1_SK_
	.p2align	8
	.type	_ZN2at6native12_GLOBAL__N_143distribution_elementwise_grid_stride_kernelImLi2EZZZNS0_9templates4cuda13random_kernelIPNS_17CUDAGeneratorImplEEEvRNS_18TensorIteratorBaseET_ENKUlvE_clEvENKUlvE4_clEvEUlP25hiprandStatePhilox4_32_10E_ZNS1_27distribution_nullary_kernelIdm15HIP_vector_typeIyLj2EES7_SF_ZZZNS5_IS7_EEvS9_SA_ENKSB_clEvENKSC_clEvEUlmE_EEvS9_T2_RKT3_T4_EUlimE_EEvlNS_15PhiloxCudaStateET1_SK_,@function
_ZN2at6native12_GLOBAL__N_143distribution_elementwise_grid_stride_kernelImLi2EZZZNS0_9templates4cuda13random_kernelIPNS_17CUDAGeneratorImplEEEvRNS_18TensorIteratorBaseET_ENKUlvE_clEvENKUlvE4_clEvEUlP25hiprandStatePhilox4_32_10E_ZNS1_27distribution_nullary_kernelIdm15HIP_vector_typeIyLj2EES7_SF_ZZZNS5_IS7_EEvS9_SA_ENKSB_clEvENKSC_clEvEUlmE_EEvS9_T2_RKT3_T4_EUlimE_EEvlNS_15PhiloxCudaStateET1_SK_: ; @_ZN2at6native12_GLOBAL__N_143distribution_elementwise_grid_stride_kernelImLi2EZZZNS0_9templates4cuda13random_kernelIPNS_17CUDAGeneratorImplEEEvRNS_18TensorIteratorBaseET_ENKUlvE_clEvENKUlvE4_clEvEUlP25hiprandStatePhilox4_32_10E_ZNS1_27distribution_nullary_kernelIdm15HIP_vector_typeIyLj2EES7_SF_ZZZNS5_IS7_EEvS9_SA_ENKSB_clEvENKSC_clEvEUlmE_EEvS9_T2_RKT3_T4_EUlimE_EEvlNS_15PhiloxCudaStateET1_SK_
; %bb.0:
	s_load_dword s2, s[4:5], 0x20
	s_load_dwordx2 s[0:1], s[4:5], 0x10
	s_load_dwordx4 s[8:11], s[4:5], 0x0
	s_waitcnt lgkmcnt(0)
	s_bitcmp0_b32 s2, 0
	s_mov_b32 s2, 0
	v_pk_mov_b32 v[2:3], s[0:1], s[0:1] op_sel:[0,1]
	v_pk_mov_b32 v[14:15], s[10:11], s[10:11] op_sel:[0,1]
	s_cbranch_scc1 .LBB88_2
; %bb.1:
	v_pk_mov_b32 v[2:3], s[0:1], s[0:1] op_sel:[0,1]
	flat_load_dwordx2 v[2:3], v[2:3]
	v_pk_mov_b32 v[4:5], s[10:11], s[10:11] op_sel:[0,1]
	flat_load_dwordx2 v[14:15], v[4:5]
	s_load_dwordx2 s[0:1], s[4:5], 0x18
	s_waitcnt lgkmcnt(0)
	v_mov_b32_e32 v1, s1
	s_waitcnt vmcnt(0)
	v_add_co_u32_e32 v2, vcc, s0, v2
	v_addc_co_u32_e32 v3, vcc, v3, v1, vcc
.LBB88_2:
	s_load_dword s0, s[4:5], 0x4c
	s_load_dword s20, s[4:5], 0x40
	s_waitcnt lgkmcnt(0)
	s_and_b32 s7, s0, 0xffff
	s_add_u32 s10, s8, -1
	s_mul_i32 s14, s20, s7
	s_addc_u32 s3, s9, -1
	s_lshl_b32 s15, s14, 1
	s_cmp_lg_u64 s[2:3], 0
	s_mov_b64 s[0:1], -1
	s_cbranch_scc0 .LBB88_23
; %bb.3:
	v_cvt_f32_u32_e32 v1, s15
	v_cvt_f32_ubyte0_e32 v4, 0
	s_sub_u32 s2, 0, s15
	s_subb_u32 s11, 0, 0
	v_madmk_f32 v1, v4, 0x4f800000, v1
	v_rcp_f32_e32 v1, v1
	v_mul_f32_e32 v1, 0x5f7ffffc, v1
	v_mul_f32_e32 v4, 0x2f800000, v1
	v_trunc_f32_e32 v4, v4
	v_madmk_f32 v1, v4, 0xcf800000, v1
	v_cvt_u32_f32_e32 v4, v4
	v_cvt_u32_f32_e32 v1, v1
	v_readfirstlane_b32 s12, v4
	v_readfirstlane_b32 s13, v1
	s_mul_i32 s16, s2, s12
	s_mul_hi_u32 s18, s2, s13
	s_mul_i32 s17, s11, s13
	s_add_i32 s16, s18, s16
	s_add_i32 s16, s16, s17
	s_mul_i32 s19, s2, s13
	s_mul_hi_u32 s17, s13, s16
	s_mul_i32 s18, s13, s16
	s_mul_hi_u32 s13, s13, s19
	s_add_u32 s13, s13, s18
	s_addc_u32 s17, 0, s17
	s_mul_hi_u32 s21, s12, s19
	s_mul_i32 s19, s12, s19
	s_add_u32 s13, s13, s19
	s_mul_hi_u32 s18, s12, s16
	s_addc_u32 s13, s17, s21
	s_addc_u32 s17, s18, 0
	s_mul_i32 s16, s12, s16
	s_add_u32 s13, s13, s16
	s_addc_u32 s16, 0, s17
	v_add_co_u32_e32 v1, vcc, s13, v1
	s_cmp_lg_u64 vcc, 0
	s_addc_u32 s12, s12, s16
	v_readfirstlane_b32 s16, v1
	s_mul_i32 s13, s2, s12
	s_mul_hi_u32 s17, s2, s16
	s_add_i32 s13, s17, s13
	s_mul_i32 s11, s11, s16
	s_add_i32 s13, s13, s11
	s_mul_i32 s2, s2, s16
	s_mul_hi_u32 s17, s12, s2
	s_mul_i32 s18, s12, s2
	s_mul_i32 s21, s16, s13
	s_mul_hi_u32 s2, s16, s2
	s_mul_hi_u32 s19, s16, s13
	s_add_u32 s2, s2, s21
	s_addc_u32 s16, 0, s19
	s_add_u32 s2, s2, s18
	s_mul_hi_u32 s11, s12, s13
	s_addc_u32 s2, s16, s17
	s_addc_u32 s11, s11, 0
	s_mul_i32 s13, s12, s13
	s_add_u32 s2, s2, s13
	s_addc_u32 s11, 0, s11
	v_add_co_u32_e32 v1, vcc, s2, v1
	s_cmp_lg_u64 vcc, 0
	s_addc_u32 s11, s12, s11
	s_ashr_i32 s12, s3, 31
	s_add_u32 s2, s10, s12
	s_mov_b32 s13, s12
	s_addc_u32 s3, s3, s12
	s_xor_b64 s[2:3], s[2:3], s[12:13]
	v_readfirstlane_b32 s18, v1
	s_mul_i32 s17, s2, s11
	s_mul_hi_u32 s19, s2, s18
	s_mul_hi_u32 s16, s2, s11
	s_add_u32 s17, s19, s17
	s_addc_u32 s16, 0, s16
	s_mul_hi_u32 s21, s3, s18
	s_mul_i32 s18, s3, s18
	s_add_u32 s17, s17, s18
	s_mul_hi_u32 s19, s3, s11
	s_addc_u32 s16, s16, s21
	s_addc_u32 s17, s19, 0
	s_mul_i32 s11, s3, s11
	s_add_u32 s11, s16, s11
	s_addc_u32 s16, 0, s17
	s_add_u32 s17, s11, 1
	s_addc_u32 s18, s16, 0
	s_add_u32 s19, s11, 2
	s_mul_i32 s22, s15, s16
	s_mul_hi_u32 s23, s15, s11
	s_addc_u32 s21, s16, 0
	s_add_i32 s23, s23, s22
	s_mul_i32 s22, s15, s11
	v_mov_b32_e32 v1, s22
	v_sub_co_u32_e32 v1, vcc, s2, v1
	s_cmp_lg_u64 vcc, 0
	s_subb_u32 s2, s3, s23
	v_subrev_co_u32_e32 v4, vcc, s15, v1
	s_cmp_lg_u64 vcc, 0
	s_subb_u32 s3, s2, 0
	v_readfirstlane_b32 s22, v4
	s_cmp_ge_u32 s22, s15
	s_cselect_b32 s22, -1, 0
	s_cmp_eq_u32 s3, 0
	s_cselect_b32 s3, s22, -1
	s_cmp_lg_u32 s3, 0
	s_cselect_b32 s3, s21, s18
	v_readfirstlane_b32 s18, v1
	s_cselect_b32 s17, s19, s17
	s_cmp_ge_u32 s18, s15
	s_cselect_b32 s18, -1, 0
	s_cmp_eq_u32 s2, 0
	s_cselect_b32 s2, s18, -1
	s_cmp_lg_u32 s2, 0
	s_cselect_b32 s3, s3, s16
	s_cselect_b32 s2, s17, s11
	s_xor_b64 s[2:3], s[2:3], s[12:13]
	s_sub_u32 s2, s2, s12
	s_subb_u32 s3, s3, s12
	s_cbranch_execnz .LBB88_5
.LBB88_4:
	v_cvt_f32_u32_e32 v1, s15
	s_sub_i32 s0, 0, s15
	s_mov_b32 s3, 0
	v_rcp_iflag_f32_e32 v1, v1
	v_mul_f32_e32 v1, 0x4f7ffffe, v1
	v_cvt_u32_f32_e32 v1, v1
	v_readfirstlane_b32 s1, v1
	s_mul_i32 s0, s0, s1
	s_mul_hi_u32 s0, s1, s0
	s_add_i32 s1, s1, s0
	s_mul_hi_u32 s0, s10, s1
	s_mul_i32 s2, s0, s15
	s_sub_i32 s2, s10, s2
	s_add_i32 s1, s0, 1
	s_sub_i32 s10, s2, s15
	s_cmp_ge_u32 s2, s15
	s_cselect_b32 s0, s1, s0
	s_cselect_b32 s2, s10, s2
	s_add_i32 s1, s0, 1
	s_cmp_ge_u32 s2, s15
	s_cselect_b32 s2, s1, s0
.LBB88_5:
	v_mov_b32_e32 v1, 0
	v_mov_b32_e32 v4, s6
	v_mad_u64_u32 v[16:17], s[0:1], s7, v4, v[0:1]
	s_add_u32 s0, s2, 1
	s_addc_u32 s1, s3, 0
	s_mul_hi_u32 s2, s20, s7
	s_mul_i32 s1, s14, s1
	s_mul_hi_u32 s3, s14, s0
	s_add_i32 s1, s3, s1
	s_mul_i32 s2, s2, s0
	s_add_i32 s1, s1, s2
	s_mul_i32 s0, s14, s0
	s_lshl_b64 s[10:11], s[0:1], 1
	v_cmp_gt_i64_e32 vcc, s[10:11], v[16:17]
	s_and_saveexec_b64 s[0:1], vcc
	s_cbranch_execz .LBB88_22
; %bb.6:
	s_mov_b32 s0, 0x5384540f
	v_mov_b32_e32 v4, v15
	v_add_co_u32_e32 v22, vcc, s0, v14
	s_mov_b32 s0, 0x646e171e
	v_add_co_u32_e32 v23, vcc, s0, v4
	s_mov_b32 s0, 0x1715609d
	;; [unrolled: 2-line block ×6, first 2 shown]
	v_alignbit_b32 v29, v3, v2, 2
	s_mov_b32 s17, 0xd2511f53
	v_add_co_u32_e32 v28, vcc, s0, v14
	v_mad_u64_u32 v[6:7], s[0:1], v29, s17, 0
	v_xor_b32_e32 v1, v7, v15
	v_xor_b32_e32 v1, v1, v17
	s_mov_b32 s18, 0xcd9e8d57
	v_mad_u64_u32 v[8:9], s[0:1], v1, s18, 0
	v_xor_b32_e32 v1, v28, v9
	v_mad_u64_u32 v[10:11], s[0:1], v16, s18, 0
	v_and_b32_e32 v18, 3, v2
	v_xor_b32_e32 v1, v1, v10
	v_xor_b32_e32 v2, v14, v11
	v_lshrrev_b32_e32 v30, 2, v3
	v_mad_u64_u32 v[12:13], s[0:1], v1, s17, 0
	v_xor_b32_e32 v2, v2, v30
	v_xor_b32_e32 v1, v27, v13
	v_mad_u64_u32 v[2:3], s[0:1], v2, s17, 0
	v_xor_b32_e32 v1, v1, v2
	v_mad_u64_u32 v[10:11], s[0:1], v1, s18, 0
	s_mov_b32 s0, 0xbb67ae85
	v_add_co_u32_e32 v31, vcc, s0, v4
	v_xor_b32_e32 v2, v31, v3
	v_xor_b32_e32 v2, v2, v6
	v_xor_b32_e32 v1, v26, v11
	v_mad_u64_u32 v[2:3], s[0:1], v2, s18, 0
	v_xor_b32_e32 v1, v1, v2
	v_mad_u64_u32 v[6:7], s[0:1], v1, s17, 0
	s_mov_b32 s0, 0x3c6ef372
	v_add_co_u32_e32 v32, vcc, s0, v14
	v_xor_b32_e32 v2, v32, v3
	;; [unrolled: 8-line block ×6, first 2 shown]
	v_add_co_u32_e32 v21, vcc, 0xdb3d7428, v4
	v_xor_b32_e32 v2, v2, v8
	v_xor_b32_e32 v1, v21, v7
	v_mad_u64_u32 v[2:3], s[0:1], v2, s17, 0
	v_xor_b32_e32 v1, v1, v2
	v_mad_u64_u32 v[8:9], s[0:1], v1, s18, 0
	s_mov_b32 s0, 0x1fd5c5a3
	v_add_co_u32_e32 v37, vcc, s0, v4
	v_xor_b32_e32 v1, v37, v3
	v_xor_b32_e32 v1, v1, v12
	v_mad_u64_u32 v[2:3], s[0:1], v1, s18, 0
	s_mov_b32 s0, 0xf1bbcdc8
	s_load_dwordx2 s[12:13], s[4:5], 0x30
	s_load_dword s2, s[4:5], 0x38
	v_add_u32_e32 v19, 0x8ff34781, v14
	v_xor_b32_e32 v1, v9, v2
	v_add_co_u32_e32 v38, vcc, s0, v14
	v_xor_b32_e32 v2, v19, v1
	v_xor_b32_e32 v1, v38, v3
	;; [unrolled: 1-line block ×3, first 2 shown]
	v_mad_u64_u32 v[10:11], s[0:1], v1, s17, 0
	v_add_u32_e32 v20, 0x96a522ad, v15
	v_xor_b32_e32 v1, v11, v6
	s_mul_i32 s0, s6, s7
	v_xor_b32_e32 v4, v20, v1
	v_add_u32_e32 v1, s0, v0
	s_waitcnt lgkmcnt(0)
	s_mul_i32 s0, s20, s2
	s_mul_i32 s0, s0, s7
	s_lshl_b32 s19, s0, 1
	s_add_i32 s0, s6, s20
	s_mul_i32 s0, s0, s7
	s_mov_b32 s16, 0
	v_add_u32_e32 v0, s0, v0
	v_mov_b32_e32 v3, v8
	v_mov_b32_e32 v5, v10
	v_mul_lo_u32 v39, s2, v1
	v_mul_lo_u32 v40, s2, v0
	s_mov_b64 s[4:5], 0
	s_mov_b32 s20, 0x200000
	s_mov_b32 s21, 0x1fffff
	v_mov_b32_e32 v41, 0x7ff
	v_mov_b32_e32 v42, 0x200000
	s_mov_b32 s22, s16
	v_mov_b32_e32 v43, v16
	v_mov_b32_e32 v44, v17
	s_branch .LBB88_8
.LBB88_7:                               ;   in Loop: Header=BB88_8 Depth=1
	s_or_b64 exec, exec, s[6:7]
	v_add_co_u32_e32 v16, vcc, s15, v16
	v_addc_co_u32_e32 v17, vcc, 0, v17, vcc
	v_mov_b32_e32 v9, v0
	s_add_i32 s22, s22, s19
	v_cmp_le_i64_e32 vcc, s[10:11], v[16:17]
	v_pk_mov_b32 v[2:3], v[6:7], v[6:7] op_sel:[0,1]
	s_or_b64 s[4:5], vcc, s[4:5]
	v_pk_mov_b32 v[4:5], v[8:9], v[8:9] op_sel:[0,1]
	s_barrier
	s_andn2_b64 exec, exec, s[4:5]
	s_cbranch_execz .LBB88_22
.LBB88_8:                               ; =>This Inner Loop Header: Depth=1
	v_add_co_u32_e32 v29, vcc, 1, v29
	v_cndmask_b32_e64 v0, 0, 1, vcc
	v_addc_co_u32_e32 v30, vcc, 0, v30, vcc
	v_cmp_eq_u32_e32 vcc, 0, v30
	v_cndmask_b32_e32 v0, 0, v0, vcc
	v_add_u32_e32 v43, v0, v43
	v_cmp_eq_u32_e32 vcc, 0, v43
	v_cndmask_b32_e32 v0, 0, v0, vcc
	v_add_u32_e32 v44, v0, v44
	v_mad_u64_u32 v[0:1], s[0:1], v29, s17, 0
	v_mad_u64_u32 v[6:7], s[0:1], v43, s18, 0
	v_xor_b32_e32 v1, v1, v15
	v_xor_b32_e32 v7, v7, v14
	v_xor_b32_e32 v1, v44, v1
	v_xor_b32_e32 v7, v30, v7
	v_mad_u64_u32 v[10:11], s[0:1], v1, s18, 0
	v_mad_u64_u32 v[8:9], s[0:1], v7, s17, 0
	v_xor_b32_e32 v1, v28, v11
	v_xor_b32_e32 v1, v1, v6
	v_xor_b32_e32 v6, v31, v9
	v_xor_b32_e32 v6, v6, v0
	;; [unrolled: 6-line block ×10, first 2 shown]
	v_mov_b32_e32 v7, v12
	v_mov_b32_e32 v8, v13
	v_cmp_lt_i32_e32 vcc, 1, v18
	s_and_saveexec_b64 s[0:1], vcc
	s_xor_b64 s[0:1], exec, s[0:1]
	s_cbranch_execnz .LBB88_14
; %bb.9:                                ;   in Loop: Header=BB88_8 Depth=1
	s_andn2_saveexec_b64 s[0:1], s[0:1]
	s_cbranch_execnz .LBB88_19
.LBB88_10:                              ;   in Loop: Header=BB88_8 Depth=1
	s_or_b64 exec, exec, s[0:1]
	v_cmp_gt_i64_e32 vcc, s[8:9], v[16:17]
	s_and_saveexec_b64 s[6:7], vcc
	s_cbranch_execz .LBB88_12
.LBB88_11:                              ;   in Loop: Header=BB88_8 Depth=1
	v_add_u32_e32 v1, s22, v39
	v_ashrrev_i32_e32 v9, 31, v1
	v_mov_b32_e32 v11, s13
	v_add_co_u32_e32 v10, vcc, s12, v1
	v_addc_co_u32_e32 v11, vcc, v11, v9, vcc
	s_add_u32 s0, 0, 0
	s_addc_u32 s1, 0, 0
	v_add_co_u32_e32 v1, vcc, s0, v41
	s_cmp_lg_u64 vcc, 0
	s_addc_u32 s0, s1, 0
	v_readfirstlane_b32 s1, v1
	s_mul_i32 s24, s1, 0xffdfffff
	s_mul_hi_u32 s25, s1, -1
	s_add_i32 s25, s25, s24
	s_sub_i32 s2, 0, s1
	s_sub_i32 s24, s25, s0
	s_mul_hi_u32 s25, s1, s24
	s_mul_i32 s26, s1, s24
	s_mul_hi_u32 s1, s1, s2
	s_add_u32 s1, s1, s26
	s_mul_hi_u32 s3, s0, s2
	s_mul_i32 s23, s0, s2
	s_addc_u32 s2, 0, s25
	s_add_u32 s1, s1, s23
	s_mul_hi_u32 s25, s0, s24
	s_addc_u32 s1, s2, s3
	s_addc_u32 s2, s25, 0
	s_mul_i32 s3, s0, s24
	s_add_u32 s1, s1, s3
	s_addc_u32 s2, 0, s2
	v_add_co_u32_e32 v1, vcc, s1, v1
	s_cmp_lg_u64 vcc, 0
	s_addc_u32 s2, s0, s2
	v_mad_u64_u32 v[12:13], s[0:1], v3, s2, 0
	v_mul_hi_u32 v9, v3, v1
	v_add_co_u32_e32 v9, vcc, v9, v12
	v_addc_co_u32_e32 v45, vcc, 0, v13, vcc
	v_mad_u64_u32 v[46:47], s[0:1], v2, v1, 0
	v_add_co_u32_e32 v1, vcc, v9, v46
	v_mad_u64_u32 v[12:13], s[0:1], v2, s2, 0
	v_addc_co_u32_e32 v1, vcc, v45, v47, vcc
	v_addc_co_u32_e32 v9, vcc, 0, v13, vcc
	v_add_co_u32_e32 v1, vcc, v1, v12
	v_addc_co_u32_e32 v9, vcc, 0, v9, vcc
	v_lshl_add_u32 v9, v1, 21, v9
	v_sub_u32_e32 v12, v2, v9
	v_sub_co_u32_e32 v1, vcc, v3, v1
	v_subb_co_u32_e64 v3, s[0:1], v12, v42, vcc
	v_subrev_co_u32_e64 v12, s[0:1], 1, v1
	v_subbrev_co_u32_e64 v13, s[2:3], 0, v3, s[0:1]
	v_cmp_lt_u32_e64 s[2:3], s21, v13
	v_cndmask_b32_e64 v45, 0, -1, s[2:3]
	v_cmp_ne_u32_e64 s[2:3], 0, v12
	v_cndmask_b32_e64 v46, 0, -1, s[2:3]
	v_cmp_eq_u32_e64 s[2:3], s20, v13
	v_subb_co_u32_e64 v3, s[0:1], v3, v42, s[0:1]
	v_subb_co_u32_e32 v2, vcc, v2, v9, vcc
	v_cndmask_b32_e64 v45, v45, v46, s[2:3]
	v_subrev_co_u32_e64 v46, s[0:1], 1, v12
	v_cmp_lt_u32_e32 vcc, s21, v2
	v_subbrev_co_u32_e64 v3, s[0:1], 0, v3, s[0:1]
	v_cndmask_b32_e64 v9, 0, -1, vcc
	v_cmp_ne_u32_e32 vcc, 0, v1
	v_cmp_ne_u32_e64 s[0:1], 0, v45
	v_cndmask_b32_e64 v45, 0, -1, vcc
	v_cmp_eq_u32_e32 vcc, s20, v2
	v_cndmask_b32_e32 v9, v9, v45, vcc
	v_cmp_ne_u32_e32 vcc, 0, v9
	v_cndmask_b32_e64 v3, v13, v3, s[0:1]
	v_cndmask_b32_e64 v12, v12, v46, s[0:1]
	v_cndmask_b32_e32 v2, v2, v3, vcc
	v_cndmask_b32_e32 v1, v1, v12, vcc
	v_cvt_f64_u32_e32 v[2:3], v2
	v_ldexp_f64 v[2:3], v[2:3], 32
	v_cvt_f64_u32_e32 v[12:13], v1
	v_add_f64 v[2:3], v[2:3], v[12:13]
	global_store_dwordx2 v[10:11], v[2:3], off
.LBB88_12:                              ;   in Loop: Header=BB88_8 Depth=1
	s_or_b64 exec, exec, s[6:7]
	v_mov_b32_e32 v1, s16
	v_add_co_u32_e32 v2, vcc, s14, v16
	v_addc_co_u32_e32 v3, vcc, v1, v17, vcc
	v_cmp_gt_i64_e32 vcc, s[8:9], v[2:3]
	s_and_saveexec_b64 s[6:7], vcc
	s_cbranch_execz .LBB88_7
; %bb.13:                               ;   in Loop: Header=BB88_8 Depth=1
	v_add_u32_e32 v1, s22, v40
	v_ashrrev_i32_e32 v3, 31, v1
	v_mov_b32_e32 v9, s13
	v_add_co_u32_e32 v2, vcc, s12, v1
	v_addc_co_u32_e32 v3, vcc, v9, v3, vcc
	s_add_u32 s0, 0, 0
	s_addc_u32 s1, 0, 0
	v_add_co_u32_e32 v1, vcc, s0, v41
	s_cmp_lg_u64 vcc, 0
	s_addc_u32 s0, s1, 0
	v_readfirstlane_b32 s1, v1
	s_mul_i32 s24, s1, 0xffdfffff
	s_mul_hi_u32 s25, s1, -1
	s_add_i32 s25, s25, s24
	s_sub_i32 s2, 0, s1
	s_sub_i32 s24, s25, s0
	s_mul_hi_u32 s25, s1, s24
	s_mul_i32 s26, s1, s24
	s_mul_hi_u32 s1, s1, s2
	s_add_u32 s1, s1, s26
	s_mul_hi_u32 s3, s0, s2
	s_mul_i32 s23, s0, s2
	s_addc_u32 s2, 0, s25
	s_add_u32 s1, s1, s23
	s_mul_hi_u32 s25, s0, s24
	s_addc_u32 s1, s2, s3
	s_addc_u32 s2, s25, 0
	s_mul_i32 s3, s0, s24
	s_add_u32 s1, s1, s3
	s_addc_u32 s2, 0, s2
	v_add_co_u32_e32 v1, vcc, s1, v1
	s_cmp_lg_u64 vcc, 0
	s_addc_u32 s2, s0, s2
	v_mad_u64_u32 v[10:11], s[0:1], v5, s2, 0
	v_mul_hi_u32 v9, v5, v1
	v_add_co_u32_e32 v9, vcc, v9, v10
	v_addc_co_u32_e32 v45, vcc, 0, v11, vcc
	v_mad_u64_u32 v[12:13], s[0:1], v4, v1, 0
	v_add_co_u32_e32 v1, vcc, v9, v12
	v_mad_u64_u32 v[10:11], s[0:1], v4, s2, 0
	v_addc_co_u32_e32 v1, vcc, v45, v13, vcc
	v_addc_co_u32_e32 v9, vcc, 0, v11, vcc
	v_add_co_u32_e32 v1, vcc, v1, v10
	v_addc_co_u32_e32 v9, vcc, 0, v9, vcc
	v_lshl_add_u32 v9, v1, 21, v9
	v_sub_u32_e32 v10, v4, v9
	v_sub_co_u32_e32 v1, vcc, v5, v1
	v_subb_co_u32_e64 v5, s[0:1], v10, v42, vcc
	v_subrev_co_u32_e64 v10, s[0:1], 1, v1
	v_subbrev_co_u32_e64 v11, s[2:3], 0, v5, s[0:1]
	v_cmp_lt_u32_e64 s[2:3], s21, v11
	v_cndmask_b32_e64 v12, 0, -1, s[2:3]
	v_cmp_ne_u32_e64 s[2:3], 0, v10
	v_cndmask_b32_e64 v13, 0, -1, s[2:3]
	v_cmp_eq_u32_e64 s[2:3], s20, v11
	v_subb_co_u32_e64 v5, s[0:1], v5, v42, s[0:1]
	v_subb_co_u32_e32 v4, vcc, v4, v9, vcc
	v_cndmask_b32_e64 v12, v12, v13, s[2:3]
	v_subrev_co_u32_e64 v13, s[0:1], 1, v10
	v_cmp_lt_u32_e32 vcc, s21, v4
	v_subbrev_co_u32_e64 v5, s[0:1], 0, v5, s[0:1]
	v_cndmask_b32_e64 v9, 0, -1, vcc
	v_cmp_ne_u32_e32 vcc, 0, v1
	v_cmp_ne_u32_e64 s[0:1], 0, v12
	v_cndmask_b32_e64 v12, 0, -1, vcc
	v_cmp_eq_u32_e32 vcc, s20, v4
	v_cndmask_b32_e32 v9, v9, v12, vcc
	v_cmp_ne_u32_e32 vcc, 0, v9
	v_cndmask_b32_e64 v5, v11, v5, s[0:1]
	v_cndmask_b32_e64 v10, v10, v13, s[0:1]
	v_cndmask_b32_e32 v4, v4, v5, vcc
	v_cndmask_b32_e32 v1, v1, v10, vcc
	v_cvt_f64_u32_e32 v[4:5], v4
	v_ldexp_f64 v[4:5], v[4:5], 32
	v_cvt_f64_u32_e32 v[10:11], v1
	v_add_f64 v[4:5], v[4:5], v[10:11]
	global_store_dwordx2 v[2:3], v[4:5], off
	s_branch .LBB88_7
.LBB88_14:                              ;   in Loop: Header=BB88_8 Depth=1
	v_cmp_lt_i32_e32 vcc, 2, v18
	s_and_saveexec_b64 s[2:3], vcc
	s_xor_b64 s[2:3], exec, s[2:3]
; %bb.15:                               ;   in Loop: Header=BB88_8 Depth=1
	v_mov_b32_e32 v10, v5
	v_mov_b32_e32 v11, v6
	v_pk_mov_b32 v[2:3], v[10:11], v[10:11] op_sel:[0,1]
	v_pk_mov_b32 v[4:5], v[12:13], v[12:13] op_sel:[0,1]
                                        ; implicit-def: $vgpr12_vgpr13
; %bb.16:                               ;   in Loop: Header=BB88_8 Depth=1
	s_andn2_saveexec_b64 s[2:3], s[2:3]
; %bb.17:                               ;   in Loop: Header=BB88_8 Depth=1
	v_mov_b32_e32 v2, v4
	v_mov_b32_e32 v3, v5
	;; [unrolled: 1-line block ×4, first 2 shown]
; %bb.18:                               ;   in Loop: Header=BB88_8 Depth=1
	s_or_b64 exec, exec, s[2:3]
	s_andn2_saveexec_b64 s[0:1], s[0:1]
	s_cbranch_execz .LBB88_10
.LBB88_19:                              ;   in Loop: Header=BB88_8 Depth=1
	v_cmp_eq_u32_e32 vcc, 1, v18
	s_and_saveexec_b64 s[2:3], vcc
; %bb.20:                               ;   in Loop: Header=BB88_8 Depth=1
	v_mov_b32_e32 v2, v3
	v_mov_b32_e32 v3, v4
	;; [unrolled: 1-line block ×4, first 2 shown]
; %bb.21:                               ;   in Loop: Header=BB88_8 Depth=1
	s_or_b64 exec, exec, s[2:3]
	s_or_b64 exec, exec, s[0:1]
	v_cmp_gt_i64_e32 vcc, s[8:9], v[16:17]
	s_and_saveexec_b64 s[6:7], vcc
	s_cbranch_execnz .LBB88_11
	s_branch .LBB88_12
.LBB88_22:
	s_endpgm
.LBB88_23:
                                        ; implicit-def: $sgpr2_sgpr3
	s_andn2_b64 vcc, exec, s[0:1]
	s_cbranch_vccz .LBB88_4
	s_branch .LBB88_5
	.section	.rodata,"a",@progbits
	.p2align	6, 0x0
	.amdhsa_kernel _ZN2at6native12_GLOBAL__N_143distribution_elementwise_grid_stride_kernelImLi2EZZZNS0_9templates4cuda13random_kernelIPNS_17CUDAGeneratorImplEEEvRNS_18TensorIteratorBaseET_ENKUlvE_clEvENKUlvE4_clEvEUlP25hiprandStatePhilox4_32_10E_ZNS1_27distribution_nullary_kernelIdm15HIP_vector_typeIyLj2EES7_SF_ZZZNS5_IS7_EEvS9_SA_ENKSB_clEvENKSC_clEvEUlmE_EEvS9_T2_RKT3_T4_EUlimE_EEvlNS_15PhiloxCudaStateET1_SK_
		.amdhsa_group_segment_fixed_size 0
		.amdhsa_private_segment_fixed_size 0
		.amdhsa_kernarg_size 320
		.amdhsa_user_sgpr_count 6
		.amdhsa_user_sgpr_private_segment_buffer 1
		.amdhsa_user_sgpr_dispatch_ptr 0
		.amdhsa_user_sgpr_queue_ptr 0
		.amdhsa_user_sgpr_kernarg_segment_ptr 1
		.amdhsa_user_sgpr_dispatch_id 0
		.amdhsa_user_sgpr_flat_scratch_init 0
		.amdhsa_user_sgpr_kernarg_preload_length 0
		.amdhsa_user_sgpr_kernarg_preload_offset 0
		.amdhsa_user_sgpr_private_segment_size 0
		.amdhsa_uses_dynamic_stack 0
		.amdhsa_system_sgpr_private_segment_wavefront_offset 0
		.amdhsa_system_sgpr_workgroup_id_x 1
		.amdhsa_system_sgpr_workgroup_id_y 0
		.amdhsa_system_sgpr_workgroup_id_z 0
		.amdhsa_system_sgpr_workgroup_info 0
		.amdhsa_system_vgpr_workitem_id 0
		.amdhsa_next_free_vgpr 48
		.amdhsa_next_free_sgpr 27
		.amdhsa_accum_offset 48
		.amdhsa_reserve_vcc 1
		.amdhsa_reserve_flat_scratch 0
		.amdhsa_float_round_mode_32 0
		.amdhsa_float_round_mode_16_64 0
		.amdhsa_float_denorm_mode_32 3
		.amdhsa_float_denorm_mode_16_64 3
		.amdhsa_dx10_clamp 1
		.amdhsa_ieee_mode 1
		.amdhsa_fp16_overflow 0
		.amdhsa_tg_split 0
		.amdhsa_exception_fp_ieee_invalid_op 0
		.amdhsa_exception_fp_denorm_src 0
		.amdhsa_exception_fp_ieee_div_zero 0
		.amdhsa_exception_fp_ieee_overflow 0
		.amdhsa_exception_fp_ieee_underflow 0
		.amdhsa_exception_fp_ieee_inexact 0
		.amdhsa_exception_int_div_zero 0
	.end_amdhsa_kernel
	.section	.text._ZN2at6native12_GLOBAL__N_143distribution_elementwise_grid_stride_kernelImLi2EZZZNS0_9templates4cuda13random_kernelIPNS_17CUDAGeneratorImplEEEvRNS_18TensorIteratorBaseET_ENKUlvE_clEvENKUlvE4_clEvEUlP25hiprandStatePhilox4_32_10E_ZNS1_27distribution_nullary_kernelIdm15HIP_vector_typeIyLj2EES7_SF_ZZZNS5_IS7_EEvS9_SA_ENKSB_clEvENKSC_clEvEUlmE_EEvS9_T2_RKT3_T4_EUlimE_EEvlNS_15PhiloxCudaStateET1_SK_,"axG",@progbits,_ZN2at6native12_GLOBAL__N_143distribution_elementwise_grid_stride_kernelImLi2EZZZNS0_9templates4cuda13random_kernelIPNS_17CUDAGeneratorImplEEEvRNS_18TensorIteratorBaseET_ENKUlvE_clEvENKUlvE4_clEvEUlP25hiprandStatePhilox4_32_10E_ZNS1_27distribution_nullary_kernelIdm15HIP_vector_typeIyLj2EES7_SF_ZZZNS5_IS7_EEvS9_SA_ENKSB_clEvENKSC_clEvEUlmE_EEvS9_T2_RKT3_T4_EUlimE_EEvlNS_15PhiloxCudaStateET1_SK_,comdat
.Lfunc_end88:
	.size	_ZN2at6native12_GLOBAL__N_143distribution_elementwise_grid_stride_kernelImLi2EZZZNS0_9templates4cuda13random_kernelIPNS_17CUDAGeneratorImplEEEvRNS_18TensorIteratorBaseET_ENKUlvE_clEvENKUlvE4_clEvEUlP25hiprandStatePhilox4_32_10E_ZNS1_27distribution_nullary_kernelIdm15HIP_vector_typeIyLj2EES7_SF_ZZZNS5_IS7_EEvS9_SA_ENKSB_clEvENKSC_clEvEUlmE_EEvS9_T2_RKT3_T4_EUlimE_EEvlNS_15PhiloxCudaStateET1_SK_, .Lfunc_end88-_ZN2at6native12_GLOBAL__N_143distribution_elementwise_grid_stride_kernelImLi2EZZZNS0_9templates4cuda13random_kernelIPNS_17CUDAGeneratorImplEEEvRNS_18TensorIteratorBaseET_ENKUlvE_clEvENKUlvE4_clEvEUlP25hiprandStatePhilox4_32_10E_ZNS1_27distribution_nullary_kernelIdm15HIP_vector_typeIyLj2EES7_SF_ZZZNS5_IS7_EEvS9_SA_ENKSB_clEvENKSC_clEvEUlmE_EEvS9_T2_RKT3_T4_EUlimE_EEvlNS_15PhiloxCudaStateET1_SK_
                                        ; -- End function
	.section	.AMDGPU.csdata,"",@progbits
; Kernel info:
; codeLenInByte = 2960
; NumSgprs: 31
; NumVgprs: 48
; NumAgprs: 0
; TotalNumVgprs: 48
; ScratchSize: 0
; MemoryBound: 0
; FloatMode: 240
; IeeeMode: 1
; LDSByteSize: 0 bytes/workgroup (compile time only)
; SGPRBlocks: 3
; VGPRBlocks: 5
; NumSGPRsForWavesPerEU: 31
; NumVGPRsForWavesPerEU: 48
; AccumOffset: 48
; Occupancy: 8
; WaveLimiterHint : 0
; COMPUTE_PGM_RSRC2:SCRATCH_EN: 0
; COMPUTE_PGM_RSRC2:USER_SGPR: 6
; COMPUTE_PGM_RSRC2:TRAP_HANDLER: 0
; COMPUTE_PGM_RSRC2:TGID_X_EN: 1
; COMPUTE_PGM_RSRC2:TGID_Y_EN: 0
; COMPUTE_PGM_RSRC2:TGID_Z_EN: 0
; COMPUTE_PGM_RSRC2:TIDIG_COMP_CNT: 0
; COMPUTE_PGM_RSRC3_GFX90A:ACCUM_OFFSET: 11
; COMPUTE_PGM_RSRC3_GFX90A:TG_SPLIT: 0
	.section	.text._ZN2at6native12_GLOBAL__N_143distribution_elementwise_grid_stride_kernelImLi2EZZZNS0_9templates4cuda13random_kernelIPNS_17CUDAGeneratorImplEEEvRNS_18TensorIteratorBaseET_ENKUlvE_clEvENKUlvE4_clEvEUlP25hiprandStatePhilox4_32_10E_ZNS1_27distribution_nullary_kernelIdm15HIP_vector_typeIyLj2EES7_SF_ZZZNS5_IS7_EEvS9_SA_ENKSB_clEvENKSC_clEvEUlmE_EEvS9_T2_RKT3_T4_EUlimE0_EEvlNS_15PhiloxCudaStateET1_SK_,"axG",@progbits,_ZN2at6native12_GLOBAL__N_143distribution_elementwise_grid_stride_kernelImLi2EZZZNS0_9templates4cuda13random_kernelIPNS_17CUDAGeneratorImplEEEvRNS_18TensorIteratorBaseET_ENKUlvE_clEvENKUlvE4_clEvEUlP25hiprandStatePhilox4_32_10E_ZNS1_27distribution_nullary_kernelIdm15HIP_vector_typeIyLj2EES7_SF_ZZZNS5_IS7_EEvS9_SA_ENKSB_clEvENKSC_clEvEUlmE_EEvS9_T2_RKT3_T4_EUlimE0_EEvlNS_15PhiloxCudaStateET1_SK_,comdat
	.globl	_ZN2at6native12_GLOBAL__N_143distribution_elementwise_grid_stride_kernelImLi2EZZZNS0_9templates4cuda13random_kernelIPNS_17CUDAGeneratorImplEEEvRNS_18TensorIteratorBaseET_ENKUlvE_clEvENKUlvE4_clEvEUlP25hiprandStatePhilox4_32_10E_ZNS1_27distribution_nullary_kernelIdm15HIP_vector_typeIyLj2EES7_SF_ZZZNS5_IS7_EEvS9_SA_ENKSB_clEvENKSC_clEvEUlmE_EEvS9_T2_RKT3_T4_EUlimE0_EEvlNS_15PhiloxCudaStateET1_SK_ ; -- Begin function _ZN2at6native12_GLOBAL__N_143distribution_elementwise_grid_stride_kernelImLi2EZZZNS0_9templates4cuda13random_kernelIPNS_17CUDAGeneratorImplEEEvRNS_18TensorIteratorBaseET_ENKUlvE_clEvENKUlvE4_clEvEUlP25hiprandStatePhilox4_32_10E_ZNS1_27distribution_nullary_kernelIdm15HIP_vector_typeIyLj2EES7_SF_ZZZNS5_IS7_EEvS9_SA_ENKSB_clEvENKSC_clEvEUlmE_EEvS9_T2_RKT3_T4_EUlimE0_EEvlNS_15PhiloxCudaStateET1_SK_
	.p2align	8
	.type	_ZN2at6native12_GLOBAL__N_143distribution_elementwise_grid_stride_kernelImLi2EZZZNS0_9templates4cuda13random_kernelIPNS_17CUDAGeneratorImplEEEvRNS_18TensorIteratorBaseET_ENKUlvE_clEvENKUlvE4_clEvEUlP25hiprandStatePhilox4_32_10E_ZNS1_27distribution_nullary_kernelIdm15HIP_vector_typeIyLj2EES7_SF_ZZZNS5_IS7_EEvS9_SA_ENKSB_clEvENKSC_clEvEUlmE_EEvS9_T2_RKT3_T4_EUlimE0_EEvlNS_15PhiloxCudaStateET1_SK_,@function
_ZN2at6native12_GLOBAL__N_143distribution_elementwise_grid_stride_kernelImLi2EZZZNS0_9templates4cuda13random_kernelIPNS_17CUDAGeneratorImplEEEvRNS_18TensorIteratorBaseET_ENKUlvE_clEvENKUlvE4_clEvEUlP25hiprandStatePhilox4_32_10E_ZNS1_27distribution_nullary_kernelIdm15HIP_vector_typeIyLj2EES7_SF_ZZZNS5_IS7_EEvS9_SA_ENKSB_clEvENKSC_clEvEUlmE_EEvS9_T2_RKT3_T4_EUlimE0_EEvlNS_15PhiloxCudaStateET1_SK_: ; @_ZN2at6native12_GLOBAL__N_143distribution_elementwise_grid_stride_kernelImLi2EZZZNS0_9templates4cuda13random_kernelIPNS_17CUDAGeneratorImplEEEvRNS_18TensorIteratorBaseET_ENKUlvE_clEvENKUlvE4_clEvEUlP25hiprandStatePhilox4_32_10E_ZNS1_27distribution_nullary_kernelIdm15HIP_vector_typeIyLj2EES7_SF_ZZZNS5_IS7_EEvS9_SA_ENKSB_clEvENKSC_clEvEUlmE_EEvS9_T2_RKT3_T4_EUlimE0_EEvlNS_15PhiloxCudaStateET1_SK_
; %bb.0:
	s_load_dword s2, s[4:5], 0x20
	s_load_dwordx2 s[0:1], s[4:5], 0x10
	s_load_dwordx4 s[24:27], s[4:5], 0x0
	s_waitcnt lgkmcnt(0)
	s_bitcmp0_b32 s2, 0
	s_mov_b32 s2, 0
	v_pk_mov_b32 v[2:3], s[0:1], s[0:1] op_sel:[0,1]
	v_pk_mov_b32 v[12:13], s[26:27], s[26:27] op_sel:[0,1]
	s_cbranch_scc1 .LBB89_2
; %bb.1:
	v_pk_mov_b32 v[2:3], s[0:1], s[0:1] op_sel:[0,1]
	flat_load_dwordx2 v[2:3], v[2:3]
	v_pk_mov_b32 v[4:5], s[26:27], s[26:27] op_sel:[0,1]
	flat_load_dwordx2 v[12:13], v[4:5]
	s_load_dwordx2 s[0:1], s[4:5], 0x18
	s_waitcnt lgkmcnt(0)
	v_mov_b32_e32 v1, s1
	s_waitcnt vmcnt(0)
	v_add_co_u32_e32 v2, vcc, s0, v2
	v_addc_co_u32_e32 v3, vcc, v3, v1, vcc
.LBB89_2:
	s_load_dword s0, s[4:5], 0x154
	s_load_dword s7, s[4:5], 0x148
	s_waitcnt lgkmcnt(0)
	s_and_b32 s8, s0, 0xffff
	s_add_u32 s9, s24, -1
	s_mul_i32 s33, s7, s8
	s_addc_u32 s3, s25, -1
	s_lshl_b32 s58, s33, 1
	s_cmp_lg_u64 s[2:3], 0
	s_mov_b64 s[0:1], -1
	s_cbranch_scc0 .LBB89_51
; %bb.3:
	v_cvt_f32_u32_e32 v1, s58
	v_cvt_f32_ubyte0_e32 v4, 0
	s_sub_u32 s2, 0, s58
	s_subb_u32 s10, 0, 0
	v_madmk_f32 v1, v4, 0x4f800000, v1
	v_rcp_f32_e32 v1, v1
	v_mul_f32_e32 v1, 0x5f7ffffc, v1
	v_mul_f32_e32 v4, 0x2f800000, v1
	v_trunc_f32_e32 v4, v4
	v_madmk_f32 v1, v4, 0xcf800000, v1
	v_cvt_u32_f32_e32 v4, v4
	v_cvt_u32_f32_e32 v1, v1
	v_readfirstlane_b32 s11, v4
	v_readfirstlane_b32 s12, v1
	s_mul_i32 s13, s2, s11
	s_mul_hi_u32 s15, s2, s12
	s_mul_i32 s14, s10, s12
	s_add_i32 s13, s15, s13
	s_add_i32 s13, s13, s14
	s_mul_i32 s16, s2, s12
	s_mul_hi_u32 s14, s12, s13
	s_mul_i32 s15, s12, s13
	s_mul_hi_u32 s12, s12, s16
	s_add_u32 s12, s12, s15
	s_addc_u32 s14, 0, s14
	s_mul_hi_u32 s17, s11, s16
	s_mul_i32 s16, s11, s16
	s_add_u32 s12, s12, s16
	s_mul_hi_u32 s15, s11, s13
	s_addc_u32 s12, s14, s17
	s_addc_u32 s14, s15, 0
	s_mul_i32 s13, s11, s13
	s_add_u32 s12, s12, s13
	s_addc_u32 s13, 0, s14
	v_add_co_u32_e32 v1, vcc, s12, v1
	s_cmp_lg_u64 vcc, 0
	s_addc_u32 s11, s11, s13
	v_readfirstlane_b32 s13, v1
	s_mul_i32 s12, s2, s11
	s_mul_hi_u32 s14, s2, s13
	s_add_i32 s12, s14, s12
	s_mul_i32 s10, s10, s13
	s_add_i32 s12, s12, s10
	s_mul_i32 s2, s2, s13
	s_mul_hi_u32 s14, s11, s2
	s_mul_i32 s15, s11, s2
	s_mul_i32 s17, s13, s12
	s_mul_hi_u32 s2, s13, s2
	s_mul_hi_u32 s16, s13, s12
	s_add_u32 s2, s2, s17
	s_addc_u32 s13, 0, s16
	s_add_u32 s2, s2, s15
	s_mul_hi_u32 s10, s11, s12
	s_addc_u32 s2, s13, s14
	s_addc_u32 s10, s10, 0
	s_mul_i32 s12, s11, s12
	s_add_u32 s2, s2, s12
	s_addc_u32 s10, 0, s10
	v_add_co_u32_e32 v1, vcc, s2, v1
	s_cmp_lg_u64 vcc, 0
	s_addc_u32 s12, s11, s10
	s_ashr_i32 s10, s3, 31
	s_add_u32 s2, s9, s10
	s_mov_b32 s11, s10
	s_addc_u32 s3, s3, s10
	s_xor_b64 s[2:3], s[2:3], s[10:11]
	v_readfirstlane_b32 s15, v1
	s_mul_i32 s14, s2, s12
	s_mul_hi_u32 s16, s2, s15
	s_mul_hi_u32 s13, s2, s12
	s_add_u32 s14, s16, s14
	s_addc_u32 s13, 0, s13
	s_mul_hi_u32 s17, s3, s15
	s_mul_i32 s15, s3, s15
	s_add_u32 s14, s14, s15
	s_mul_hi_u32 s16, s3, s12
	s_addc_u32 s13, s13, s17
	s_addc_u32 s14, s16, 0
	s_mul_i32 s12, s3, s12
	s_add_u32 s12, s13, s12
	s_addc_u32 s13, 0, s14
	s_add_u32 s14, s12, 1
	s_addc_u32 s15, s13, 0
	s_add_u32 s16, s12, 2
	s_mul_i32 s18, s58, s13
	s_mul_hi_u32 s19, s58, s12
	s_addc_u32 s17, s13, 0
	s_add_i32 s19, s19, s18
	s_mul_i32 s18, s58, s12
	v_mov_b32_e32 v1, s18
	v_sub_co_u32_e32 v1, vcc, s2, v1
	s_cmp_lg_u64 vcc, 0
	s_subb_u32 s2, s3, s19
	v_subrev_co_u32_e32 v4, vcc, s58, v1
	s_cmp_lg_u64 vcc, 0
	s_subb_u32 s3, s2, 0
	v_readfirstlane_b32 s18, v4
	s_cmp_ge_u32 s18, s58
	s_cselect_b32 s18, -1, 0
	s_cmp_eq_u32 s3, 0
	s_cselect_b32 s3, s18, -1
	s_cmp_lg_u32 s3, 0
	s_cselect_b32 s3, s17, s15
	v_readfirstlane_b32 s15, v1
	s_cselect_b32 s14, s16, s14
	s_cmp_ge_u32 s15, s58
	s_cselect_b32 s15, -1, 0
	s_cmp_eq_u32 s2, 0
	s_cselect_b32 s2, s15, -1
	s_cmp_lg_u32 s2, 0
	s_cselect_b32 s3, s3, s13
	s_cselect_b32 s2, s14, s12
	s_xor_b64 s[2:3], s[2:3], s[10:11]
	s_sub_u32 s2, s2, s10
	s_subb_u32 s3, s3, s10
	s_cbranch_execnz .LBB89_5
.LBB89_4:
	v_cvt_f32_u32_e32 v1, s58
	s_sub_i32 s0, 0, s58
	s_mov_b32 s3, 0
	v_rcp_iflag_f32_e32 v1, v1
	v_mul_f32_e32 v1, 0x4f7ffffe, v1
	v_cvt_u32_f32_e32 v1, v1
	v_readfirstlane_b32 s1, v1
	s_mul_i32 s0, s0, s1
	s_mul_hi_u32 s0, s1, s0
	s_add_i32 s1, s1, s0
	s_mul_hi_u32 s0, s9, s1
	s_mul_i32 s2, s0, s58
	s_sub_i32 s2, s9, s2
	s_add_i32 s1, s0, 1
	s_sub_i32 s9, s2, s58
	s_cmp_ge_u32 s2, s58
	s_cselect_b32 s0, s1, s0
	s_cselect_b32 s2, s9, s2
	s_add_i32 s1, s0, 1
	s_cmp_ge_u32 s2, s58
	s_cselect_b32 s2, s1, s0
.LBB89_5:
	v_mov_b32_e32 v1, 0
	v_mov_b32_e32 v4, s6
	v_mad_u64_u32 v[14:15], s[0:1], s8, v4, v[0:1]
	s_add_u32 s0, s2, 1
	s_addc_u32 s1, s3, 0
	s_mul_hi_u32 s2, s7, s8
	s_mul_i32 s1, s33, s1
	s_mul_hi_u32 s3, s33, s0
	s_add_i32 s1, s3, s1
	s_mul_i32 s2, s2, s0
	s_add_i32 s1, s1, s2
	s_mul_i32 s0, s33, s0
	s_lshl_b64 s[26:27], s[0:1], 1
	v_cmp_gt_i64_e32 vcc, s[26:27], v[14:15]
	s_and_saveexec_b64 s[0:1], vcc
	s_cbranch_execz .LBB89_50
; %bb.6:
	s_mov_b32 s0, 0x5384540f
	v_mov_b32_e32 v0, v13
	v_add_co_u32_e32 v22, vcc, s0, v12
	s_mov_b32 s0, 0x646e171e
	v_add_co_u32_e32 v23, vcc, s0, v0
	s_mov_b32 s0, 0x1715609d
	v_add_co_u32_e32 v24, vcc, s0, v12
	s_mov_b32 s0, 0xed9eba14
	v_add_co_u32_e32 v25, vcc, s0, v0
	s_mov_b32 s0, 0xdaa66d2b
	v_add_co_u32_e32 v26, vcc, s0, v12
	s_mov_b32 s0, 0x76cf5d0a
	v_add_co_u32_e32 v27, vcc, s0, v0
	s_mov_b32 s0, 0x9e3779b9
	v_alignbit_b32 v29, v3, v2, 2
	s_mov_b32 s60, 0xd2511f53
	v_add_co_u32_e32 v28, vcc, s0, v12
	v_mad_u64_u32 v[4:5], s[0:1], v29, s60, 0
	v_xor_b32_e32 v1, v5, v13
	v_xor_b32_e32 v1, v1, v15
	s_mov_b32 s61, 0xcd9e8d57
	v_mad_u64_u32 v[6:7], s[0:1], v1, s61, 0
	v_xor_b32_e32 v1, v28, v7
	v_mad_u64_u32 v[8:9], s[0:1], v14, s61, 0
	v_and_b32_e32 v18, 3, v2
	v_xor_b32_e32 v1, v1, v8
	v_xor_b32_e32 v2, v12, v9
	v_lshrrev_b32_e32 v30, 2, v3
	v_mad_u64_u32 v[10:11], s[0:1], v1, s60, 0
	v_xor_b32_e32 v2, v2, v30
	v_xor_b32_e32 v1, v27, v11
	v_mad_u64_u32 v[2:3], s[0:1], v2, s60, 0
	v_xor_b32_e32 v1, v1, v2
	v_mad_u64_u32 v[8:9], s[0:1], v1, s61, 0
	s_mov_b32 s0, 0xbb67ae85
	v_add_co_u32_e32 v31, vcc, s0, v0
	v_xor_b32_e32 v2, v31, v3
	v_xor_b32_e32 v2, v2, v4
	v_xor_b32_e32 v1, v26, v9
	v_mad_u64_u32 v[2:3], s[0:1], v2, s61, 0
	v_xor_b32_e32 v1, v1, v2
	v_mad_u64_u32 v[4:5], s[0:1], v1, s60, 0
	s_mov_b32 s0, 0x3c6ef372
	v_add_co_u32_e32 v32, vcc, s0, v12
	v_xor_b32_e32 v2, v32, v3
	;; [unrolled: 8-line block ×6, first 2 shown]
	v_add_co_u32_e32 v21, vcc, 0xdb3d7428, v0
	v_xor_b32_e32 v2, v2, v6
	v_xor_b32_e32 v1, v21, v5
	v_mad_u64_u32 v[2:3], s[0:1], v2, s60, 0
	v_xor_b32_e32 v1, v1, v2
	v_mad_u64_u32 v[6:7], s[0:1], v1, s61, 0
	s_mov_b32 s0, 0x1fd5c5a3
	v_add_co_u32_e32 v37, vcc, s0, v0
	v_xor_b32_e32 v0, v37, v3
	v_xor_b32_e32 v0, v0, v10
	v_mad_u64_u32 v[0:1], s[0:1], v0, s61, 0
	s_mov_b32 s0, 0xf1bbcdc8
	s_load_dwordx8 s[8:15], s[4:5], 0x30
	v_add_co_u32_e32 v38, vcc, s0, v12
	v_xor_b32_e32 v1, v38, v1
	v_xor_b32_e32 v1, v1, v8
	s_add_u32 s34, s4, 48
	v_mad_u64_u32 v[8:9], s[0:1], v1, s60, 0
	s_addc_u32 s35, s5, 0
	s_waitcnt lgkmcnt(0)
	s_add_i32 s0, s8, -1
	s_cmp_gt_u32 s0, 1
	s_cselect_b64 s[36:37], -1, 0
	s_cmp_lg_u32 s8, 0
	s_cselect_b64 s[38:39], -1, 0
	s_add_u32 s40, s4, 0xf4
	s_addc_u32 s41, s5, 0
	s_min_u32 s1, s0, 15
	s_cmp_gt_u32 s8, 1
	s_cselect_b64 s[42:43], -1, 0
	s_add_i32 s1, s1, 1
	s_mov_b32 s8, s13
	s_load_dwordx2 s[44:45], s[4:5], 0xf4
	s_load_dwordx2 s[46:47], s[4:5], 0x138
	s_and_b32 s13, s1, 3
	s_cmp_lg_u32 s0, 2
	s_cselect_b64 s[48:49], -1, 0
	s_and_b32 s15, s1, 28
	v_add_u32_e32 v19, 0x8ff34781, v12
	v_add_u32_e32 v20, 0x96a522ad, v13
	v_xor_b32_e32 v0, v7, v0
	v_xor_b32_e32 v1, v9, v4
	s_cmp_lg_u32 s13, 0
	s_mov_b32 s59, 0
	v_xor_b32_e32 v0, v19, v0
	v_xor_b32_e32 v2, v20, v1
	v_mov_b32_e32 v1, v6
	v_mov_b32_e32 v3, v8
	s_mov_b64 s[50:51], 0
	s_cselect_b64 s[52:53], -1, 0
	s_mov_b32 s62, 0x200000
	s_mov_b32 s63, 0x1fffff
	v_mov_b32_e32 v39, 0x7ff
	v_mov_b32_e32 v40, 0x200000
	;; [unrolled: 1-line block ×4, first 2 shown]
	s_branch .LBB89_9
.LBB89_7:                               ;   in Loop: Header=BB89_9 Depth=1
	s_add_u32 s0, 0, 0
	s_addc_u32 s1, 0, 0
	v_add_co_u32_e32 v1, vcc, s0, v39
	s_cmp_lg_u64 vcc, 0
	s_addc_u32 s0, s1, 0
	v_readfirstlane_b32 s1, v1
	s_mul_i32 s5, s1, 0xffdfffff
	s_mul_hi_u32 s6, s1, -1
	s_add_i32 s6, s6, s5
	s_sub_i32 s2, 0, s1
	s_sub_i32 s5, s6, s0
	s_mul_hi_u32 s6, s1, s5
	s_mul_i32 s7, s1, s5
	s_mul_hi_u32 s1, s1, s2
	s_add_u32 s1, s1, s7
	s_mul_hi_u32 s3, s0, s2
	s_mul_i32 s4, s0, s2
	s_addc_u32 s2, 0, s6
	s_add_u32 s1, s1, s4
	s_mul_hi_u32 s6, s0, s5
	s_addc_u32 s1, s2, s3
	s_addc_u32 s2, s6, 0
	s_mul_i32 s3, s0, s5
	s_add_u32 s1, s1, s3
	s_addc_u32 s2, 0, s2
	v_add_co_u32_e32 v1, vcc, s1, v1
	s_cmp_lg_u64 vcc, 0
	s_addc_u32 s2, s0, s2
	v_mad_u64_u32 v[8:9], s[0:1], v3, s2, 0
	v_mul_hi_u32 v7, v3, v1
	v_add_co_u32_e32 v7, vcc, v7, v8
	v_addc_co_u32_e32 v17, vcc, 0, v9, vcc
	v_mad_u64_u32 v[10:11], s[0:1], v2, v1, 0
	v_add_co_u32_e32 v1, vcc, v7, v10
	v_mad_u64_u32 v[8:9], s[0:1], v2, s2, 0
	v_addc_co_u32_e32 v1, vcc, v17, v11, vcc
	v_addc_co_u32_e32 v7, vcc, 0, v9, vcc
	v_add_co_u32_e32 v1, vcc, v1, v8
	v_addc_co_u32_e32 v7, vcc, 0, v7, vcc
	v_lshl_add_u32 v7, v1, 21, v7
	v_sub_u32_e32 v8, v2, v7
	v_sub_co_u32_e32 v1, vcc, v3, v1
	v_subb_co_u32_e64 v3, s[0:1], v8, v40, vcc
	v_subrev_co_u32_e64 v8, s[0:1], 1, v1
	v_subbrev_co_u32_e64 v9, s[2:3], 0, v3, s[0:1]
	v_cmp_lt_u32_e64 s[2:3], s63, v9
	v_cndmask_b32_e64 v10, 0, -1, s[2:3]
	v_cmp_ne_u32_e64 s[2:3], 0, v8
	v_cndmask_b32_e64 v11, 0, -1, s[2:3]
	v_cmp_eq_u32_e64 s[2:3], s62, v9
	v_subb_co_u32_e64 v3, s[0:1], v3, v40, s[0:1]
	v_subb_co_u32_e32 v2, vcc, v2, v7, vcc
	v_cndmask_b32_e64 v10, v10, v11, s[2:3]
	v_subrev_co_u32_e64 v11, s[0:1], 1, v8
	v_cmp_lt_u32_e32 vcc, s63, v2
	v_subbrev_co_u32_e64 v3, s[0:1], 0, v3, s[0:1]
	v_cndmask_b32_e64 v7, 0, -1, vcc
	v_cmp_ne_u32_e32 vcc, 0, v1
	v_cmp_ne_u32_e64 s[0:1], 0, v10
	v_cndmask_b32_e64 v10, 0, -1, vcc
	v_cmp_eq_u32_e32 vcc, s62, v2
	v_cndmask_b32_e32 v7, v7, v10, vcc
	v_cmp_ne_u32_e32 vcc, 0, v7
	v_cndmask_b32_e64 v3, v9, v3, s[0:1]
	v_cndmask_b32_e64 v8, v8, v11, s[0:1]
	v_cndmask_b32_e32 v2, v2, v3, vcc
	v_cndmask_b32_e32 v1, v1, v8, vcc
	v_cvt_f64_u32_e32 v[2:3], v2
	v_ldexp_f64 v[2:3], v[2:3], 32
	v_cvt_f64_u32_e32 v[8:9], v1
	v_add_f64 v[2:3], v[2:3], v[8:9]
	s_waitcnt lgkmcnt(0)
	global_store_dwordx2 v0, v[2:3], s[46:47]
.LBB89_8:                               ;   in Loop: Header=BB89_9 Depth=1
	s_or_b64 exec, exec, s[28:29]
	v_add_co_u32_e32 v14, vcc, s58, v14
	v_addc_co_u32_e32 v15, vcc, 0, v15, vcc
	v_mov_b32_e32 v7, v16
	v_cmp_le_i64_e32 vcc, s[26:27], v[14:15]
	v_pk_mov_b32 v[0:1], v[4:5], v[4:5] op_sel:[0,1]
	s_or_b64 s[50:51], vcc, s[50:51]
	v_pk_mov_b32 v[2:3], v[6:7], v[6:7] op_sel:[0,1]
	s_waitcnt lgkmcnt(0)
	s_barrier
	s_andn2_b64 exec, exec, s[50:51]
	s_cbranch_execz .LBB89_50
.LBB89_9:                               ; =>This Loop Header: Depth=1
                                        ;     Child Loop BB89_24 Depth 2
                                        ;     Child Loop BB89_30 Depth 2
	;; [unrolled: 1-line block ×4, first 2 shown]
	v_add_co_u32_e32 v29, vcc, 1, v29
	v_cndmask_b32_e64 v4, 0, 1, vcc
	v_addc_co_u32_e32 v30, vcc, 0, v30, vcc
	v_cmp_eq_u32_e32 vcc, 0, v30
	v_cndmask_b32_e32 v4, 0, v4, vcc
	v_add_u32_e32 v41, v4, v41
	v_cmp_eq_u32_e32 vcc, 0, v41
	v_cndmask_b32_e32 v4, 0, v4, vcc
	v_add_u32_e32 v42, v4, v42
	v_mad_u64_u32 v[4:5], s[0:1], v29, s60, 0
	v_mad_u64_u32 v[6:7], s[0:1], v41, s61, 0
	v_xor_b32_e32 v5, v5, v13
	v_xor_b32_e32 v7, v7, v12
	v_xor_b32_e32 v5, v42, v5
	v_xor_b32_e32 v7, v30, v7
	v_mad_u64_u32 v[10:11], s[0:1], v5, s61, 0
	v_mad_u64_u32 v[8:9], s[0:1], v7, s60, 0
	v_xor_b32_e32 v5, v28, v11
	v_xor_b32_e32 v5, v5, v6
	v_xor_b32_e32 v6, v31, v9
	v_xor_b32_e32 v6, v6, v4
	;; [unrolled: 6-line block ×10, first 2 shown]
	v_mov_b32_e32 v5, v10
	v_mov_b32_e32 v6, v11
	v_cmp_lt_i32_e32 vcc, 1, v18
	s_and_saveexec_b64 s[0:1], vcc
	s_xor_b64 s[0:1], exec, s[0:1]
	s_cbranch_execz .LBB89_15
; %bb.10:                               ;   in Loop: Header=BB89_9 Depth=1
	v_cmp_lt_i32_e32 vcc, 2, v18
	s_and_saveexec_b64 s[2:3], vcc
	s_xor_b64 s[2:3], exec, s[2:3]
; %bb.11:                               ;   in Loop: Header=BB89_9 Depth=1
	v_mov_b32_e32 v8, v3
	v_mov_b32_e32 v9, v4
	v_pk_mov_b32 v[0:1], v[8:9], v[8:9] op_sel:[0,1]
	v_pk_mov_b32 v[2:3], v[10:11], v[10:11] op_sel:[0,1]
                                        ; implicit-def: $vgpr10_vgpr11
; %bb.12:                               ;   in Loop: Header=BB89_9 Depth=1
	s_andn2_saveexec_b64 s[2:3], s[2:3]
; %bb.13:                               ;   in Loop: Header=BB89_9 Depth=1
	v_mov_b32_e32 v0, v2
	v_mov_b32_e32 v1, v3
	;; [unrolled: 1-line block ×4, first 2 shown]
; %bb.14:                               ;   in Loop: Header=BB89_9 Depth=1
	s_or_b64 exec, exec, s[2:3]
.LBB89_15:                              ;   in Loop: Header=BB89_9 Depth=1
	s_andn2_saveexec_b64 s[0:1], s[0:1]
	s_cbranch_execz .LBB89_19
; %bb.16:                               ;   in Loop: Header=BB89_9 Depth=1
	v_cmp_eq_u32_e32 vcc, 1, v18
	s_and_saveexec_b64 s[2:3], vcc
; %bb.17:                               ;   in Loop: Header=BB89_9 Depth=1
	v_mov_b32_e32 v0, v1
	v_mov_b32_e32 v1, v2
	;; [unrolled: 1-line block ×4, first 2 shown]
; %bb.18:                               ;   in Loop: Header=BB89_9 Depth=1
	s_or_b64 exec, exec, s[2:3]
.LBB89_19:                              ;   in Loop: Header=BB89_9 Depth=1
	s_or_b64 exec, exec, s[0:1]
	v_cndmask_b32_e64 v7, 0, 1, s[36:37]
	v_cmp_gt_i64_e32 vcc, s[24:25], v[14:15]
	v_cmp_ne_u32_e64 s[0:1], 1, v7
	s_and_saveexec_b64 s[54:55], vcc
	s_cbranch_execz .LBB89_35
; %bb.20:                               ;   in Loop: Header=BB89_9 Depth=1
	s_and_b64 vcc, exec, s[0:1]
	s_cbranch_vccnz .LBB89_26
; %bb.21:                               ;   in Loop: Header=BB89_9 Depth=1
	s_andn2_b64 vcc, exec, s[38:39]
	s_cbranch_vccnz .LBB89_27
; %bb.22:                               ;   in Loop: Header=BB89_9 Depth=1
	s_mov_b32 s4, 0
	s_andn2_b64 vcc, exec, s[48:49]
	v_mov_b32_e32 v8, 0
	s_cbranch_vccnz .LBB89_28
; %bb.23:                               ;   in Loop: Header=BB89_9 Depth=1
	s_mov_b32 s64, 0
	v_mov_b32_e32 v8, 0
	s_mov_b64 s[2:3], s[34:35]
	s_mov_b64 s[56:57], s[40:41]
	v_mov_b32_e32 v7, v14
.LBB89_24:                              ;   Parent Loop BB89_9 Depth=1
                                        ; =>  This Inner Loop Header: Depth=2
	s_load_dwordx8 s[16:23], s[2:3], 0x4
	s_load_dwordx4 s[4:7], s[2:3], 0x24
	s_load_dwordx4 s[28:31], s[56:57], 0x0
	s_add_u32 s2, s2, 48
	s_addc_u32 s3, s3, 0
	s_waitcnt lgkmcnt(0)
	v_mul_hi_u32 v9, s17, v7
	v_add_u32_e32 v9, v7, v9
	v_lshrrev_b32_e32 v9, s18, v9
	v_mul_lo_u32 v10, v9, s16
	v_mul_hi_u32 v11, s20, v9
	v_sub_u32_e32 v7, v7, v10
	v_add_u32_e32 v10, v9, v11
	v_lshrrev_b32_e32 v10, s21, v10
	v_mul_lo_u32 v11, v10, s19
	v_mul_hi_u32 v17, s23, v10
	v_sub_u32_e32 v9, v9, v11
	v_add_u32_e32 v11, v10, v17
	v_mul_lo_u32 v7, v7, s28
	v_mul_lo_u32 v9, v9, s29
	v_lshrrev_b32_e32 v11, s4, v11
	v_add3_u32 v8, v7, v8, v9
	v_mul_lo_u32 v7, v11, s22
	v_mul_hi_u32 v9, s6, v11
	v_sub_u32_e32 v7, v10, v7
	v_add_u32_e32 v9, v11, v9
	v_mul_lo_u32 v10, v7, s30
	v_lshrrev_b32_e32 v7, s7, v9
	s_add_i32 s64, s64, 4
	v_mul_lo_u32 v9, v7, s5
	s_add_u32 s56, s56, 16
	v_sub_u32_e32 v9, v11, v9
	s_addc_u32 s57, s57, 0
	v_mul_lo_u32 v9, v9, s31
	s_cmp_lg_u32 s15, s64
	v_add3_u32 v8, v10, v8, v9
	s_cbranch_scc1 .LBB89_24
; %bb.25:                               ;   in Loop: Header=BB89_9 Depth=1
	s_mov_b32 s4, s15
	s_andn2_b64 vcc, exec, s[52:53]
	s_cbranch_vccz .LBB89_29
	s_branch .LBB89_31
.LBB89_26:                              ;   in Loop: Header=BB89_9 Depth=1
                                        ; implicit-def: $vgpr8
	s_branch .LBB89_32
.LBB89_27:                              ;   in Loop: Header=BB89_9 Depth=1
	v_mov_b32_e32 v8, 0
	s_branch .LBB89_31
.LBB89_28:                              ;   in Loop: Header=BB89_9 Depth=1
	v_mov_b32_e32 v7, v14
	s_andn2_b64 vcc, exec, s[52:53]
	s_cbranch_vccnz .LBB89_31
.LBB89_29:                              ;   in Loop: Header=BB89_9 Depth=1
	s_lshl_b32 s2, s4, 2
	s_add_u32 s2, s40, s2
	s_addc_u32 s3, s41, 0
	s_mul_i32 s4, s4, 12
	s_add_u32 s4, s34, s4
	s_addc_u32 s5, s35, 0
	s_mov_b32 s6, s13
.LBB89_30:                              ;   Parent Loop BB89_9 Depth=1
                                        ; =>  This Inner Loop Header: Depth=2
	s_load_dwordx2 s[16:17], s[4:5], 0x4
	s_load_dword s7, s[4:5], 0xc
	s_load_dword s18, s[2:3], 0x0
	s_add_u32 s4, s4, 12
	s_addc_u32 s5, s5, 0
	s_waitcnt lgkmcnt(0)
	v_mul_hi_u32 v9, s17, v7
	v_add_u32_e32 v9, v7, v9
	v_lshrrev_b32_e32 v9, s7, v9
	s_add_u32 s2, s2, 4
	v_mul_lo_u32 v10, v9, s16
	s_addc_u32 s3, s3, 0
	s_add_i32 s6, s6, -1
	v_sub_u32_e32 v10, v7, v10
	s_cmp_lg_u32 s6, 0
	v_mov_b32_e32 v7, v9
	v_mad_u64_u32 v[8:9], s[16:17], v10, s18, v[8:9]
	s_cbranch_scc1 .LBB89_30
.LBB89_31:                              ;   in Loop: Header=BB89_9 Depth=1
	s_cbranch_execnz .LBB89_34
.LBB89_32:                              ;   in Loop: Header=BB89_9 Depth=1
	v_mul_hi_u32 v7, v14, s10
	v_add_u32_e32 v7, v7, v14
	v_lshrrev_b32_e32 v7, s11, v7
	v_mul_lo_u32 v8, v7, s9
	v_sub_u32_e32 v8, v14, v8
	s_andn2_b64 vcc, exec, s[42:43]
	s_waitcnt lgkmcnt(0)
	v_mul_lo_u32 v8, v8, s44
	s_cbranch_vccnz .LBB89_34
; %bb.33:                               ;   in Loop: Header=BB89_9 Depth=1
	v_mul_hi_u32 v9, s8, v7
	v_add_u32_e32 v9, v7, v9
	v_lshrrev_b32_e32 v9, s14, v9
	v_mul_lo_u32 v9, v9, s12
	v_sub_u32_e32 v7, v7, v9
	v_mad_u64_u32 v[8:9], s[2:3], v7, s45, v[8:9]
.LBB89_34:                              ;   in Loop: Header=BB89_9 Depth=1
	s_add_u32 s2, 0, 0
	s_addc_u32 s3, 0, 0
	v_add_co_u32_e32 v7, vcc, s2, v39
	s_cmp_lg_u64 vcc, 0
	s_addc_u32 s2, s3, 0
	v_readfirstlane_b32 s3, v7
	s_mul_i32 s7, s3, 0xffdfffff
	s_mul_hi_u32 s16, s3, -1
	s_add_i32 s16, s16, s7
	s_sub_i32 s4, 0, s3
	s_sub_i32 s7, s16, s2
	s_mul_hi_u32 s16, s3, s7
	s_mul_i32 s17, s3, s7
	s_mul_hi_u32 s3, s3, s4
	s_add_u32 s3, s3, s17
	s_mul_hi_u32 s5, s2, s4
	s_mul_i32 s6, s2, s4
	s_addc_u32 s4, 0, s16
	s_add_u32 s3, s3, s6
	s_mul_hi_u32 s16, s2, s7
	s_addc_u32 s3, s4, s5
	s_addc_u32 s4, s16, 0
	s_mul_i32 s5, s2, s7
	s_add_u32 s3, s3, s5
	s_addc_u32 s4, 0, s4
	v_add_co_u32_e32 v7, vcc, s3, v7
	s_cmp_lg_u64 vcc, 0
	s_addc_u32 s4, s2, s4
	v_mad_u64_u32 v[10:11], s[2:3], v1, s4, 0
	v_mul_hi_u32 v9, v1, v7
	v_add_co_u32_e32 v9, vcc, v9, v10
	v_addc_co_u32_e32 v17, vcc, 0, v11, vcc
	v_mad_u64_u32 v[44:45], s[2:3], v0, v7, 0
	v_add_co_u32_e32 v7, vcc, v9, v44
	v_mad_u64_u32 v[10:11], s[2:3], v0, s4, 0
	v_addc_co_u32_e32 v7, vcc, v17, v45, vcc
	v_addc_co_u32_e32 v9, vcc, 0, v11, vcc
	v_add_co_u32_e32 v7, vcc, v7, v10
	v_addc_co_u32_e32 v9, vcc, 0, v9, vcc
	v_lshl_add_u32 v9, v7, 21, v9
	v_sub_u32_e32 v10, v0, v9
	v_sub_co_u32_e32 v1, vcc, v1, v7
	v_subb_co_u32_e64 v7, s[2:3], v10, v40, vcc
	v_subrev_co_u32_e64 v10, s[2:3], 1, v1
	v_subbrev_co_u32_e64 v11, s[4:5], 0, v7, s[2:3]
	v_cmp_lt_u32_e64 s[4:5], s63, v11
	v_cndmask_b32_e64 v17, 0, -1, s[4:5]
	v_cmp_ne_u32_e64 s[4:5], 0, v10
	v_cndmask_b32_e64 v43, 0, -1, s[4:5]
	v_cmp_eq_u32_e64 s[4:5], s62, v11
	v_subb_co_u32_e64 v7, s[2:3], v7, v40, s[2:3]
	v_subb_co_u32_e32 v0, vcc, v0, v9, vcc
	v_cndmask_b32_e64 v17, v17, v43, s[4:5]
	v_subrev_co_u32_e64 v43, s[2:3], 1, v10
	v_cmp_lt_u32_e32 vcc, s63, v0
	v_subbrev_co_u32_e64 v7, s[2:3], 0, v7, s[2:3]
	v_cndmask_b32_e64 v9, 0, -1, vcc
	v_cmp_ne_u32_e32 vcc, 0, v1
	v_cmp_ne_u32_e64 s[2:3], 0, v17
	v_cndmask_b32_e64 v17, 0, -1, vcc
	v_cmp_eq_u32_e32 vcc, s62, v0
	v_cndmask_b32_e32 v9, v9, v17, vcc
	v_cndmask_b32_e64 v10, v10, v43, s[2:3]
	v_cmp_ne_u32_e32 vcc, 0, v9
	v_cndmask_b32_e32 v9, v1, v10, vcc
	v_cndmask_b32_e64 v1, v11, v7, s[2:3]
	v_cndmask_b32_e32 v0, v0, v1, vcc
	v_cvt_f64_u32_e32 v[0:1], v0
	v_ldexp_f64 v[0:1], v[0:1], 32
	v_cvt_f64_u32_e32 v[10:11], v9
	v_add_f64 v[0:1], v[0:1], v[10:11]
	s_waitcnt lgkmcnt(0)
	global_store_dwordx2 v8, v[0:1], s[46:47]
.LBB89_35:                              ;   in Loop: Header=BB89_9 Depth=1
	s_or_b64 exec, exec, s[54:55]
	v_mov_b32_e32 v0, s59
	v_add_co_u32_e32 v8, vcc, s33, v14
	v_addc_co_u32_e32 v9, vcc, v15, v0, vcc
	v_cmp_gt_i64_e32 vcc, s[24:25], v[8:9]
	s_and_saveexec_b64 s[28:29], vcc
	s_cbranch_execz .LBB89_8
; %bb.36:                               ;   in Loop: Header=BB89_9 Depth=1
	s_and_b64 vcc, exec, s[0:1]
	s_cbranch_vccnz .LBB89_42
; %bb.37:                               ;   in Loop: Header=BB89_9 Depth=1
	s_andn2_b64 vcc, exec, s[38:39]
	s_cbranch_vccnz .LBB89_43
; %bb.38:                               ;   in Loop: Header=BB89_9 Depth=1
	s_mov_b32 s2, 0
	s_andn2_b64 vcc, exec, s[48:49]
	v_mov_b32_e32 v0, 0
	s_cbranch_vccnz .LBB89_44
; %bb.39:                               ;   in Loop: Header=BB89_9 Depth=1
	s_mov_b32 s56, 0
	v_mov_b32_e32 v0, 0
	s_mov_b64 s[30:31], s[34:35]
	s_mov_b64 s[54:55], s[40:41]
	v_mov_b32_e32 v7, v8
.LBB89_40:                              ;   Parent Loop BB89_9 Depth=1
                                        ; =>  This Inner Loop Header: Depth=2
	s_load_dwordx8 s[0:7], s[30:31], 0x4
	s_load_dwordx4 s[16:19], s[30:31], 0x24
	s_load_dwordx4 s[20:23], s[54:55], 0x0
	s_add_u32 s30, s30, 48
	s_addc_u32 s31, s31, 0
	s_waitcnt lgkmcnt(0)
	v_mul_hi_u32 v1, s1, v7
	v_add_u32_e32 v1, v7, v1
	v_lshrrev_b32_e32 v1, s2, v1
	v_mul_lo_u32 v9, v1, s0
	v_mul_hi_u32 v10, s4, v1
	v_sub_u32_e32 v7, v7, v9
	v_add_u32_e32 v9, v1, v10
	v_lshrrev_b32_e32 v9, s5, v9
	v_mul_lo_u32 v10, v9, s3
	v_mul_hi_u32 v11, s7, v9
	v_sub_u32_e32 v1, v1, v10
	v_add_u32_e32 v10, v9, v11
	v_mul_lo_u32 v7, v7, s20
	v_mul_lo_u32 v1, v1, s21
	v_lshrrev_b32_e32 v10, s16, v10
	v_add3_u32 v0, v7, v0, v1
	v_mul_hi_u32 v7, s18, v10
	v_add_u32_e32 v7, v10, v7
	v_mul_lo_u32 v1, v10, s6
	v_lshrrev_b32_e32 v7, s19, v7
	s_add_i32 s56, s56, 4
	v_sub_u32_e32 v1, v9, v1
	v_mul_lo_u32 v9, v7, s17
	s_add_u32 s54, s54, 16
	v_sub_u32_e32 v9, v10, v9
	s_addc_u32 s55, s55, 0
	v_mul_lo_u32 v1, v1, s22
	v_mul_lo_u32 v9, v9, s23
	s_cmp_eq_u32 s15, s56
	v_add3_u32 v0, v1, v0, v9
	s_cbranch_scc0 .LBB89_40
; %bb.41:                               ;   in Loop: Header=BB89_9 Depth=1
	s_mov_b32 s2, s15
	s_andn2_b64 vcc, exec, s[52:53]
	s_cbranch_vccz .LBB89_45
	s_branch .LBB89_47
.LBB89_42:                              ;   in Loop: Header=BB89_9 Depth=1
                                        ; implicit-def: $vgpr0
	s_branch .LBB89_48
.LBB89_43:                              ;   in Loop: Header=BB89_9 Depth=1
	v_mov_b32_e32 v0, 0
	s_branch .LBB89_47
.LBB89_44:                              ;   in Loop: Header=BB89_9 Depth=1
	v_mov_b32_e32 v7, v8
	s_andn2_b64 vcc, exec, s[52:53]
	s_cbranch_vccnz .LBB89_47
.LBB89_45:                              ;   in Loop: Header=BB89_9 Depth=1
	s_lshl_b32 s0, s2, 2
	s_add_u32 s0, s40, s0
	s_addc_u32 s1, s41, 0
	s_mul_i32 s2, s2, 12
	s_add_u32 s2, s34, s2
	s_addc_u32 s3, s35, 0
	s_mov_b32 s4, s13
.LBB89_46:                              ;   Parent Loop BB89_9 Depth=1
                                        ; =>  This Inner Loop Header: Depth=2
	s_load_dwordx2 s[6:7], s[2:3], 0x4
	s_load_dword s5, s[2:3], 0xc
	s_load_dword s16, s[0:1], 0x0
	s_add_u32 s2, s2, 12
	s_addc_u32 s3, s3, 0
	s_waitcnt lgkmcnt(0)
	v_mul_hi_u32 v1, s7, v7
	v_add_u32_e32 v1, v7, v1
	v_lshrrev_b32_e32 v1, s5, v1
	s_add_u32 s0, s0, 4
	v_mul_lo_u32 v9, v1, s6
	s_addc_u32 s1, s1, 0
	s_add_i32 s4, s4, -1
	v_sub_u32_e32 v9, v7, v9
	s_cmp_lg_u32 s4, 0
	v_mov_b32_e32 v7, v1
	v_mad_u64_u32 v[0:1], s[6:7], v9, s16, v[0:1]
	s_cbranch_scc1 .LBB89_46
.LBB89_47:                              ;   in Loop: Header=BB89_9 Depth=1
	s_cbranch_execnz .LBB89_7
.LBB89_48:                              ;   in Loop: Header=BB89_9 Depth=1
	v_mul_hi_u32 v0, v8, s10
	v_add_u32_e32 v0, v0, v8
	v_lshrrev_b32_e32 v1, s11, v0
	v_mul_lo_u32 v0, v1, s9
	v_sub_u32_e32 v0, v8, v0
	s_andn2_b64 vcc, exec, s[42:43]
	s_waitcnt lgkmcnt(0)
	v_mul_lo_u32 v0, v0, s44
	s_cbranch_vccnz .LBB89_7
; %bb.49:                               ;   in Loop: Header=BB89_9 Depth=1
	v_mul_hi_u32 v7, s8, v1
	v_add_u32_e32 v7, v1, v7
	v_lshrrev_b32_e32 v7, s14, v7
	v_mul_lo_u32 v7, v7, s12
	v_sub_u32_e32 v1, v1, v7
	v_mad_u64_u32 v[0:1], s[0:1], v1, s45, v[0:1]
	s_branch .LBB89_7
.LBB89_50:
	s_endpgm
.LBB89_51:
                                        ; implicit-def: $sgpr2_sgpr3
	s_andn2_b64 vcc, exec, s[0:1]
	s_cbranch_vccz .LBB89_4
	s_branch .LBB89_5
	.section	.rodata,"a",@progbits
	.p2align	6, 0x0
	.amdhsa_kernel _ZN2at6native12_GLOBAL__N_143distribution_elementwise_grid_stride_kernelImLi2EZZZNS0_9templates4cuda13random_kernelIPNS_17CUDAGeneratorImplEEEvRNS_18TensorIteratorBaseET_ENKUlvE_clEvENKUlvE4_clEvEUlP25hiprandStatePhilox4_32_10E_ZNS1_27distribution_nullary_kernelIdm15HIP_vector_typeIyLj2EES7_SF_ZZZNS5_IS7_EEvS9_SA_ENKSB_clEvENKSC_clEvEUlmE_EEvS9_T2_RKT3_T4_EUlimE0_EEvlNS_15PhiloxCudaStateET1_SK_
		.amdhsa_group_segment_fixed_size 0
		.amdhsa_private_segment_fixed_size 0
		.amdhsa_kernarg_size 584
		.amdhsa_user_sgpr_count 6
		.amdhsa_user_sgpr_private_segment_buffer 1
		.amdhsa_user_sgpr_dispatch_ptr 0
		.amdhsa_user_sgpr_queue_ptr 0
		.amdhsa_user_sgpr_kernarg_segment_ptr 1
		.amdhsa_user_sgpr_dispatch_id 0
		.amdhsa_user_sgpr_flat_scratch_init 0
		.amdhsa_user_sgpr_kernarg_preload_length 0
		.amdhsa_user_sgpr_kernarg_preload_offset 0
		.amdhsa_user_sgpr_private_segment_size 0
		.amdhsa_uses_dynamic_stack 0
		.amdhsa_system_sgpr_private_segment_wavefront_offset 0
		.amdhsa_system_sgpr_workgroup_id_x 1
		.amdhsa_system_sgpr_workgroup_id_y 0
		.amdhsa_system_sgpr_workgroup_id_z 0
		.amdhsa_system_sgpr_workgroup_info 0
		.amdhsa_system_vgpr_workitem_id 0
		.amdhsa_next_free_vgpr 46
		.amdhsa_next_free_sgpr 65
		.amdhsa_accum_offset 48
		.amdhsa_reserve_vcc 1
		.amdhsa_reserve_flat_scratch 0
		.amdhsa_float_round_mode_32 0
		.amdhsa_float_round_mode_16_64 0
		.amdhsa_float_denorm_mode_32 3
		.amdhsa_float_denorm_mode_16_64 3
		.amdhsa_dx10_clamp 1
		.amdhsa_ieee_mode 1
		.amdhsa_fp16_overflow 0
		.amdhsa_tg_split 0
		.amdhsa_exception_fp_ieee_invalid_op 0
		.amdhsa_exception_fp_denorm_src 0
		.amdhsa_exception_fp_ieee_div_zero 0
		.amdhsa_exception_fp_ieee_overflow 0
		.amdhsa_exception_fp_ieee_underflow 0
		.amdhsa_exception_fp_ieee_inexact 0
		.amdhsa_exception_int_div_zero 0
	.end_amdhsa_kernel
	.section	.text._ZN2at6native12_GLOBAL__N_143distribution_elementwise_grid_stride_kernelImLi2EZZZNS0_9templates4cuda13random_kernelIPNS_17CUDAGeneratorImplEEEvRNS_18TensorIteratorBaseET_ENKUlvE_clEvENKUlvE4_clEvEUlP25hiprandStatePhilox4_32_10E_ZNS1_27distribution_nullary_kernelIdm15HIP_vector_typeIyLj2EES7_SF_ZZZNS5_IS7_EEvS9_SA_ENKSB_clEvENKSC_clEvEUlmE_EEvS9_T2_RKT3_T4_EUlimE0_EEvlNS_15PhiloxCudaStateET1_SK_,"axG",@progbits,_ZN2at6native12_GLOBAL__N_143distribution_elementwise_grid_stride_kernelImLi2EZZZNS0_9templates4cuda13random_kernelIPNS_17CUDAGeneratorImplEEEvRNS_18TensorIteratorBaseET_ENKUlvE_clEvENKUlvE4_clEvEUlP25hiprandStatePhilox4_32_10E_ZNS1_27distribution_nullary_kernelIdm15HIP_vector_typeIyLj2EES7_SF_ZZZNS5_IS7_EEvS9_SA_ENKSB_clEvENKSC_clEvEUlmE_EEvS9_T2_RKT3_T4_EUlimE0_EEvlNS_15PhiloxCudaStateET1_SK_,comdat
.Lfunc_end89:
	.size	_ZN2at6native12_GLOBAL__N_143distribution_elementwise_grid_stride_kernelImLi2EZZZNS0_9templates4cuda13random_kernelIPNS_17CUDAGeneratorImplEEEvRNS_18TensorIteratorBaseET_ENKUlvE_clEvENKUlvE4_clEvEUlP25hiprandStatePhilox4_32_10E_ZNS1_27distribution_nullary_kernelIdm15HIP_vector_typeIyLj2EES7_SF_ZZZNS5_IS7_EEvS9_SA_ENKSB_clEvENKSC_clEvEUlmE_EEvS9_T2_RKT3_T4_EUlimE0_EEvlNS_15PhiloxCudaStateET1_SK_, .Lfunc_end89-_ZN2at6native12_GLOBAL__N_143distribution_elementwise_grid_stride_kernelImLi2EZZZNS0_9templates4cuda13random_kernelIPNS_17CUDAGeneratorImplEEEvRNS_18TensorIteratorBaseET_ENKUlvE_clEvENKUlvE4_clEvEUlP25hiprandStatePhilox4_32_10E_ZNS1_27distribution_nullary_kernelIdm15HIP_vector_typeIyLj2EES7_SF_ZZZNS5_IS7_EEvS9_SA_ENKSB_clEvENKSC_clEvEUlmE_EEvS9_T2_RKT3_T4_EUlimE0_EEvlNS_15PhiloxCudaStateET1_SK_
                                        ; -- End function
	.section	.AMDGPU.csdata,"",@progbits
; Kernel info:
; codeLenInByte = 3996
; NumSgprs: 69
; NumVgprs: 46
; NumAgprs: 0
; TotalNumVgprs: 46
; ScratchSize: 0
; MemoryBound: 0
; FloatMode: 240
; IeeeMode: 1
; LDSByteSize: 0 bytes/workgroup (compile time only)
; SGPRBlocks: 8
; VGPRBlocks: 5
; NumSGPRsForWavesPerEU: 69
; NumVGPRsForWavesPerEU: 46
; AccumOffset: 48
; Occupancy: 8
; WaveLimiterHint : 1
; COMPUTE_PGM_RSRC2:SCRATCH_EN: 0
; COMPUTE_PGM_RSRC2:USER_SGPR: 6
; COMPUTE_PGM_RSRC2:TRAP_HANDLER: 0
; COMPUTE_PGM_RSRC2:TGID_X_EN: 1
; COMPUTE_PGM_RSRC2:TGID_Y_EN: 0
; COMPUTE_PGM_RSRC2:TGID_Z_EN: 0
; COMPUTE_PGM_RSRC2:TIDIG_COMP_CNT: 0
; COMPUTE_PGM_RSRC3_GFX90A:ACCUM_OFFSET: 11
; COMPUTE_PGM_RSRC3_GFX90A:TG_SPLIT: 0
	.section	.text._ZN2at6native12_GLOBAL__N_143distribution_elementwise_grid_stride_kernelIjLi4EZZZNS0_9templates4cuda13random_kernelIPNS_17CUDAGeneratorImplEEEvRNS_18TensorIteratorBaseET_ENKUlvE_clEvENKUlvE4_clEvEUlP25hiprandStatePhilox4_32_10E0_ZNS1_27distribution_nullary_kernelIdj15HIP_vector_typeIjLj4EES7_SF_ZZZNS5_IS7_EEvS9_SA_ENKSB_clEvENKSC_clEvEUljE_EEvS9_T2_RKT3_T4_EUlijE_EEvlNS_15PhiloxCudaStateET1_SK_,"axG",@progbits,_ZN2at6native12_GLOBAL__N_143distribution_elementwise_grid_stride_kernelIjLi4EZZZNS0_9templates4cuda13random_kernelIPNS_17CUDAGeneratorImplEEEvRNS_18TensorIteratorBaseET_ENKUlvE_clEvENKUlvE4_clEvEUlP25hiprandStatePhilox4_32_10E0_ZNS1_27distribution_nullary_kernelIdj15HIP_vector_typeIjLj4EES7_SF_ZZZNS5_IS7_EEvS9_SA_ENKSB_clEvENKSC_clEvEUljE_EEvS9_T2_RKT3_T4_EUlijE_EEvlNS_15PhiloxCudaStateET1_SK_,comdat
	.globl	_ZN2at6native12_GLOBAL__N_143distribution_elementwise_grid_stride_kernelIjLi4EZZZNS0_9templates4cuda13random_kernelIPNS_17CUDAGeneratorImplEEEvRNS_18TensorIteratorBaseET_ENKUlvE_clEvENKUlvE4_clEvEUlP25hiprandStatePhilox4_32_10E0_ZNS1_27distribution_nullary_kernelIdj15HIP_vector_typeIjLj4EES7_SF_ZZZNS5_IS7_EEvS9_SA_ENKSB_clEvENKSC_clEvEUljE_EEvS9_T2_RKT3_T4_EUlijE_EEvlNS_15PhiloxCudaStateET1_SK_ ; -- Begin function _ZN2at6native12_GLOBAL__N_143distribution_elementwise_grid_stride_kernelIjLi4EZZZNS0_9templates4cuda13random_kernelIPNS_17CUDAGeneratorImplEEEvRNS_18TensorIteratorBaseET_ENKUlvE_clEvENKUlvE4_clEvEUlP25hiprandStatePhilox4_32_10E0_ZNS1_27distribution_nullary_kernelIdj15HIP_vector_typeIjLj4EES7_SF_ZZZNS5_IS7_EEvS9_SA_ENKSB_clEvENKSC_clEvEUljE_EEvS9_T2_RKT3_T4_EUlijE_EEvlNS_15PhiloxCudaStateET1_SK_
	.p2align	8
	.type	_ZN2at6native12_GLOBAL__N_143distribution_elementwise_grid_stride_kernelIjLi4EZZZNS0_9templates4cuda13random_kernelIPNS_17CUDAGeneratorImplEEEvRNS_18TensorIteratorBaseET_ENKUlvE_clEvENKUlvE4_clEvEUlP25hiprandStatePhilox4_32_10E0_ZNS1_27distribution_nullary_kernelIdj15HIP_vector_typeIjLj4EES7_SF_ZZZNS5_IS7_EEvS9_SA_ENKSB_clEvENKSC_clEvEUljE_EEvS9_T2_RKT3_T4_EUlijE_EEvlNS_15PhiloxCudaStateET1_SK_,@function
_ZN2at6native12_GLOBAL__N_143distribution_elementwise_grid_stride_kernelIjLi4EZZZNS0_9templates4cuda13random_kernelIPNS_17CUDAGeneratorImplEEEvRNS_18TensorIteratorBaseET_ENKUlvE_clEvENKUlvE4_clEvEUlP25hiprandStatePhilox4_32_10E0_ZNS1_27distribution_nullary_kernelIdj15HIP_vector_typeIjLj4EES7_SF_ZZZNS5_IS7_EEvS9_SA_ENKSB_clEvENKSC_clEvEUljE_EEvS9_T2_RKT3_T4_EUlijE_EEvlNS_15PhiloxCudaStateET1_SK_: ; @_ZN2at6native12_GLOBAL__N_143distribution_elementwise_grid_stride_kernelIjLi4EZZZNS0_9templates4cuda13random_kernelIPNS_17CUDAGeneratorImplEEEvRNS_18TensorIteratorBaseET_ENKUlvE_clEvENKUlvE4_clEvEUlP25hiprandStatePhilox4_32_10E0_ZNS1_27distribution_nullary_kernelIdj15HIP_vector_typeIjLj4EES7_SF_ZZZNS5_IS7_EEvS9_SA_ENKSB_clEvENKSC_clEvEUljE_EEvS9_T2_RKT3_T4_EUlijE_EEvlNS_15PhiloxCudaStateET1_SK_
; %bb.0:
	s_load_dword s7, s[4:5], 0x20
	s_load_dwordx2 s[10:11], s[4:5], 0x10
	s_load_dwordx4 s[0:3], s[4:5], 0x0
	s_mov_b32 s8, 0
	s_waitcnt lgkmcnt(0)
	s_bitcmp0_b32 s7, 0
	v_pk_mov_b32 v[2:3], s[10:11], s[10:11] op_sel:[0,1]
	v_pk_mov_b32 v[14:15], s[2:3], s[2:3] op_sel:[0,1]
	s_cbranch_scc1 .LBB90_2
; %bb.1:
	v_pk_mov_b32 v[2:3], s[10:11], s[10:11] op_sel:[0,1]
	flat_load_dwordx2 v[2:3], v[2:3]
	v_pk_mov_b32 v[4:5], s[2:3], s[2:3] op_sel:[0,1]
	flat_load_dwordx2 v[14:15], v[4:5]
	s_load_dwordx2 s[2:3], s[4:5], 0x18
	s_waitcnt lgkmcnt(0)
	v_mov_b32_e32 v1, s3
	s_waitcnt vmcnt(0)
	v_add_co_u32_e32 v2, vcc, s2, v2
	v_addc_co_u32_e32 v3, vcc, v3, v1, vcc
.LBB90_2:
	s_load_dword s2, s[4:5], 0x4c
	s_load_dword s10, s[4:5], 0x40
	s_waitcnt lgkmcnt(0)
	s_and_b32 s7, s2, 0xffff
	s_add_u32 s11, s0, -1
	s_mul_i32 s12, s10, s7
	s_addc_u32 s9, s1, -1
	s_lshl_b32 s13, s12, 2
	s_cmp_lg_u64 s[8:9], 0
	s_mov_b64 s[2:3], -1
	s_cbranch_scc0 .LBB90_27
; %bb.3:
	v_cvt_f32_u32_e32 v1, s13
	v_cvt_f32_ubyte0_e32 v4, 0
	s_sub_u32 s8, 0, s13
	s_subb_u32 s14, 0, 0
	v_madmk_f32 v1, v4, 0x4f800000, v1
	v_rcp_f32_e32 v1, v1
	v_mul_f32_e32 v1, 0x5f7ffffc, v1
	v_mul_f32_e32 v4, 0x2f800000, v1
	v_trunc_f32_e32 v4, v4
	v_madmk_f32 v1, v4, 0xcf800000, v1
	v_cvt_u32_f32_e32 v4, v4
	v_cvt_u32_f32_e32 v1, v1
	v_readfirstlane_b32 s15, v4
	v_readfirstlane_b32 s16, v1
	s_mul_i32 s17, s8, s15
	s_mul_hi_u32 s19, s8, s16
	s_mul_i32 s18, s14, s16
	s_add_i32 s17, s19, s17
	s_add_i32 s17, s17, s18
	s_mul_i32 s20, s8, s16
	s_mul_hi_u32 s18, s16, s17
	s_mul_i32 s19, s16, s17
	s_mul_hi_u32 s16, s16, s20
	s_add_u32 s16, s16, s19
	s_addc_u32 s18, 0, s18
	s_mul_hi_u32 s21, s15, s20
	s_mul_i32 s20, s15, s20
	s_add_u32 s16, s16, s20
	s_mul_hi_u32 s19, s15, s17
	s_addc_u32 s16, s18, s21
	s_addc_u32 s18, s19, 0
	s_mul_i32 s17, s15, s17
	s_add_u32 s16, s16, s17
	s_addc_u32 s17, 0, s18
	v_add_co_u32_e32 v1, vcc, s16, v1
	s_cmp_lg_u64 vcc, 0
	s_addc_u32 s15, s15, s17
	v_readfirstlane_b32 s17, v1
	s_mul_i32 s16, s8, s15
	s_mul_hi_u32 s18, s8, s17
	s_add_i32 s16, s18, s16
	s_mul_i32 s14, s14, s17
	s_add_i32 s16, s16, s14
	s_mul_i32 s8, s8, s17
	s_mul_hi_u32 s18, s15, s8
	s_mul_i32 s19, s15, s8
	s_mul_i32 s21, s17, s16
	s_mul_hi_u32 s8, s17, s8
	s_mul_hi_u32 s20, s17, s16
	s_add_u32 s8, s8, s21
	s_addc_u32 s17, 0, s20
	s_add_u32 s8, s8, s19
	s_mul_hi_u32 s14, s15, s16
	s_addc_u32 s8, s17, s18
	s_addc_u32 s14, s14, 0
	s_mul_i32 s16, s15, s16
	s_add_u32 s8, s8, s16
	s_addc_u32 s14, 0, s14
	v_add_co_u32_e32 v1, vcc, s8, v1
	s_cmp_lg_u64 vcc, 0
	s_addc_u32 s16, s15, s14
	s_ashr_i32 s14, s9, 31
	s_add_u32 s8, s11, s14
	s_mov_b32 s15, s14
	s_addc_u32 s9, s9, s14
	s_xor_b64 s[8:9], s[8:9], s[14:15]
	v_readfirstlane_b32 s19, v1
	s_mul_i32 s18, s8, s16
	s_mul_hi_u32 s20, s8, s19
	s_mul_hi_u32 s17, s8, s16
	s_add_u32 s18, s20, s18
	s_addc_u32 s17, 0, s17
	s_mul_hi_u32 s21, s9, s19
	s_mul_i32 s19, s9, s19
	s_add_u32 s18, s18, s19
	s_mul_hi_u32 s20, s9, s16
	s_addc_u32 s17, s17, s21
	s_addc_u32 s18, s20, 0
	s_mul_i32 s16, s9, s16
	s_add_u32 s16, s17, s16
	s_addc_u32 s17, 0, s18
	s_add_u32 s18, s16, 1
	s_addc_u32 s19, s17, 0
	s_add_u32 s20, s16, 2
	s_mul_i32 s22, s13, s17
	s_mul_hi_u32 s23, s13, s16
	s_addc_u32 s21, s17, 0
	s_add_i32 s23, s23, s22
	s_mul_i32 s22, s13, s16
	v_mov_b32_e32 v1, s22
	v_sub_co_u32_e32 v1, vcc, s8, v1
	s_cmp_lg_u64 vcc, 0
	s_subb_u32 s8, s9, s23
	v_subrev_co_u32_e32 v4, vcc, s13, v1
	s_cmp_lg_u64 vcc, 0
	s_subb_u32 s9, s8, 0
	v_readfirstlane_b32 s22, v4
	s_cmp_ge_u32 s22, s13
	s_cselect_b32 s22, -1, 0
	s_cmp_eq_u32 s9, 0
	s_cselect_b32 s9, s22, -1
	s_cmp_lg_u32 s9, 0
	s_cselect_b32 s9, s21, s19
	v_readfirstlane_b32 s19, v1
	s_cselect_b32 s18, s20, s18
	s_cmp_ge_u32 s19, s13
	s_cselect_b32 s19, -1, 0
	s_cmp_eq_u32 s8, 0
	s_cselect_b32 s8, s19, -1
	s_cmp_lg_u32 s8, 0
	s_cselect_b32 s9, s9, s17
	s_cselect_b32 s8, s18, s16
	s_xor_b64 s[8:9], s[8:9], s[14:15]
	s_sub_u32 s8, s8, s14
	s_subb_u32 s9, s9, s14
	s_cbranch_execnz .LBB90_5
.LBB90_4:
	v_cvt_f32_u32_e32 v1, s13
	s_sub_i32 s2, 0, s13
	s_mov_b32 s9, 0
	v_rcp_iflag_f32_e32 v1, v1
	v_mul_f32_e32 v1, 0x4f7ffffe, v1
	v_cvt_u32_f32_e32 v1, v1
	v_readfirstlane_b32 s3, v1
	s_mul_i32 s2, s2, s3
	s_mul_hi_u32 s2, s3, s2
	s_add_i32 s3, s3, s2
	s_mul_hi_u32 s2, s11, s3
	s_mul_i32 s8, s2, s13
	s_sub_i32 s8, s11, s8
	s_add_i32 s3, s2, 1
	s_sub_i32 s11, s8, s13
	s_cmp_ge_u32 s8, s13
	s_cselect_b32 s2, s3, s2
	s_cselect_b32 s8, s11, s8
	s_add_i32 s3, s2, 1
	s_cmp_ge_u32 s8, s13
	s_cselect_b32 s8, s3, s2
.LBB90_5:
	v_mov_b32_e32 v1, 0
	v_mov_b32_e32 v4, s6
	v_mad_u64_u32 v[16:17], s[2:3], s7, v4, v[0:1]
	s_add_u32 s2, s8, 1
	s_addc_u32 s3, s9, 0
	s_mul_hi_u32 s8, s10, s7
	s_mul_i32 s3, s12, s3
	s_mul_hi_u32 s9, s12, s2
	s_add_i32 s3, s9, s3
	s_mul_i32 s8, s8, s2
	s_add_i32 s3, s3, s8
	s_mul_i32 s2, s12, s2
	s_lshl_b64 s[2:3], s[2:3], 2
	v_cmp_gt_i64_e32 vcc, s[2:3], v[16:17]
	s_and_saveexec_b64 s[8:9], vcc
	s_cbranch_execz .LBB90_26
; %bb.6:
	s_load_dwordx2 s[8:9], s[4:5], 0x30
	s_load_dword s11, s[4:5], 0x38
	s_mov_b32 s4, 0x5384540f
	v_mov_b32_e32 v4, v15
	v_add_co_u32_e32 v22, vcc, s4, v14
	s_mov_b32 s4, 0x646e171e
	v_add_co_u32_e32 v23, vcc, s4, v4
	s_mov_b32 s4, 0x1715609d
	;; [unrolled: 2-line block ×6, first 2 shown]
	v_alignbit_b32 v29, v3, v2, 2
	s_mov_b32 s15, 0xd2511f53
	v_add_co_u32_e32 v28, vcc, s4, v14
	v_mad_u64_u32 v[6:7], s[4:5], v29, s15, 0
	v_xor_b32_e32 v1, v7, v15
	v_xor_b32_e32 v1, v1, v17
	s_mov_b32 s16, 0xcd9e8d57
	v_mad_u64_u32 v[8:9], s[4:5], v1, s16, 0
	v_xor_b32_e32 v1, v28, v9
	v_mad_u64_u32 v[10:11], s[4:5], v16, s16, 0
	v_and_b32_e32 v18, 3, v2
	v_xor_b32_e32 v1, v1, v10
	v_xor_b32_e32 v2, v14, v11
	v_lshrrev_b32_e32 v30, 2, v3
	v_mad_u64_u32 v[12:13], s[4:5], v1, s15, 0
	v_xor_b32_e32 v2, v2, v30
	v_xor_b32_e32 v1, v27, v13
	v_mad_u64_u32 v[2:3], s[4:5], v2, s15, 0
	v_xor_b32_e32 v1, v1, v2
	v_mad_u64_u32 v[10:11], s[4:5], v1, s16, 0
	s_mov_b32 s4, 0xbb67ae85
	v_add_co_u32_e32 v31, vcc, s4, v4
	v_xor_b32_e32 v2, v31, v3
	v_xor_b32_e32 v2, v2, v6
	v_xor_b32_e32 v1, v26, v11
	v_mad_u64_u32 v[2:3], s[4:5], v2, s16, 0
	v_xor_b32_e32 v1, v1, v2
	v_mad_u64_u32 v[6:7], s[4:5], v1, s15, 0
	s_mov_b32 s4, 0x3c6ef372
	v_add_co_u32_e32 v32, vcc, s4, v14
	v_xor_b32_e32 v2, v32, v3
	;; [unrolled: 8-line block ×6, first 2 shown]
	v_add_co_u32_e32 v21, vcc, 0xdb3d7428, v4
	v_xor_b32_e32 v2, v2, v8
	v_xor_b32_e32 v1, v21, v7
	v_mad_u64_u32 v[2:3], s[4:5], v2, s15, 0
	v_xor_b32_e32 v1, v1, v2
	v_mad_u64_u32 v[8:9], s[4:5], v1, s16, 0
	s_mov_b32 s4, 0x1fd5c5a3
	v_add_co_u32_e32 v37, vcc, s4, v4
	v_xor_b32_e32 v1, v37, v3
	v_xor_b32_e32 v1, v1, v12
	v_mad_u64_u32 v[2:3], s[4:5], v1, s16, 0
	s_mov_b32 s4, 0xf1bbcdc8
	v_add_u32_e32 v19, 0x8ff34781, v14
	v_xor_b32_e32 v1, v9, v2
	v_add_co_u32_e32 v38, vcc, s4, v14
	v_xor_b32_e32 v2, v19, v1
	v_xor_b32_e32 v1, v38, v3
	;; [unrolled: 1-line block ×3, first 2 shown]
	v_mad_u64_u32 v[10:11], s[4:5], v1, s15, 0
	v_add_u32_e32 v20, 0x96a522ad, v15
	v_xor_b32_e32 v1, v11, v6
	s_mul_i32 s4, s6, s7
	v_xor_b32_e32 v4, v20, v1
	v_add_u32_e32 v1, s4, v0
	s_waitcnt lgkmcnt(0)
	s_mul_i32 s4, s10, s11
	s_mul_i32 s4, s4, s7
	s_lshl_b32 s21, s4, 2
	s_mul_i32 s4, s10, 3
	s_add_i32 s4, s6, s4
	s_mul_i32 s4, s4, s7
	v_mul_lo_u32 v39, s11, v1
	v_add_u32_e32 v1, s4, v0
	s_lshl_b32 s4, s10, 1
	s_add_i32 s4, s6, s4
	s_mul_i32 s4, s4, s7
	v_mul_lo_u32 v40, s11, v1
	v_add_u32_e32 v1, s4, v0
	s_add_i32 s4, s6, s10
	s_mul_i32 s4, s4, s7
	s_mov_b32 s14, 0
	v_add_u32_e32 v0, s4, v0
	v_mov_b32_e32 v3, v8
	v_mov_b32_e32 v5, v10
	s_lshl_b32 s17, s12, 1
	s_mov_b32 s18, s14
	s_mul_i32 s19, s12, 3
	s_mov_b32 s20, s14
	v_mul_lo_u32 v41, s11, v1
	v_mul_lo_u32 v42, s11, v0
	s_mov_b64 s[4:5], 0
	s_mov_b32 s22, s14
	v_mov_b32_e32 v43, v16
	v_mov_b32_e32 v44, v17
	s_branch .LBB90_8
.LBB90_7:                               ;   in Loop: Header=BB90_8 Depth=1
	s_or_b64 exec, exec, s[6:7]
	v_add_co_u32_e32 v16, vcc, s13, v16
	v_addc_co_u32_e32 v17, vcc, 0, v17, vcc
	v_mov_b32_e32 v9, v0
	s_add_i32 s22, s22, s21
	v_cmp_le_i64_e32 vcc, s[2:3], v[16:17]
	v_pk_mov_b32 v[2:3], v[6:7], v[6:7] op_sel:[0,1]
	s_or_b64 s[4:5], vcc, s[4:5]
	v_pk_mov_b32 v[4:5], v[8:9], v[8:9] op_sel:[0,1]
	s_barrier
	s_andn2_b64 exec, exec, s[4:5]
	s_cbranch_execz .LBB90_26
.LBB90_8:                               ; =>This Inner Loop Header: Depth=1
	v_add_co_u32_e32 v29, vcc, 1, v29
	v_cndmask_b32_e64 v0, 0, 1, vcc
	v_addc_co_u32_e32 v30, vcc, 0, v30, vcc
	v_cmp_eq_u32_e32 vcc, 0, v30
	v_cndmask_b32_e32 v0, 0, v0, vcc
	v_add_u32_e32 v43, v0, v43
	v_cmp_eq_u32_e32 vcc, 0, v43
	v_cndmask_b32_e32 v0, 0, v0, vcc
	v_add_u32_e32 v44, v0, v44
	v_mad_u64_u32 v[0:1], s[6:7], v29, s15, 0
	v_mad_u64_u32 v[6:7], s[6:7], v43, s16, 0
	v_xor_b32_e32 v1, v1, v15
	v_xor_b32_e32 v7, v7, v14
	v_xor_b32_e32 v1, v44, v1
	v_xor_b32_e32 v7, v30, v7
	v_mad_u64_u32 v[10:11], s[6:7], v1, s16, 0
	v_mad_u64_u32 v[8:9], s[6:7], v7, s15, 0
	v_xor_b32_e32 v1, v28, v11
	v_xor_b32_e32 v1, v1, v6
	v_xor_b32_e32 v6, v31, v9
	v_xor_b32_e32 v6, v6, v0
	;; [unrolled: 6-line block ×10, first 2 shown]
	v_mov_b32_e32 v7, v12
	v_mov_b32_e32 v8, v13
	v_cmp_lt_i32_e32 vcc, 1, v18
	s_and_saveexec_b64 s[6:7], vcc
	s_xor_b64 s[6:7], exec, s[6:7]
	s_cbranch_execnz .LBB90_18
; %bb.9:                                ;   in Loop: Header=BB90_8 Depth=1
	s_andn2_saveexec_b64 s[6:7], s[6:7]
	s_cbranch_execnz .LBB90_23
.LBB90_10:                              ;   in Loop: Header=BB90_8 Depth=1
	s_or_b64 exec, exec, s[6:7]
	v_cmp_gt_i64_e32 vcc, s[0:1], v[16:17]
	s_and_saveexec_b64 s[6:7], vcc
	s_cbranch_execz .LBB90_12
.LBB90_11:                              ;   in Loop: Header=BB90_8 Depth=1
	v_add_u32_e32 v1, s22, v39
	v_ashrrev_i32_e32 v9, 31, v1
	v_mov_b32_e32 v11, s9
	v_add_co_u32_e32 v10, vcc, s8, v1
	v_addc_co_u32_e32 v11, vcc, v11, v9, vcc
	v_cvt_f64_u32_e32 v[12:13], v2
	global_store_dwordx2 v[10:11], v[12:13], off
.LBB90_12:                              ;   in Loop: Header=BB90_8 Depth=1
	s_or_b64 exec, exec, s[6:7]
	v_mov_b32_e32 v1, s14
	v_add_co_u32_e32 v10, vcc, s12, v16
	v_addc_co_u32_e32 v11, vcc, v1, v17, vcc
	v_cmp_gt_i64_e32 vcc, s[0:1], v[10:11]
	s_and_saveexec_b64 s[6:7], vcc
	s_cbranch_execz .LBB90_14
; %bb.13:                               ;   in Loop: Header=BB90_8 Depth=1
	v_add_u32_e32 v1, s22, v42
	v_ashrrev_i32_e32 v2, 31, v1
	v_mov_b32_e32 v9, s9
	v_add_co_u32_e32 v10, vcc, s8, v1
	v_addc_co_u32_e32 v11, vcc, v9, v2, vcc
	v_cvt_f64_u32_e32 v[2:3], v3
	global_store_dwordx2 v[10:11], v[2:3], off
.LBB90_14:                              ;   in Loop: Header=BB90_8 Depth=1
	s_or_b64 exec, exec, s[6:7]
	v_mov_b32_e32 v1, s18
	v_add_co_u32_e32 v2, vcc, s17, v16
	v_addc_co_u32_e32 v3, vcc, v1, v17, vcc
	v_cmp_gt_i64_e32 vcc, s[0:1], v[2:3]
	s_and_saveexec_b64 s[6:7], vcc
	s_cbranch_execz .LBB90_16
; %bb.15:                               ;   in Loop: Header=BB90_8 Depth=1
	v_add_u32_e32 v1, s22, v41
	v_ashrrev_i32_e32 v3, 31, v1
	v_mov_b32_e32 v9, s9
	v_add_co_u32_e32 v2, vcc, s8, v1
	v_addc_co_u32_e32 v3, vcc, v9, v3, vcc
	v_cvt_f64_u32_e32 v[10:11], v4
	global_store_dwordx2 v[2:3], v[10:11], off
.LBB90_16:                              ;   in Loop: Header=BB90_8 Depth=1
	s_or_b64 exec, exec, s[6:7]
	v_mov_b32_e32 v1, s20
	v_add_co_u32_e32 v2, vcc, s19, v16
	v_addc_co_u32_e32 v3, vcc, v1, v17, vcc
	v_cmp_gt_i64_e32 vcc, s[0:1], v[2:3]
	s_and_saveexec_b64 s[6:7], vcc
	s_cbranch_execz .LBB90_7
; %bb.17:                               ;   in Loop: Header=BB90_8 Depth=1
	v_add_u32_e32 v1, s22, v40
	v_ashrrev_i32_e32 v3, 31, v1
	v_mov_b32_e32 v4, s9
	v_add_co_u32_e32 v2, vcc, s8, v1
	v_addc_co_u32_e32 v3, vcc, v4, v3, vcc
	v_cvt_f64_u32_e32 v[4:5], v5
	global_store_dwordx2 v[2:3], v[4:5], off
	s_branch .LBB90_7
.LBB90_18:                              ;   in Loop: Header=BB90_8 Depth=1
	v_cmp_lt_i32_e32 vcc, 2, v18
	s_and_saveexec_b64 s[10:11], vcc
	s_xor_b64 s[10:11], exec, s[10:11]
; %bb.19:                               ;   in Loop: Header=BB90_8 Depth=1
	v_mov_b32_e32 v10, v5
	v_mov_b32_e32 v11, v6
	v_pk_mov_b32 v[2:3], v[10:11], v[10:11] op_sel:[0,1]
	v_pk_mov_b32 v[4:5], v[12:13], v[12:13] op_sel:[0,1]
                                        ; implicit-def: $vgpr12_vgpr13
; %bb.20:                               ;   in Loop: Header=BB90_8 Depth=1
	s_andn2_saveexec_b64 s[10:11], s[10:11]
; %bb.21:                               ;   in Loop: Header=BB90_8 Depth=1
	v_mov_b32_e32 v2, v4
	v_mov_b32_e32 v3, v5
	v_mov_b32_e32 v4, v6
	v_mov_b32_e32 v5, v12
; %bb.22:                               ;   in Loop: Header=BB90_8 Depth=1
	s_or_b64 exec, exec, s[10:11]
	s_andn2_saveexec_b64 s[6:7], s[6:7]
	s_cbranch_execz .LBB90_10
.LBB90_23:                              ;   in Loop: Header=BB90_8 Depth=1
	v_cmp_eq_u32_e32 vcc, 1, v18
	s_and_saveexec_b64 s[10:11], vcc
; %bb.24:                               ;   in Loop: Header=BB90_8 Depth=1
	v_mov_b32_e32 v2, v3
	v_mov_b32_e32 v3, v4
	;; [unrolled: 1-line block ×4, first 2 shown]
; %bb.25:                               ;   in Loop: Header=BB90_8 Depth=1
	s_or_b64 exec, exec, s[10:11]
	s_or_b64 exec, exec, s[6:7]
	v_cmp_gt_i64_e32 vcc, s[0:1], v[16:17]
	s_and_saveexec_b64 s[6:7], vcc
	s_cbranch_execnz .LBB90_11
	s_branch .LBB90_12
.LBB90_26:
	s_endpgm
.LBB90_27:
                                        ; implicit-def: $sgpr8_sgpr9
	s_andn2_b64 vcc, exec, s[2:3]
	s_cbranch_vccz .LBB90_4
	s_branch .LBB90_5
	.section	.rodata,"a",@progbits
	.p2align	6, 0x0
	.amdhsa_kernel _ZN2at6native12_GLOBAL__N_143distribution_elementwise_grid_stride_kernelIjLi4EZZZNS0_9templates4cuda13random_kernelIPNS_17CUDAGeneratorImplEEEvRNS_18TensorIteratorBaseET_ENKUlvE_clEvENKUlvE4_clEvEUlP25hiprandStatePhilox4_32_10E0_ZNS1_27distribution_nullary_kernelIdj15HIP_vector_typeIjLj4EES7_SF_ZZZNS5_IS7_EEvS9_SA_ENKSB_clEvENKSC_clEvEUljE_EEvS9_T2_RKT3_T4_EUlijE_EEvlNS_15PhiloxCudaStateET1_SK_
		.amdhsa_group_segment_fixed_size 0
		.amdhsa_private_segment_fixed_size 0
		.amdhsa_kernarg_size 320
		.amdhsa_user_sgpr_count 6
		.amdhsa_user_sgpr_private_segment_buffer 1
		.amdhsa_user_sgpr_dispatch_ptr 0
		.amdhsa_user_sgpr_queue_ptr 0
		.amdhsa_user_sgpr_kernarg_segment_ptr 1
		.amdhsa_user_sgpr_dispatch_id 0
		.amdhsa_user_sgpr_flat_scratch_init 0
		.amdhsa_user_sgpr_kernarg_preload_length 0
		.amdhsa_user_sgpr_kernarg_preload_offset 0
		.amdhsa_user_sgpr_private_segment_size 0
		.amdhsa_uses_dynamic_stack 0
		.amdhsa_system_sgpr_private_segment_wavefront_offset 0
		.amdhsa_system_sgpr_workgroup_id_x 1
		.amdhsa_system_sgpr_workgroup_id_y 0
		.amdhsa_system_sgpr_workgroup_id_z 0
		.amdhsa_system_sgpr_workgroup_info 0
		.amdhsa_system_vgpr_workitem_id 0
		.amdhsa_next_free_vgpr 48
		.amdhsa_next_free_sgpr 24
		.amdhsa_accum_offset 48
		.amdhsa_reserve_vcc 1
		.amdhsa_reserve_flat_scratch 0
		.amdhsa_float_round_mode_32 0
		.amdhsa_float_round_mode_16_64 0
		.amdhsa_float_denorm_mode_32 3
		.amdhsa_float_denorm_mode_16_64 3
		.amdhsa_dx10_clamp 1
		.amdhsa_ieee_mode 1
		.amdhsa_fp16_overflow 0
		.amdhsa_tg_split 0
		.amdhsa_exception_fp_ieee_invalid_op 0
		.amdhsa_exception_fp_denorm_src 0
		.amdhsa_exception_fp_ieee_div_zero 0
		.amdhsa_exception_fp_ieee_overflow 0
		.amdhsa_exception_fp_ieee_underflow 0
		.amdhsa_exception_fp_ieee_inexact 0
		.amdhsa_exception_int_div_zero 0
	.end_amdhsa_kernel
	.section	.text._ZN2at6native12_GLOBAL__N_143distribution_elementwise_grid_stride_kernelIjLi4EZZZNS0_9templates4cuda13random_kernelIPNS_17CUDAGeneratorImplEEEvRNS_18TensorIteratorBaseET_ENKUlvE_clEvENKUlvE4_clEvEUlP25hiprandStatePhilox4_32_10E0_ZNS1_27distribution_nullary_kernelIdj15HIP_vector_typeIjLj4EES7_SF_ZZZNS5_IS7_EEvS9_SA_ENKSB_clEvENKSC_clEvEUljE_EEvS9_T2_RKT3_T4_EUlijE_EEvlNS_15PhiloxCudaStateET1_SK_,"axG",@progbits,_ZN2at6native12_GLOBAL__N_143distribution_elementwise_grid_stride_kernelIjLi4EZZZNS0_9templates4cuda13random_kernelIPNS_17CUDAGeneratorImplEEEvRNS_18TensorIteratorBaseET_ENKUlvE_clEvENKUlvE4_clEvEUlP25hiprandStatePhilox4_32_10E0_ZNS1_27distribution_nullary_kernelIdj15HIP_vector_typeIjLj4EES7_SF_ZZZNS5_IS7_EEvS9_SA_ENKSB_clEvENKSC_clEvEUljE_EEvS9_T2_RKT3_T4_EUlijE_EEvlNS_15PhiloxCudaStateET1_SK_,comdat
.Lfunc_end90:
	.size	_ZN2at6native12_GLOBAL__N_143distribution_elementwise_grid_stride_kernelIjLi4EZZZNS0_9templates4cuda13random_kernelIPNS_17CUDAGeneratorImplEEEvRNS_18TensorIteratorBaseET_ENKUlvE_clEvENKUlvE4_clEvEUlP25hiprandStatePhilox4_32_10E0_ZNS1_27distribution_nullary_kernelIdj15HIP_vector_typeIjLj4EES7_SF_ZZZNS5_IS7_EEvS9_SA_ENKSB_clEvENKSC_clEvEUljE_EEvS9_T2_RKT3_T4_EUlijE_EEvlNS_15PhiloxCudaStateET1_SK_, .Lfunc_end90-_ZN2at6native12_GLOBAL__N_143distribution_elementwise_grid_stride_kernelIjLi4EZZZNS0_9templates4cuda13random_kernelIPNS_17CUDAGeneratorImplEEEvRNS_18TensorIteratorBaseET_ENKUlvE_clEvENKUlvE4_clEvEUlP25hiprandStatePhilox4_32_10E0_ZNS1_27distribution_nullary_kernelIdj15HIP_vector_typeIjLj4EES7_SF_ZZZNS5_IS7_EEvS9_SA_ENKSB_clEvENKSC_clEvEUljE_EEvS9_T2_RKT3_T4_EUlijE_EEvlNS_15PhiloxCudaStateET1_SK_
                                        ; -- End function
	.section	.AMDGPU.csdata,"",@progbits
; Kernel info:
; codeLenInByte = 2352
; NumSgprs: 28
; NumVgprs: 48
; NumAgprs: 0
; TotalNumVgprs: 48
; ScratchSize: 0
; MemoryBound: 0
; FloatMode: 240
; IeeeMode: 1
; LDSByteSize: 0 bytes/workgroup (compile time only)
; SGPRBlocks: 3
; VGPRBlocks: 5
; NumSGPRsForWavesPerEU: 28
; NumVGPRsForWavesPerEU: 48
; AccumOffset: 48
; Occupancy: 8
; WaveLimiterHint : 0
; COMPUTE_PGM_RSRC2:SCRATCH_EN: 0
; COMPUTE_PGM_RSRC2:USER_SGPR: 6
; COMPUTE_PGM_RSRC2:TRAP_HANDLER: 0
; COMPUTE_PGM_RSRC2:TGID_X_EN: 1
; COMPUTE_PGM_RSRC2:TGID_Y_EN: 0
; COMPUTE_PGM_RSRC2:TGID_Z_EN: 0
; COMPUTE_PGM_RSRC2:TIDIG_COMP_CNT: 0
; COMPUTE_PGM_RSRC3_GFX90A:ACCUM_OFFSET: 11
; COMPUTE_PGM_RSRC3_GFX90A:TG_SPLIT: 0
	.section	.text._ZN2at6native12_GLOBAL__N_143distribution_elementwise_grid_stride_kernelIjLi4EZZZNS0_9templates4cuda13random_kernelIPNS_17CUDAGeneratorImplEEEvRNS_18TensorIteratorBaseET_ENKUlvE_clEvENKUlvE4_clEvEUlP25hiprandStatePhilox4_32_10E0_ZNS1_27distribution_nullary_kernelIdj15HIP_vector_typeIjLj4EES7_SF_ZZZNS5_IS7_EEvS9_SA_ENKSB_clEvENKSC_clEvEUljE_EEvS9_T2_RKT3_T4_EUlijE0_EEvlNS_15PhiloxCudaStateET1_SK_,"axG",@progbits,_ZN2at6native12_GLOBAL__N_143distribution_elementwise_grid_stride_kernelIjLi4EZZZNS0_9templates4cuda13random_kernelIPNS_17CUDAGeneratorImplEEEvRNS_18TensorIteratorBaseET_ENKUlvE_clEvENKUlvE4_clEvEUlP25hiprandStatePhilox4_32_10E0_ZNS1_27distribution_nullary_kernelIdj15HIP_vector_typeIjLj4EES7_SF_ZZZNS5_IS7_EEvS9_SA_ENKSB_clEvENKSC_clEvEUljE_EEvS9_T2_RKT3_T4_EUlijE0_EEvlNS_15PhiloxCudaStateET1_SK_,comdat
	.globl	_ZN2at6native12_GLOBAL__N_143distribution_elementwise_grid_stride_kernelIjLi4EZZZNS0_9templates4cuda13random_kernelIPNS_17CUDAGeneratorImplEEEvRNS_18TensorIteratorBaseET_ENKUlvE_clEvENKUlvE4_clEvEUlP25hiprandStatePhilox4_32_10E0_ZNS1_27distribution_nullary_kernelIdj15HIP_vector_typeIjLj4EES7_SF_ZZZNS5_IS7_EEvS9_SA_ENKSB_clEvENKSC_clEvEUljE_EEvS9_T2_RKT3_T4_EUlijE0_EEvlNS_15PhiloxCudaStateET1_SK_ ; -- Begin function _ZN2at6native12_GLOBAL__N_143distribution_elementwise_grid_stride_kernelIjLi4EZZZNS0_9templates4cuda13random_kernelIPNS_17CUDAGeneratorImplEEEvRNS_18TensorIteratorBaseET_ENKUlvE_clEvENKUlvE4_clEvEUlP25hiprandStatePhilox4_32_10E0_ZNS1_27distribution_nullary_kernelIdj15HIP_vector_typeIjLj4EES7_SF_ZZZNS5_IS7_EEvS9_SA_ENKSB_clEvENKSC_clEvEUljE_EEvS9_T2_RKT3_T4_EUlijE0_EEvlNS_15PhiloxCudaStateET1_SK_
	.p2align	8
	.type	_ZN2at6native12_GLOBAL__N_143distribution_elementwise_grid_stride_kernelIjLi4EZZZNS0_9templates4cuda13random_kernelIPNS_17CUDAGeneratorImplEEEvRNS_18TensorIteratorBaseET_ENKUlvE_clEvENKUlvE4_clEvEUlP25hiprandStatePhilox4_32_10E0_ZNS1_27distribution_nullary_kernelIdj15HIP_vector_typeIjLj4EES7_SF_ZZZNS5_IS7_EEvS9_SA_ENKSB_clEvENKSC_clEvEUljE_EEvS9_T2_RKT3_T4_EUlijE0_EEvlNS_15PhiloxCudaStateET1_SK_,@function
_ZN2at6native12_GLOBAL__N_143distribution_elementwise_grid_stride_kernelIjLi4EZZZNS0_9templates4cuda13random_kernelIPNS_17CUDAGeneratorImplEEEvRNS_18TensorIteratorBaseET_ENKUlvE_clEvENKUlvE4_clEvEUlP25hiprandStatePhilox4_32_10E0_ZNS1_27distribution_nullary_kernelIdj15HIP_vector_typeIjLj4EES7_SF_ZZZNS5_IS7_EEvS9_SA_ENKSB_clEvENKSC_clEvEUljE_EEvS9_T2_RKT3_T4_EUlijE0_EEvlNS_15PhiloxCudaStateET1_SK_: ; @_ZN2at6native12_GLOBAL__N_143distribution_elementwise_grid_stride_kernelIjLi4EZZZNS0_9templates4cuda13random_kernelIPNS_17CUDAGeneratorImplEEEvRNS_18TensorIteratorBaseET_ENKUlvE_clEvENKUlvE4_clEvEUlP25hiprandStatePhilox4_32_10E0_ZNS1_27distribution_nullary_kernelIdj15HIP_vector_typeIjLj4EES7_SF_ZZZNS5_IS7_EEvS9_SA_ENKSB_clEvENKSC_clEvEUljE_EEvS9_T2_RKT3_T4_EUlijE0_EEvlNS_15PhiloxCudaStateET1_SK_
; %bb.0:
	s_load_dword s2, s[4:5], 0x20
	s_load_dwordx2 s[0:1], s[4:5], 0x10
	s_load_dwordx4 s[24:27], s[4:5], 0x0
	s_waitcnt lgkmcnt(0)
	s_bitcmp0_b32 s2, 0
	s_mov_b32 s2, 0
	v_pk_mov_b32 v[2:3], s[0:1], s[0:1] op_sel:[0,1]
	v_pk_mov_b32 v[12:13], s[26:27], s[26:27] op_sel:[0,1]
	s_cbranch_scc1 .LBB91_2
; %bb.1:
	v_pk_mov_b32 v[2:3], s[0:1], s[0:1] op_sel:[0,1]
	flat_load_dwordx2 v[2:3], v[2:3]
	v_pk_mov_b32 v[4:5], s[26:27], s[26:27] op_sel:[0,1]
	flat_load_dwordx2 v[12:13], v[4:5]
	s_load_dwordx2 s[0:1], s[4:5], 0x18
	s_waitcnt lgkmcnt(0)
	v_mov_b32_e32 v1, s1
	s_waitcnt vmcnt(0)
	v_add_co_u32_e32 v2, vcc, s0, v2
	v_addc_co_u32_e32 v3, vcc, v3, v1, vcc
.LBB91_2:
	s_load_dword s0, s[4:5], 0x154
	s_load_dword s7, s[4:5], 0x148
	s_waitcnt lgkmcnt(0)
	s_and_b32 s8, s0, 0xffff
	s_add_u32 s9, s24, -1
	s_mul_i32 s33, s7, s8
	s_addc_u32 s3, s25, -1
	s_lshl_b32 s58, s33, 2
	s_cmp_lg_u64 s[2:3], 0
	s_mov_b64 s[0:1], -1
	s_cbranch_scc0 .LBB91_83
; %bb.3:
	v_cvt_f32_u32_e32 v1, s58
	v_cvt_f32_ubyte0_e32 v4, 0
	s_sub_u32 s2, 0, s58
	s_subb_u32 s10, 0, 0
	v_madmk_f32 v1, v4, 0x4f800000, v1
	v_rcp_f32_e32 v1, v1
	v_mul_f32_e32 v1, 0x5f7ffffc, v1
	v_mul_f32_e32 v4, 0x2f800000, v1
	v_trunc_f32_e32 v4, v4
	v_madmk_f32 v1, v4, 0xcf800000, v1
	v_cvt_u32_f32_e32 v4, v4
	v_cvt_u32_f32_e32 v1, v1
	v_readfirstlane_b32 s11, v4
	v_readfirstlane_b32 s12, v1
	s_mul_i32 s13, s2, s11
	s_mul_hi_u32 s15, s2, s12
	s_mul_i32 s14, s10, s12
	s_add_i32 s13, s15, s13
	s_add_i32 s13, s13, s14
	s_mul_i32 s16, s2, s12
	s_mul_hi_u32 s14, s12, s13
	s_mul_i32 s15, s12, s13
	s_mul_hi_u32 s12, s12, s16
	s_add_u32 s12, s12, s15
	s_addc_u32 s14, 0, s14
	s_mul_hi_u32 s17, s11, s16
	s_mul_i32 s16, s11, s16
	s_add_u32 s12, s12, s16
	s_mul_hi_u32 s15, s11, s13
	s_addc_u32 s12, s14, s17
	s_addc_u32 s14, s15, 0
	s_mul_i32 s13, s11, s13
	s_add_u32 s12, s12, s13
	s_addc_u32 s13, 0, s14
	v_add_co_u32_e32 v1, vcc, s12, v1
	s_cmp_lg_u64 vcc, 0
	s_addc_u32 s11, s11, s13
	v_readfirstlane_b32 s13, v1
	s_mul_i32 s12, s2, s11
	s_mul_hi_u32 s14, s2, s13
	s_add_i32 s12, s14, s12
	s_mul_i32 s10, s10, s13
	s_add_i32 s12, s12, s10
	s_mul_i32 s2, s2, s13
	s_mul_hi_u32 s14, s11, s2
	s_mul_i32 s15, s11, s2
	s_mul_i32 s17, s13, s12
	s_mul_hi_u32 s2, s13, s2
	s_mul_hi_u32 s16, s13, s12
	s_add_u32 s2, s2, s17
	s_addc_u32 s13, 0, s16
	s_add_u32 s2, s2, s15
	s_mul_hi_u32 s10, s11, s12
	s_addc_u32 s2, s13, s14
	s_addc_u32 s10, s10, 0
	s_mul_i32 s12, s11, s12
	s_add_u32 s2, s2, s12
	s_addc_u32 s10, 0, s10
	v_add_co_u32_e32 v1, vcc, s2, v1
	s_cmp_lg_u64 vcc, 0
	s_addc_u32 s12, s11, s10
	s_ashr_i32 s10, s3, 31
	s_add_u32 s2, s9, s10
	s_mov_b32 s11, s10
	s_addc_u32 s3, s3, s10
	s_xor_b64 s[2:3], s[2:3], s[10:11]
	v_readfirstlane_b32 s15, v1
	s_mul_i32 s14, s2, s12
	s_mul_hi_u32 s16, s2, s15
	s_mul_hi_u32 s13, s2, s12
	s_add_u32 s14, s16, s14
	s_addc_u32 s13, 0, s13
	s_mul_hi_u32 s17, s3, s15
	s_mul_i32 s15, s3, s15
	s_add_u32 s14, s14, s15
	s_mul_hi_u32 s16, s3, s12
	s_addc_u32 s13, s13, s17
	s_addc_u32 s14, s16, 0
	s_mul_i32 s12, s3, s12
	s_add_u32 s12, s13, s12
	s_addc_u32 s13, 0, s14
	s_add_u32 s14, s12, 1
	s_addc_u32 s15, s13, 0
	s_add_u32 s16, s12, 2
	s_mul_i32 s18, s58, s13
	s_mul_hi_u32 s19, s58, s12
	s_addc_u32 s17, s13, 0
	s_add_i32 s19, s19, s18
	s_mul_i32 s18, s58, s12
	v_mov_b32_e32 v1, s18
	v_sub_co_u32_e32 v1, vcc, s2, v1
	s_cmp_lg_u64 vcc, 0
	s_subb_u32 s2, s3, s19
	v_subrev_co_u32_e32 v4, vcc, s58, v1
	s_cmp_lg_u64 vcc, 0
	s_subb_u32 s3, s2, 0
	v_readfirstlane_b32 s18, v4
	s_cmp_ge_u32 s18, s58
	s_cselect_b32 s18, -1, 0
	s_cmp_eq_u32 s3, 0
	s_cselect_b32 s3, s18, -1
	s_cmp_lg_u32 s3, 0
	s_cselect_b32 s3, s17, s15
	v_readfirstlane_b32 s15, v1
	s_cselect_b32 s14, s16, s14
	s_cmp_ge_u32 s15, s58
	s_cselect_b32 s15, -1, 0
	s_cmp_eq_u32 s2, 0
	s_cselect_b32 s2, s15, -1
	s_cmp_lg_u32 s2, 0
	s_cselect_b32 s3, s3, s13
	s_cselect_b32 s2, s14, s12
	s_xor_b64 s[2:3], s[2:3], s[10:11]
	s_sub_u32 s2, s2, s10
	s_subb_u32 s3, s3, s10
	s_cbranch_execnz .LBB91_5
.LBB91_4:
	v_cvt_f32_u32_e32 v1, s58
	s_sub_i32 s0, 0, s58
	s_mov_b32 s3, 0
	v_rcp_iflag_f32_e32 v1, v1
	v_mul_f32_e32 v1, 0x4f7ffffe, v1
	v_cvt_u32_f32_e32 v1, v1
	v_readfirstlane_b32 s1, v1
	s_mul_i32 s0, s0, s1
	s_mul_hi_u32 s0, s1, s0
	s_add_i32 s1, s1, s0
	s_mul_hi_u32 s0, s9, s1
	s_mul_i32 s2, s0, s58
	s_sub_i32 s2, s9, s2
	s_add_i32 s1, s0, 1
	s_sub_i32 s9, s2, s58
	s_cmp_ge_u32 s2, s58
	s_cselect_b32 s0, s1, s0
	s_cselect_b32 s2, s9, s2
	s_add_i32 s1, s0, 1
	s_cmp_ge_u32 s2, s58
	s_cselect_b32 s2, s1, s0
.LBB91_5:
	v_mov_b32_e32 v1, 0
	v_mov_b32_e32 v4, s6
	v_mad_u64_u32 v[14:15], s[0:1], s8, v4, v[0:1]
	s_add_u32 s0, s2, 1
	s_addc_u32 s1, s3, 0
	s_mul_hi_u32 s2, s7, s8
	s_mul_i32 s1, s33, s1
	s_mul_hi_u32 s3, s33, s0
	s_add_i32 s1, s3, s1
	s_mul_i32 s2, s2, s0
	s_add_i32 s1, s1, s2
	s_mul_i32 s0, s33, s0
	s_lshl_b64 s[26:27], s[0:1], 2
	v_cmp_gt_i64_e32 vcc, s[26:27], v[14:15]
	s_and_saveexec_b64 s[0:1], vcc
	s_cbranch_execz .LBB91_82
; %bb.6:
	s_mov_b32 s0, 0x5384540f
	v_mov_b32_e32 v0, v13
	v_add_co_u32_e32 v22, vcc, s0, v12
	s_mov_b32 s0, 0x646e171e
	v_add_co_u32_e32 v23, vcc, s0, v0
	s_mov_b32 s0, 0x1715609d
	;; [unrolled: 2-line block ×6, first 2 shown]
	v_alignbit_b32 v29, v3, v2, 2
	s_mov_b32 s60, 0xd2511f53
	v_add_co_u32_e32 v28, vcc, s0, v12
	v_mad_u64_u32 v[4:5], s[0:1], v29, s60, 0
	v_xor_b32_e32 v1, v5, v13
	v_xor_b32_e32 v1, v1, v15
	s_mov_b32 s61, 0xcd9e8d57
	v_mad_u64_u32 v[6:7], s[0:1], v1, s61, 0
	v_xor_b32_e32 v1, v28, v7
	v_mad_u64_u32 v[8:9], s[0:1], v14, s61, 0
	v_and_b32_e32 v18, 3, v2
	v_xor_b32_e32 v1, v1, v8
	v_xor_b32_e32 v2, v12, v9
	v_lshrrev_b32_e32 v30, 2, v3
	v_mad_u64_u32 v[10:11], s[0:1], v1, s60, 0
	v_xor_b32_e32 v2, v2, v30
	v_xor_b32_e32 v1, v27, v11
	v_mad_u64_u32 v[2:3], s[0:1], v2, s60, 0
	v_xor_b32_e32 v1, v1, v2
	v_mad_u64_u32 v[8:9], s[0:1], v1, s61, 0
	s_mov_b32 s0, 0xbb67ae85
	v_add_co_u32_e32 v31, vcc, s0, v0
	v_xor_b32_e32 v2, v31, v3
	v_xor_b32_e32 v2, v2, v4
	v_xor_b32_e32 v1, v26, v9
	v_mad_u64_u32 v[2:3], s[0:1], v2, s61, 0
	v_xor_b32_e32 v1, v1, v2
	v_mad_u64_u32 v[4:5], s[0:1], v1, s60, 0
	s_mov_b32 s0, 0x3c6ef372
	v_add_co_u32_e32 v32, vcc, s0, v12
	v_xor_b32_e32 v2, v32, v3
	;; [unrolled: 8-line block ×6, first 2 shown]
	v_add_co_u32_e32 v21, vcc, 0xdb3d7428, v0
	v_xor_b32_e32 v2, v2, v6
	v_xor_b32_e32 v1, v21, v5
	v_mad_u64_u32 v[2:3], s[0:1], v2, s60, 0
	v_xor_b32_e32 v1, v1, v2
	v_mad_u64_u32 v[6:7], s[0:1], v1, s61, 0
	s_mov_b32 s0, 0x1fd5c5a3
	v_add_co_u32_e32 v37, vcc, s0, v0
	v_xor_b32_e32 v0, v37, v3
	v_xor_b32_e32 v0, v0, v10
	v_mad_u64_u32 v[0:1], s[0:1], v0, s61, 0
	s_mov_b32 s0, 0xf1bbcdc8
	s_load_dwordx8 s[8:15], s[4:5], 0x30
	v_add_co_u32_e32 v38, vcc, s0, v12
	v_xor_b32_e32 v1, v38, v1
	v_xor_b32_e32 v1, v1, v8
	s_add_u32 s34, s4, 48
	v_mad_u64_u32 v[8:9], s[0:1], v1, s60, 0
	s_addc_u32 s35, s5, 0
	s_waitcnt lgkmcnt(0)
	s_add_i32 s0, s8, -1
	s_cmp_gt_u32 s0, 1
	s_cselect_b64 s[36:37], -1, 0
	s_cmp_lg_u32 s8, 0
	s_cselect_b64 s[38:39], -1, 0
	s_add_u32 s40, s4, 0xf4
	s_addc_u32 s41, s5, 0
	s_min_u32 s1, s0, 15
	s_cmp_gt_u32 s8, 1
	s_cselect_b64 s[42:43], -1, 0
	s_add_i32 s1, s1, 1
	s_mov_b32 s8, s13
	s_load_dwordx2 s[44:45], s[4:5], 0xf4
	s_load_dwordx2 s[46:47], s[4:5], 0x138
	s_lshl_b32 s13, s33, 1
	s_and_b32 s64, s1, 3
	s_cmp_lg_u32 s0, 2
	s_cselect_b64 s[48:49], -1, 0
	s_and_b32 s65, s1, 28
	s_mov_b32 s59, 0
	v_add_u32_e32 v19, 0x8ff34781, v12
	v_add_u32_e32 v20, 0x96a522ad, v13
	v_xor_b32_e32 v0, v7, v0
	v_xor_b32_e32 v1, v9, v4
	s_cmp_lg_u32 s64, 0
	v_xor_b32_e32 v0, v19, v0
	v_xor_b32_e32 v2, v20, v1
	v_mov_b32_e32 v1, v6
	v_mov_b32_e32 v3, v8
	s_mov_b32 s15, s59
	s_mul_i32 s62, s33, 3
	s_mov_b32 s63, s59
	s_mov_b64 s[50:51], 0
	s_cselect_b64 s[52:53], -1, 0
	v_mov_b32_e32 v39, v14
	v_mov_b32_e32 v40, v15
	s_branch .LBB91_9
.LBB91_7:                               ;   in Loop: Header=BB91_9 Depth=1
	v_cvt_f64_u32_e32 v[0:1], v3
	s_waitcnt lgkmcnt(0)
	global_store_dwordx2 v8, v[0:1], s[46:47]
.LBB91_8:                               ;   in Loop: Header=BB91_9 Depth=1
	s_or_b64 exec, exec, s[28:29]
	v_add_co_u32_e32 v14, vcc, s58, v14
	v_addc_co_u32_e32 v15, vcc, 0, v15, vcc
	v_mov_b32_e32 v7, v16
	v_cmp_le_i64_e32 vcc, s[26:27], v[14:15]
	v_pk_mov_b32 v[0:1], v[4:5], v[4:5] op_sel:[0,1]
	s_or_b64 s[50:51], vcc, s[50:51]
	v_pk_mov_b32 v[2:3], v[6:7], v[6:7] op_sel:[0,1]
	s_waitcnt lgkmcnt(0)
	s_barrier
	s_andn2_b64 exec, exec, s[50:51]
	s_cbranch_execz .LBB91_82
.LBB91_9:                               ; =>This Loop Header: Depth=1
                                        ;     Child Loop BB91_24 Depth 2
                                        ;     Child Loop BB91_30 Depth 2
	;; [unrolled: 1-line block ×8, first 2 shown]
	v_add_co_u32_e32 v29, vcc, 1, v29
	v_cndmask_b32_e64 v4, 0, 1, vcc
	v_addc_co_u32_e32 v30, vcc, 0, v30, vcc
	v_cmp_eq_u32_e32 vcc, 0, v30
	v_cndmask_b32_e32 v4, 0, v4, vcc
	v_add_u32_e32 v39, v4, v39
	v_cmp_eq_u32_e32 vcc, 0, v39
	v_cndmask_b32_e32 v4, 0, v4, vcc
	v_add_u32_e32 v40, v4, v40
	v_mad_u64_u32 v[4:5], s[0:1], v29, s60, 0
	v_mad_u64_u32 v[6:7], s[0:1], v39, s61, 0
	v_xor_b32_e32 v5, v5, v13
	v_xor_b32_e32 v7, v7, v12
	v_xor_b32_e32 v5, v40, v5
	v_xor_b32_e32 v7, v30, v7
	v_mad_u64_u32 v[10:11], s[0:1], v5, s61, 0
	v_mad_u64_u32 v[8:9], s[0:1], v7, s60, 0
	v_xor_b32_e32 v5, v28, v11
	v_xor_b32_e32 v5, v5, v6
	v_xor_b32_e32 v6, v31, v9
	v_xor_b32_e32 v6, v6, v4
	;; [unrolled: 6-line block ×10, first 2 shown]
	v_mov_b32_e32 v5, v10
	v_mov_b32_e32 v6, v11
	v_cmp_lt_i32_e32 vcc, 1, v18
	s_and_saveexec_b64 s[0:1], vcc
	s_xor_b64 s[0:1], exec, s[0:1]
	s_cbranch_execz .LBB91_15
; %bb.10:                               ;   in Loop: Header=BB91_9 Depth=1
	v_cmp_lt_i32_e32 vcc, 2, v18
	s_and_saveexec_b64 s[2:3], vcc
	s_xor_b64 s[2:3], exec, s[2:3]
; %bb.11:                               ;   in Loop: Header=BB91_9 Depth=1
	v_mov_b32_e32 v8, v3
	v_mov_b32_e32 v9, v4
	v_pk_mov_b32 v[0:1], v[8:9], v[8:9] op_sel:[0,1]
	v_pk_mov_b32 v[2:3], v[10:11], v[10:11] op_sel:[0,1]
                                        ; implicit-def: $vgpr10_vgpr11
; %bb.12:                               ;   in Loop: Header=BB91_9 Depth=1
	s_andn2_saveexec_b64 s[2:3], s[2:3]
; %bb.13:                               ;   in Loop: Header=BB91_9 Depth=1
	v_mov_b32_e32 v0, v2
	v_mov_b32_e32 v1, v3
	;; [unrolled: 1-line block ×4, first 2 shown]
; %bb.14:                               ;   in Loop: Header=BB91_9 Depth=1
	s_or_b64 exec, exec, s[2:3]
.LBB91_15:                              ;   in Loop: Header=BB91_9 Depth=1
	s_andn2_saveexec_b64 s[0:1], s[0:1]
	s_cbranch_execz .LBB91_19
; %bb.16:                               ;   in Loop: Header=BB91_9 Depth=1
	v_cmp_eq_u32_e32 vcc, 1, v18
	s_and_saveexec_b64 s[2:3], vcc
; %bb.17:                               ;   in Loop: Header=BB91_9 Depth=1
	v_mov_b32_e32 v0, v1
	v_mov_b32_e32 v1, v2
	;; [unrolled: 1-line block ×4, first 2 shown]
; %bb.18:                               ;   in Loop: Header=BB91_9 Depth=1
	s_or_b64 exec, exec, s[2:3]
.LBB91_19:                              ;   in Loop: Header=BB91_9 Depth=1
	s_or_b64 exec, exec, s[0:1]
	v_cndmask_b32_e64 v7, 0, 1, s[36:37]
	v_cmp_gt_i64_e32 vcc, s[24:25], v[14:15]
	v_cmp_ne_u32_e64 s[0:1], 1, v7
	s_and_saveexec_b64 s[2:3], vcc
	s_cbranch_execz .LBB91_35
; %bb.20:                               ;   in Loop: Header=BB91_9 Depth=1
	s_and_b64 vcc, exec, s[0:1]
	s_cbranch_vccnz .LBB91_26
; %bb.21:                               ;   in Loop: Header=BB91_9 Depth=1
	s_andn2_b64 vcc, exec, s[38:39]
	s_cbranch_vccnz .LBB91_27
; %bb.22:                               ;   in Loop: Header=BB91_9 Depth=1
	s_mov_b32 s6, 0
	s_andn2_b64 vcc, exec, s[48:49]
	v_mov_b32_e32 v8, 0
	s_cbranch_vccnz .LBB91_28
; %bb.23:                               ;   in Loop: Header=BB91_9 Depth=1
	s_mov_b32 s66, 0
	v_mov_b32_e32 v8, 0
	s_mov_b64 s[54:55], s[34:35]
	s_mov_b64 s[56:57], s[40:41]
	v_mov_b32_e32 v7, v14
.LBB91_24:                              ;   Parent Loop BB91_9 Depth=1
                                        ; =>  This Inner Loop Header: Depth=2
	s_load_dwordx8 s[16:23], s[54:55], 0x4
	s_load_dwordx4 s[4:7], s[54:55], 0x24
	s_load_dwordx4 s[28:31], s[56:57], 0x0
	s_add_u32 s54, s54, 48
	s_addc_u32 s55, s55, 0
	s_waitcnt lgkmcnt(0)
	v_mul_hi_u32 v9, s17, v7
	v_add_u32_e32 v9, v7, v9
	v_lshrrev_b32_e32 v9, s18, v9
	v_mul_lo_u32 v10, v9, s16
	v_mul_hi_u32 v11, s20, v9
	v_sub_u32_e32 v7, v7, v10
	v_add_u32_e32 v10, v9, v11
	v_lshrrev_b32_e32 v10, s21, v10
	v_mul_lo_u32 v11, v10, s19
	v_mul_hi_u32 v17, s23, v10
	v_sub_u32_e32 v9, v9, v11
	v_add_u32_e32 v11, v10, v17
	v_mul_lo_u32 v7, v7, s28
	v_mul_lo_u32 v9, v9, s29
	v_lshrrev_b32_e32 v11, s4, v11
	v_add3_u32 v8, v7, v8, v9
	v_mul_lo_u32 v7, v11, s22
	v_mul_hi_u32 v9, s6, v11
	v_sub_u32_e32 v7, v10, v7
	v_add_u32_e32 v9, v11, v9
	v_mul_lo_u32 v10, v7, s30
	v_lshrrev_b32_e32 v7, s7, v9
	s_add_i32 s66, s66, 4
	v_mul_lo_u32 v9, v7, s5
	s_add_u32 s56, s56, 16
	v_sub_u32_e32 v9, v11, v9
	s_addc_u32 s57, s57, 0
	v_mul_lo_u32 v9, v9, s31
	s_cmp_lg_u32 s65, s66
	v_add3_u32 v8, v10, v8, v9
	s_cbranch_scc1 .LBB91_24
; %bb.25:                               ;   in Loop: Header=BB91_9 Depth=1
	s_mov_b32 s6, s65
	s_andn2_b64 vcc, exec, s[52:53]
	s_cbranch_vccz .LBB91_29
	s_branch .LBB91_31
.LBB91_26:                              ;   in Loop: Header=BB91_9 Depth=1
                                        ; implicit-def: $vgpr8
	s_branch .LBB91_32
.LBB91_27:                              ;   in Loop: Header=BB91_9 Depth=1
	v_mov_b32_e32 v8, 0
	s_branch .LBB91_31
.LBB91_28:                              ;   in Loop: Header=BB91_9 Depth=1
	v_mov_b32_e32 v7, v14
	s_andn2_b64 vcc, exec, s[52:53]
	s_cbranch_vccnz .LBB91_31
.LBB91_29:                              ;   in Loop: Header=BB91_9 Depth=1
	s_lshl_b32 s4, s6, 2
	s_add_u32 s4, s40, s4
	s_addc_u32 s5, s41, 0
	s_mul_i32 s6, s6, 12
	s_add_u32 s6, s34, s6
	s_addc_u32 s7, s35, 0
	s_mov_b32 s16, s64
.LBB91_30:                              ;   Parent Loop BB91_9 Depth=1
                                        ; =>  This Inner Loop Header: Depth=2
	s_load_dwordx2 s[18:19], s[6:7], 0x4
	s_load_dword s17, s[6:7], 0xc
	s_load_dword s20, s[4:5], 0x0
	s_add_u32 s6, s6, 12
	s_addc_u32 s7, s7, 0
	s_waitcnt lgkmcnt(0)
	v_mul_hi_u32 v9, s19, v7
	v_add_u32_e32 v9, v7, v9
	v_lshrrev_b32_e32 v9, s17, v9
	s_add_u32 s4, s4, 4
	v_mul_lo_u32 v10, v9, s18
	s_addc_u32 s5, s5, 0
	s_add_i32 s16, s16, -1
	v_sub_u32_e32 v10, v7, v10
	s_cmp_lg_u32 s16, 0
	v_mov_b32_e32 v7, v9
	v_mad_u64_u32 v[8:9], s[18:19], v10, s20, v[8:9]
	s_cbranch_scc1 .LBB91_30
.LBB91_31:                              ;   in Loop: Header=BB91_9 Depth=1
	s_cbranch_execnz .LBB91_34
.LBB91_32:                              ;   in Loop: Header=BB91_9 Depth=1
	v_mul_hi_u32 v7, v14, s10
	v_add_u32_e32 v7, v7, v14
	v_lshrrev_b32_e32 v7, s11, v7
	v_mul_lo_u32 v8, v7, s9
	v_sub_u32_e32 v8, v14, v8
	s_andn2_b64 vcc, exec, s[42:43]
	s_waitcnt lgkmcnt(0)
	v_mul_lo_u32 v8, v8, s44
	s_cbranch_vccnz .LBB91_34
; %bb.33:                               ;   in Loop: Header=BB91_9 Depth=1
	v_mul_hi_u32 v9, s8, v7
	v_add_u32_e32 v9, v7, v9
	v_lshrrev_b32_e32 v9, s14, v9
	v_mul_lo_u32 v9, v9, s12
	v_sub_u32_e32 v7, v7, v9
	v_mad_u64_u32 v[8:9], s[4:5], v7, s45, v[8:9]
.LBB91_34:                              ;   in Loop: Header=BB91_9 Depth=1
	v_cvt_f64_u32_e32 v[10:11], v0
	s_waitcnt lgkmcnt(0)
	global_store_dwordx2 v8, v[10:11], s[46:47]
.LBB91_35:                              ;   in Loop: Header=BB91_9 Depth=1
	s_or_b64 exec, exec, s[2:3]
	v_mov_b32_e32 v0, s59
	v_add_co_u32_e32 v8, vcc, s33, v14
	v_addc_co_u32_e32 v9, vcc, v15, v0, vcc
	v_cmp_gt_i64_e32 vcc, s[24:25], v[8:9]
	s_and_saveexec_b64 s[2:3], vcc
	s_cbranch_execz .LBB91_51
; %bb.36:                               ;   in Loop: Header=BB91_9 Depth=1
	s_and_b64 vcc, exec, s[0:1]
	s_cbranch_vccnz .LBB91_42
; %bb.37:                               ;   in Loop: Header=BB91_9 Depth=1
	s_andn2_b64 vcc, exec, s[38:39]
	s_cbranch_vccnz .LBB91_43
; %bb.38:                               ;   in Loop: Header=BB91_9 Depth=1
	s_mov_b32 s6, 0
	s_andn2_b64 vcc, exec, s[48:49]
	v_mov_b32_e32 v10, 0
	s_cbranch_vccnz .LBB91_44
; %bb.39:                               ;   in Loop: Header=BB91_9 Depth=1
	s_mov_b32 s66, 0
	v_mov_b32_e32 v10, 0
	s_mov_b64 s[54:55], s[34:35]
	s_mov_b64 s[56:57], s[40:41]
	v_mov_b32_e32 v0, v8
.LBB91_40:                              ;   Parent Loop BB91_9 Depth=1
                                        ; =>  This Inner Loop Header: Depth=2
	s_load_dwordx8 s[16:23], s[54:55], 0x4
	s_load_dwordx4 s[4:7], s[54:55], 0x24
	s_load_dwordx4 s[28:31], s[56:57], 0x0
	s_add_u32 s54, s54, 48
	s_addc_u32 s55, s55, 0
	s_waitcnt lgkmcnt(0)
	v_mul_hi_u32 v7, s17, v0
	v_add_u32_e32 v7, v0, v7
	v_lshrrev_b32_e32 v7, s18, v7
	v_mul_lo_u32 v9, v7, s16
	v_mul_hi_u32 v11, s20, v7
	v_sub_u32_e32 v0, v0, v9
	v_add_u32_e32 v9, v7, v11
	v_lshrrev_b32_e32 v9, s21, v9
	v_mul_lo_u32 v11, v9, s19
	v_mul_hi_u32 v17, s23, v9
	v_sub_u32_e32 v7, v7, v11
	v_add_u32_e32 v11, v9, v17
	v_mul_lo_u32 v0, v0, s28
	v_mul_lo_u32 v7, v7, s29
	v_lshrrev_b32_e32 v11, s4, v11
	v_add3_u32 v7, v0, v10, v7
	v_mul_lo_u32 v0, v11, s22
	v_mul_hi_u32 v10, s6, v11
	v_sub_u32_e32 v0, v9, v0
	v_add_u32_e32 v9, v11, v10
	v_mul_lo_u32 v10, v0, s30
	v_lshrrev_b32_e32 v0, s7, v9
	s_add_i32 s66, s66, 4
	v_mul_lo_u32 v9, v0, s5
	s_add_u32 s56, s56, 16
	v_sub_u32_e32 v9, v11, v9
	s_addc_u32 s57, s57, 0
	v_mul_lo_u32 v9, v9, s31
	s_cmp_eq_u32 s65, s66
	v_add3_u32 v10, v10, v7, v9
	s_cbranch_scc0 .LBB91_40
; %bb.41:                               ;   in Loop: Header=BB91_9 Depth=1
	s_mov_b32 s6, s65
	s_andn2_b64 vcc, exec, s[52:53]
	s_cbranch_vccz .LBB91_45
	s_branch .LBB91_47
.LBB91_42:                              ;   in Loop: Header=BB91_9 Depth=1
                                        ; implicit-def: $vgpr10
	s_branch .LBB91_48
.LBB91_43:                              ;   in Loop: Header=BB91_9 Depth=1
	v_mov_b32_e32 v10, 0
	s_branch .LBB91_47
.LBB91_44:                              ;   in Loop: Header=BB91_9 Depth=1
	v_mov_b32_e32 v0, v8
	s_andn2_b64 vcc, exec, s[52:53]
	s_cbranch_vccnz .LBB91_47
.LBB91_45:                              ;   in Loop: Header=BB91_9 Depth=1
	s_lshl_b32 s4, s6, 2
	s_add_u32 s4, s40, s4
	s_addc_u32 s5, s41, 0
	s_mul_i32 s6, s6, 12
	s_add_u32 s6, s34, s6
	s_addc_u32 s7, s35, 0
	s_mov_b32 s16, s64
.LBB91_46:                              ;   Parent Loop BB91_9 Depth=1
                                        ; =>  This Inner Loop Header: Depth=2
	s_load_dwordx2 s[18:19], s[6:7], 0x4
	s_load_dword s17, s[6:7], 0xc
	s_load_dword s20, s[4:5], 0x0
	s_add_u32 s6, s6, 12
	s_addc_u32 s7, s7, 0
	s_waitcnt lgkmcnt(0)
	v_mul_hi_u32 v7, s19, v0
	v_add_u32_e32 v7, v0, v7
	v_lshrrev_b32_e32 v7, s17, v7
	s_add_u32 s4, s4, 4
	v_mul_lo_u32 v9, v7, s18
	s_addc_u32 s5, s5, 0
	s_add_i32 s16, s16, -1
	v_sub_u32_e32 v9, v0, v9
	s_cmp_lg_u32 s16, 0
	v_mov_b32_e32 v0, v7
	v_mad_u64_u32 v[10:11], s[18:19], v9, s20, v[10:11]
	s_cbranch_scc1 .LBB91_46
.LBB91_47:                              ;   in Loop: Header=BB91_9 Depth=1
	s_cbranch_execnz .LBB91_50
.LBB91_48:                              ;   in Loop: Header=BB91_9 Depth=1
	v_mul_hi_u32 v0, v8, s10
	v_add_u32_e32 v0, v0, v8
	v_lshrrev_b32_e32 v0, s11, v0
	v_mul_lo_u32 v7, v0, s9
	v_sub_u32_e32 v7, v8, v7
	s_andn2_b64 vcc, exec, s[42:43]
	s_waitcnt lgkmcnt(0)
	v_mul_lo_u32 v10, v7, s44
	s_cbranch_vccnz .LBB91_50
; %bb.49:                               ;   in Loop: Header=BB91_9 Depth=1
	v_mul_hi_u32 v7, s8, v0
	v_add_u32_e32 v7, v0, v7
	v_lshrrev_b32_e32 v7, s14, v7
	v_mul_lo_u32 v7, v7, s12
	v_sub_u32_e32 v0, v0, v7
	v_mad_u64_u32 v[10:11], s[4:5], v0, s45, v[10:11]
.LBB91_50:                              ;   in Loop: Header=BB91_9 Depth=1
	v_cvt_f64_u32_e32 v[0:1], v1
	s_waitcnt lgkmcnt(0)
	global_store_dwordx2 v10, v[0:1], s[46:47]
.LBB91_51:                              ;   in Loop: Header=BB91_9 Depth=1
	s_or_b64 exec, exec, s[2:3]
	v_mov_b32_e32 v1, s15
	v_add_co_u32_e32 v0, vcc, s13, v14
	v_addc_co_u32_e32 v1, vcc, v15, v1, vcc
	v_cmp_gt_i64_e32 vcc, s[24:25], v[0:1]
	s_and_saveexec_b64 s[2:3], vcc
	s_cbranch_execz .LBB91_67
; %bb.52:                               ;   in Loop: Header=BB91_9 Depth=1
	s_and_b64 vcc, exec, s[0:1]
	s_cbranch_vccnz .LBB91_58
; %bb.53:                               ;   in Loop: Header=BB91_9 Depth=1
	s_andn2_b64 vcc, exec, s[38:39]
	s_cbranch_vccnz .LBB91_59
; %bb.54:                               ;   in Loop: Header=BB91_9 Depth=1
	s_mov_b32 s6, 0
	s_andn2_b64 vcc, exec, s[48:49]
	v_mov_b32_e32 v8, 0
	s_cbranch_vccnz .LBB91_60
; %bb.55:                               ;   in Loop: Header=BB91_9 Depth=1
	s_mov_b32 s66, 0
	v_mov_b32_e32 v8, 0
	s_mov_b64 s[54:55], s[34:35]
	s_mov_b64 s[56:57], s[40:41]
	v_mov_b32_e32 v1, v0
.LBB91_56:                              ;   Parent Loop BB91_9 Depth=1
                                        ; =>  This Inner Loop Header: Depth=2
	s_load_dwordx8 s[16:23], s[54:55], 0x4
	s_load_dwordx4 s[4:7], s[54:55], 0x24
	s_load_dwordx4 s[28:31], s[56:57], 0x0
	s_add_u32 s54, s54, 48
	s_addc_u32 s55, s55, 0
	s_waitcnt lgkmcnt(0)
	v_mul_hi_u32 v7, s17, v1
	v_add_u32_e32 v7, v1, v7
	v_lshrrev_b32_e32 v7, s18, v7
	v_mul_lo_u32 v9, v7, s16
	v_mul_hi_u32 v10, s20, v7
	v_sub_u32_e32 v1, v1, v9
	v_add_u32_e32 v9, v7, v10
	v_lshrrev_b32_e32 v9, s21, v9
	v_mul_lo_u32 v10, v9, s19
	v_mul_hi_u32 v11, s23, v9
	v_sub_u32_e32 v7, v7, v10
	v_add_u32_e32 v10, v9, v11
	v_mul_lo_u32 v1, v1, s28
	v_mul_lo_u32 v7, v7, s29
	v_lshrrev_b32_e32 v10, s4, v10
	v_add3_u32 v7, v1, v8, v7
	v_mul_lo_u32 v1, v10, s22
	v_mul_hi_u32 v8, s6, v10
	v_sub_u32_e32 v1, v9, v1
	v_add_u32_e32 v8, v10, v8
	v_mul_lo_u32 v9, v1, s30
	v_lshrrev_b32_e32 v1, s7, v8
	s_add_i32 s66, s66, 4
	v_mul_lo_u32 v8, v1, s5
	s_add_u32 s56, s56, 16
	v_sub_u32_e32 v8, v10, v8
	s_addc_u32 s57, s57, 0
	v_mul_lo_u32 v8, v8, s31
	s_cmp_eq_u32 s65, s66
	v_add3_u32 v8, v9, v7, v8
	s_cbranch_scc0 .LBB91_56
; %bb.57:                               ;   in Loop: Header=BB91_9 Depth=1
	s_mov_b32 s6, s65
	s_andn2_b64 vcc, exec, s[52:53]
	s_cbranch_vccz .LBB91_61
	s_branch .LBB91_63
.LBB91_58:                              ;   in Loop: Header=BB91_9 Depth=1
                                        ; implicit-def: $vgpr8
	s_branch .LBB91_64
.LBB91_59:                              ;   in Loop: Header=BB91_9 Depth=1
	v_mov_b32_e32 v8, 0
	s_branch .LBB91_63
.LBB91_60:                              ;   in Loop: Header=BB91_9 Depth=1
	v_mov_b32_e32 v1, v0
	s_andn2_b64 vcc, exec, s[52:53]
	s_cbranch_vccnz .LBB91_63
.LBB91_61:                              ;   in Loop: Header=BB91_9 Depth=1
	s_lshl_b32 s4, s6, 2
	s_add_u32 s4, s40, s4
	s_addc_u32 s5, s41, 0
	s_mul_i32 s6, s6, 12
	s_add_u32 s6, s34, s6
	s_addc_u32 s7, s35, 0
	s_mov_b32 s16, s64
.LBB91_62:                              ;   Parent Loop BB91_9 Depth=1
                                        ; =>  This Inner Loop Header: Depth=2
	s_load_dwordx2 s[18:19], s[6:7], 0x4
	s_load_dword s17, s[6:7], 0xc
	s_load_dword s20, s[4:5], 0x0
	s_add_u32 s6, s6, 12
	s_addc_u32 s7, s7, 0
	s_waitcnt lgkmcnt(0)
	v_mul_hi_u32 v7, s19, v1
	v_add_u32_e32 v7, v1, v7
	v_lshrrev_b32_e32 v7, s17, v7
	s_add_u32 s4, s4, 4
	v_mul_lo_u32 v9, v7, s18
	s_addc_u32 s5, s5, 0
	s_add_i32 s16, s16, -1
	v_sub_u32_e32 v9, v1, v9
	s_cmp_lg_u32 s16, 0
	v_mov_b32_e32 v1, v7
	v_mad_u64_u32 v[8:9], s[18:19], v9, s20, v[8:9]
	s_cbranch_scc1 .LBB91_62
.LBB91_63:                              ;   in Loop: Header=BB91_9 Depth=1
	s_cbranch_execnz .LBB91_66
.LBB91_64:                              ;   in Loop: Header=BB91_9 Depth=1
	v_mul_hi_u32 v1, v0, s10
	v_add_u32_e32 v1, v1, v0
	v_lshrrev_b32_e32 v1, s11, v1
	v_mul_lo_u32 v7, v1, s9
	v_sub_u32_e32 v0, v0, v7
	s_andn2_b64 vcc, exec, s[42:43]
	s_waitcnt lgkmcnt(0)
	v_mul_lo_u32 v8, v0, s44
	s_cbranch_vccnz .LBB91_66
; %bb.65:                               ;   in Loop: Header=BB91_9 Depth=1
	v_mul_hi_u32 v0, s8, v1
	v_add_u32_e32 v0, v1, v0
	v_lshrrev_b32_e32 v0, s14, v0
	v_mul_lo_u32 v0, v0, s12
	v_sub_u32_e32 v0, v1, v0
	v_mad_u64_u32 v[8:9], s[4:5], v0, s45, v[8:9]
.LBB91_66:                              ;   in Loop: Header=BB91_9 Depth=1
	v_cvt_f64_u32_e32 v[0:1], v2
	s_waitcnt lgkmcnt(0)
	global_store_dwordx2 v8, v[0:1], s[46:47]
.LBB91_67:                              ;   in Loop: Header=BB91_9 Depth=1
	s_or_b64 exec, exec, s[2:3]
	v_mov_b32_e32 v1, s63
	v_add_co_u32_e32 v0, vcc, s62, v14
	v_addc_co_u32_e32 v1, vcc, v15, v1, vcc
	v_cmp_gt_i64_e32 vcc, s[24:25], v[0:1]
	s_and_saveexec_b64 s[28:29], vcc
	s_cbranch_execz .LBB91_8
; %bb.68:                               ;   in Loop: Header=BB91_9 Depth=1
	s_and_b64 vcc, exec, s[0:1]
	s_cbranch_vccnz .LBB91_74
; %bb.69:                               ;   in Loop: Header=BB91_9 Depth=1
	s_andn2_b64 vcc, exec, s[38:39]
	s_cbranch_vccnz .LBB91_75
; %bb.70:                               ;   in Loop: Header=BB91_9 Depth=1
	s_mov_b32 s2, 0
	s_andn2_b64 vcc, exec, s[48:49]
	v_mov_b32_e32 v8, 0
	s_cbranch_vccnz .LBB91_76
; %bb.71:                               ;   in Loop: Header=BB91_9 Depth=1
	s_mov_b32 s56, 0
	v_mov_b32_e32 v8, 0
	s_mov_b64 s[30:31], s[34:35]
	s_mov_b64 s[54:55], s[40:41]
	v_mov_b32_e32 v1, v0
.LBB91_72:                              ;   Parent Loop BB91_9 Depth=1
                                        ; =>  This Inner Loop Header: Depth=2
	s_load_dwordx8 s[0:7], s[30:31], 0x4
	s_load_dwordx4 s[16:19], s[30:31], 0x24
	s_load_dwordx4 s[20:23], s[54:55], 0x0
	s_add_u32 s30, s30, 48
	s_addc_u32 s31, s31, 0
	s_waitcnt lgkmcnt(0)
	v_mul_hi_u32 v2, s1, v1
	v_add_u32_e32 v2, v1, v2
	v_lshrrev_b32_e32 v2, s2, v2
	v_mul_lo_u32 v7, v2, s0
	v_mul_hi_u32 v9, s4, v2
	v_sub_u32_e32 v1, v1, v7
	v_add_u32_e32 v7, v2, v9
	v_lshrrev_b32_e32 v7, s5, v7
	v_mul_lo_u32 v9, v7, s3
	v_mul_hi_u32 v10, s7, v7
	v_sub_u32_e32 v2, v2, v9
	v_add_u32_e32 v9, v7, v10
	v_mul_lo_u32 v1, v1, s20
	v_mul_lo_u32 v2, v2, s21
	v_lshrrev_b32_e32 v9, s16, v9
	v_add3_u32 v2, v1, v8, v2
	v_mul_lo_u32 v1, v9, s6
	v_mul_hi_u32 v8, s18, v9
	v_sub_u32_e32 v1, v7, v1
	v_add_u32_e32 v7, v9, v8
	v_mul_lo_u32 v8, v1, s22
	v_lshrrev_b32_e32 v1, s19, v7
	s_add_i32 s56, s56, 4
	v_mul_lo_u32 v7, v1, s17
	s_add_u32 s54, s54, 16
	v_sub_u32_e32 v7, v9, v7
	s_addc_u32 s55, s55, 0
	v_mul_lo_u32 v7, v7, s23
	s_cmp_eq_u32 s65, s56
	v_add3_u32 v8, v8, v2, v7
	s_cbranch_scc0 .LBB91_72
; %bb.73:                               ;   in Loop: Header=BB91_9 Depth=1
	s_mov_b32 s2, s65
	s_andn2_b64 vcc, exec, s[52:53]
	s_cbranch_vccz .LBB91_77
	s_branch .LBB91_79
.LBB91_74:                              ;   in Loop: Header=BB91_9 Depth=1
                                        ; implicit-def: $vgpr8
	s_branch .LBB91_80
.LBB91_75:                              ;   in Loop: Header=BB91_9 Depth=1
	v_mov_b32_e32 v8, 0
	s_branch .LBB91_79
.LBB91_76:                              ;   in Loop: Header=BB91_9 Depth=1
	v_mov_b32_e32 v1, v0
	s_andn2_b64 vcc, exec, s[52:53]
	s_cbranch_vccnz .LBB91_79
.LBB91_77:                              ;   in Loop: Header=BB91_9 Depth=1
	s_lshl_b32 s0, s2, 2
	s_add_u32 s0, s40, s0
	s_addc_u32 s1, s41, 0
	s_mul_i32 s2, s2, 12
	s_add_u32 s2, s34, s2
	s_addc_u32 s3, s35, 0
	s_mov_b32 s4, s64
.LBB91_78:                              ;   Parent Loop BB91_9 Depth=1
                                        ; =>  This Inner Loop Header: Depth=2
	s_load_dwordx2 s[6:7], s[2:3], 0x4
	s_load_dword s5, s[2:3], 0xc
	s_load_dword s16, s[0:1], 0x0
	s_add_u32 s2, s2, 12
	s_addc_u32 s3, s3, 0
	s_waitcnt lgkmcnt(0)
	v_mul_hi_u32 v2, s7, v1
	v_add_u32_e32 v2, v1, v2
	v_lshrrev_b32_e32 v2, s5, v2
	s_add_u32 s0, s0, 4
	v_mul_lo_u32 v7, v2, s6
	s_addc_u32 s1, s1, 0
	s_add_i32 s4, s4, -1
	v_sub_u32_e32 v7, v1, v7
	s_cmp_lg_u32 s4, 0
	v_mov_b32_e32 v1, v2
	v_mad_u64_u32 v[8:9], s[6:7], v7, s16, v[8:9]
	s_cbranch_scc1 .LBB91_78
.LBB91_79:                              ;   in Loop: Header=BB91_9 Depth=1
	s_cbranch_execnz .LBB91_7
.LBB91_80:                              ;   in Loop: Header=BB91_9 Depth=1
	v_mul_hi_u32 v1, v0, s10
	v_add_u32_e32 v1, v1, v0
	v_lshrrev_b32_e32 v1, s11, v1
	v_mul_lo_u32 v2, v1, s9
	v_sub_u32_e32 v0, v0, v2
	s_andn2_b64 vcc, exec, s[42:43]
	s_waitcnt lgkmcnt(0)
	v_mul_lo_u32 v8, v0, s44
	s_cbranch_vccnz .LBB91_7
; %bb.81:                               ;   in Loop: Header=BB91_9 Depth=1
	v_mul_hi_u32 v0, s8, v1
	v_add_u32_e32 v0, v1, v0
	v_lshrrev_b32_e32 v0, s14, v0
	v_mul_lo_u32 v0, v0, s12
	v_sub_u32_e32 v0, v1, v0
	v_mad_u64_u32 v[8:9], s[0:1], v0, s45, v[8:9]
	s_branch .LBB91_7
.LBB91_82:
	s_endpgm
.LBB91_83:
                                        ; implicit-def: $sgpr2_sgpr3
	s_andn2_b64 vcc, exec, s[0:1]
	s_cbranch_vccz .LBB91_4
	s_branch .LBB91_5
	.section	.rodata,"a",@progbits
	.p2align	6, 0x0
	.amdhsa_kernel _ZN2at6native12_GLOBAL__N_143distribution_elementwise_grid_stride_kernelIjLi4EZZZNS0_9templates4cuda13random_kernelIPNS_17CUDAGeneratorImplEEEvRNS_18TensorIteratorBaseET_ENKUlvE_clEvENKUlvE4_clEvEUlP25hiprandStatePhilox4_32_10E0_ZNS1_27distribution_nullary_kernelIdj15HIP_vector_typeIjLj4EES7_SF_ZZZNS5_IS7_EEvS9_SA_ENKSB_clEvENKSC_clEvEUljE_EEvS9_T2_RKT3_T4_EUlijE0_EEvlNS_15PhiloxCudaStateET1_SK_
		.amdhsa_group_segment_fixed_size 0
		.amdhsa_private_segment_fixed_size 0
		.amdhsa_kernarg_size 584
		.amdhsa_user_sgpr_count 6
		.amdhsa_user_sgpr_private_segment_buffer 1
		.amdhsa_user_sgpr_dispatch_ptr 0
		.amdhsa_user_sgpr_queue_ptr 0
		.amdhsa_user_sgpr_kernarg_segment_ptr 1
		.amdhsa_user_sgpr_dispatch_id 0
		.amdhsa_user_sgpr_flat_scratch_init 0
		.amdhsa_user_sgpr_kernarg_preload_length 0
		.amdhsa_user_sgpr_kernarg_preload_offset 0
		.amdhsa_user_sgpr_private_segment_size 0
		.amdhsa_uses_dynamic_stack 0
		.amdhsa_system_sgpr_private_segment_wavefront_offset 0
		.amdhsa_system_sgpr_workgroup_id_x 1
		.amdhsa_system_sgpr_workgroup_id_y 0
		.amdhsa_system_sgpr_workgroup_id_z 0
		.amdhsa_system_sgpr_workgroup_info 0
		.amdhsa_system_vgpr_workitem_id 0
		.amdhsa_next_free_vgpr 41
		.amdhsa_next_free_sgpr 67
		.amdhsa_accum_offset 44
		.amdhsa_reserve_vcc 1
		.amdhsa_reserve_flat_scratch 0
		.amdhsa_float_round_mode_32 0
		.amdhsa_float_round_mode_16_64 0
		.amdhsa_float_denorm_mode_32 3
		.amdhsa_float_denorm_mode_16_64 3
		.amdhsa_dx10_clamp 1
		.amdhsa_ieee_mode 1
		.amdhsa_fp16_overflow 0
		.amdhsa_tg_split 0
		.amdhsa_exception_fp_ieee_invalid_op 0
		.amdhsa_exception_fp_denorm_src 0
		.amdhsa_exception_fp_ieee_div_zero 0
		.amdhsa_exception_fp_ieee_overflow 0
		.amdhsa_exception_fp_ieee_underflow 0
		.amdhsa_exception_fp_ieee_inexact 0
		.amdhsa_exception_int_div_zero 0
	.end_amdhsa_kernel
	.section	.text._ZN2at6native12_GLOBAL__N_143distribution_elementwise_grid_stride_kernelIjLi4EZZZNS0_9templates4cuda13random_kernelIPNS_17CUDAGeneratorImplEEEvRNS_18TensorIteratorBaseET_ENKUlvE_clEvENKUlvE4_clEvEUlP25hiprandStatePhilox4_32_10E0_ZNS1_27distribution_nullary_kernelIdj15HIP_vector_typeIjLj4EES7_SF_ZZZNS5_IS7_EEvS9_SA_ENKSB_clEvENKSC_clEvEUljE_EEvS9_T2_RKT3_T4_EUlijE0_EEvlNS_15PhiloxCudaStateET1_SK_,"axG",@progbits,_ZN2at6native12_GLOBAL__N_143distribution_elementwise_grid_stride_kernelIjLi4EZZZNS0_9templates4cuda13random_kernelIPNS_17CUDAGeneratorImplEEEvRNS_18TensorIteratorBaseET_ENKUlvE_clEvENKUlvE4_clEvEUlP25hiprandStatePhilox4_32_10E0_ZNS1_27distribution_nullary_kernelIdj15HIP_vector_typeIjLj4EES7_SF_ZZZNS5_IS7_EEvS9_SA_ENKSB_clEvENKSC_clEvEUljE_EEvS9_T2_RKT3_T4_EUlijE0_EEvlNS_15PhiloxCudaStateET1_SK_,comdat
.Lfunc_end91:
	.size	_ZN2at6native12_GLOBAL__N_143distribution_elementwise_grid_stride_kernelIjLi4EZZZNS0_9templates4cuda13random_kernelIPNS_17CUDAGeneratorImplEEEvRNS_18TensorIteratorBaseET_ENKUlvE_clEvENKUlvE4_clEvEUlP25hiprandStatePhilox4_32_10E0_ZNS1_27distribution_nullary_kernelIdj15HIP_vector_typeIjLj4EES7_SF_ZZZNS5_IS7_EEvS9_SA_ENKSB_clEvENKSC_clEvEUljE_EEvS9_T2_RKT3_T4_EUlijE0_EEvlNS_15PhiloxCudaStateET1_SK_, .Lfunc_end91-_ZN2at6native12_GLOBAL__N_143distribution_elementwise_grid_stride_kernelIjLi4EZZZNS0_9templates4cuda13random_kernelIPNS_17CUDAGeneratorImplEEEvRNS_18TensorIteratorBaseET_ENKUlvE_clEvENKUlvE4_clEvEUlP25hiprandStatePhilox4_32_10E0_ZNS1_27distribution_nullary_kernelIdj15HIP_vector_typeIjLj4EES7_SF_ZZZNS5_IS7_EEvS9_SA_ENKSB_clEvENKSC_clEvEUljE_EEvS9_T2_RKT3_T4_EUlijE0_EEvlNS_15PhiloxCudaStateET1_SK_
                                        ; -- End function
	.section	.AMDGPU.csdata,"",@progbits
; Kernel info:
; codeLenInByte = 4348
; NumSgprs: 71
; NumVgprs: 41
; NumAgprs: 0
; TotalNumVgprs: 41
; ScratchSize: 0
; MemoryBound: 0
; FloatMode: 240
; IeeeMode: 1
; LDSByteSize: 0 bytes/workgroup (compile time only)
; SGPRBlocks: 8
; VGPRBlocks: 5
; NumSGPRsForWavesPerEU: 71
; NumVGPRsForWavesPerEU: 41
; AccumOffset: 44
; Occupancy: 8
; WaveLimiterHint : 1
; COMPUTE_PGM_RSRC2:SCRATCH_EN: 0
; COMPUTE_PGM_RSRC2:USER_SGPR: 6
; COMPUTE_PGM_RSRC2:TRAP_HANDLER: 0
; COMPUTE_PGM_RSRC2:TGID_X_EN: 1
; COMPUTE_PGM_RSRC2:TGID_Y_EN: 0
; COMPUTE_PGM_RSRC2:TGID_Z_EN: 0
; COMPUTE_PGM_RSRC2:TIDIG_COMP_CNT: 0
; COMPUTE_PGM_RSRC3_GFX90A:ACCUM_OFFSET: 10
; COMPUTE_PGM_RSRC3_GFX90A:TG_SPLIT: 0
	.section	.text._ZN2at6native12_GLOBAL__N_143distribution_elementwise_grid_stride_kernelImLi2EZZZNS0_9templates4cuda13random_kernelIPNS_17CUDAGeneratorImplEEEvRNS_18TensorIteratorBaseET_ENKUlvE_clEvENKUlvE5_clEvEUlP25hiprandStatePhilox4_32_10E_ZNS1_27distribution_nullary_kernelIfm15HIP_vector_typeIyLj2EES7_SF_ZZZNS5_IS7_EEvS9_SA_ENKSB_clEvENKSC_clEvEUlmE_EEvS9_T2_RKT3_T4_EUlimE_EEvlNS_15PhiloxCudaStateET1_SK_,"axG",@progbits,_ZN2at6native12_GLOBAL__N_143distribution_elementwise_grid_stride_kernelImLi2EZZZNS0_9templates4cuda13random_kernelIPNS_17CUDAGeneratorImplEEEvRNS_18TensorIteratorBaseET_ENKUlvE_clEvENKUlvE5_clEvEUlP25hiprandStatePhilox4_32_10E_ZNS1_27distribution_nullary_kernelIfm15HIP_vector_typeIyLj2EES7_SF_ZZZNS5_IS7_EEvS9_SA_ENKSB_clEvENKSC_clEvEUlmE_EEvS9_T2_RKT3_T4_EUlimE_EEvlNS_15PhiloxCudaStateET1_SK_,comdat
	.globl	_ZN2at6native12_GLOBAL__N_143distribution_elementwise_grid_stride_kernelImLi2EZZZNS0_9templates4cuda13random_kernelIPNS_17CUDAGeneratorImplEEEvRNS_18TensorIteratorBaseET_ENKUlvE_clEvENKUlvE5_clEvEUlP25hiprandStatePhilox4_32_10E_ZNS1_27distribution_nullary_kernelIfm15HIP_vector_typeIyLj2EES7_SF_ZZZNS5_IS7_EEvS9_SA_ENKSB_clEvENKSC_clEvEUlmE_EEvS9_T2_RKT3_T4_EUlimE_EEvlNS_15PhiloxCudaStateET1_SK_ ; -- Begin function _ZN2at6native12_GLOBAL__N_143distribution_elementwise_grid_stride_kernelImLi2EZZZNS0_9templates4cuda13random_kernelIPNS_17CUDAGeneratorImplEEEvRNS_18TensorIteratorBaseET_ENKUlvE_clEvENKUlvE5_clEvEUlP25hiprandStatePhilox4_32_10E_ZNS1_27distribution_nullary_kernelIfm15HIP_vector_typeIyLj2EES7_SF_ZZZNS5_IS7_EEvS9_SA_ENKSB_clEvENKSC_clEvEUlmE_EEvS9_T2_RKT3_T4_EUlimE_EEvlNS_15PhiloxCudaStateET1_SK_
	.p2align	8
	.type	_ZN2at6native12_GLOBAL__N_143distribution_elementwise_grid_stride_kernelImLi2EZZZNS0_9templates4cuda13random_kernelIPNS_17CUDAGeneratorImplEEEvRNS_18TensorIteratorBaseET_ENKUlvE_clEvENKUlvE5_clEvEUlP25hiprandStatePhilox4_32_10E_ZNS1_27distribution_nullary_kernelIfm15HIP_vector_typeIyLj2EES7_SF_ZZZNS5_IS7_EEvS9_SA_ENKSB_clEvENKSC_clEvEUlmE_EEvS9_T2_RKT3_T4_EUlimE_EEvlNS_15PhiloxCudaStateET1_SK_,@function
_ZN2at6native12_GLOBAL__N_143distribution_elementwise_grid_stride_kernelImLi2EZZZNS0_9templates4cuda13random_kernelIPNS_17CUDAGeneratorImplEEEvRNS_18TensorIteratorBaseET_ENKUlvE_clEvENKUlvE5_clEvEUlP25hiprandStatePhilox4_32_10E_ZNS1_27distribution_nullary_kernelIfm15HIP_vector_typeIyLj2EES7_SF_ZZZNS5_IS7_EEvS9_SA_ENKSB_clEvENKSC_clEvEUlmE_EEvS9_T2_RKT3_T4_EUlimE_EEvlNS_15PhiloxCudaStateET1_SK_: ; @_ZN2at6native12_GLOBAL__N_143distribution_elementwise_grid_stride_kernelImLi2EZZZNS0_9templates4cuda13random_kernelIPNS_17CUDAGeneratorImplEEEvRNS_18TensorIteratorBaseET_ENKUlvE_clEvENKUlvE5_clEvEUlP25hiprandStatePhilox4_32_10E_ZNS1_27distribution_nullary_kernelIfm15HIP_vector_typeIyLj2EES7_SF_ZZZNS5_IS7_EEvS9_SA_ENKSB_clEvENKSC_clEvEUlmE_EEvS9_T2_RKT3_T4_EUlimE_EEvlNS_15PhiloxCudaStateET1_SK_
; %bb.0:
	s_load_dword s2, s[4:5], 0x20
	s_load_dwordx2 s[0:1], s[4:5], 0x10
	s_load_dwordx4 s[8:11], s[4:5], 0x0
	s_waitcnt lgkmcnt(0)
	s_bitcmp0_b32 s2, 0
	s_mov_b32 s2, 0
	v_pk_mov_b32 v[2:3], s[0:1], s[0:1] op_sel:[0,1]
	v_pk_mov_b32 v[14:15], s[10:11], s[10:11] op_sel:[0,1]
	s_cbranch_scc1 .LBB92_2
; %bb.1:
	v_pk_mov_b32 v[2:3], s[0:1], s[0:1] op_sel:[0,1]
	flat_load_dwordx2 v[2:3], v[2:3]
	v_pk_mov_b32 v[4:5], s[10:11], s[10:11] op_sel:[0,1]
	flat_load_dwordx2 v[14:15], v[4:5]
	s_load_dwordx2 s[0:1], s[4:5], 0x18
	s_waitcnt lgkmcnt(0)
	v_mov_b32_e32 v1, s1
	s_waitcnt vmcnt(0)
	v_add_co_u32_e32 v2, vcc, s0, v2
	v_addc_co_u32_e32 v3, vcc, v3, v1, vcc
.LBB92_2:
	s_load_dword s0, s[4:5], 0x4c
	s_load_dword s18, s[4:5], 0x40
	s_waitcnt lgkmcnt(0)
	s_and_b32 s7, s0, 0xffff
	s_add_u32 s10, s8, -1
	s_mul_i32 s12, s18, s7
	s_addc_u32 s3, s9, -1
	s_lshl_b32 s13, s12, 1
	s_cmp_lg_u64 s[2:3], 0
	s_mov_b64 s[0:1], -1
	s_cbranch_scc0 .LBB92_23
; %bb.3:
	v_cvt_f32_u32_e32 v1, s13
	v_cvt_f32_ubyte0_e32 v4, 0
	s_sub_u32 s2, 0, s13
	s_subb_u32 s11, 0, 0
	v_madmk_f32 v1, v4, 0x4f800000, v1
	v_rcp_f32_e32 v1, v1
	v_mul_f32_e32 v1, 0x5f7ffffc, v1
	v_mul_f32_e32 v4, 0x2f800000, v1
	v_trunc_f32_e32 v4, v4
	v_madmk_f32 v1, v4, 0xcf800000, v1
	v_cvt_u32_f32_e32 v4, v4
	v_cvt_u32_f32_e32 v1, v1
	v_readfirstlane_b32 s14, v4
	v_readfirstlane_b32 s15, v1
	s_mul_i32 s16, s2, s14
	s_mul_hi_u32 s19, s2, s15
	s_mul_i32 s17, s11, s15
	s_add_i32 s16, s19, s16
	s_add_i32 s16, s16, s17
	s_mul_i32 s20, s2, s15
	s_mul_hi_u32 s17, s15, s16
	s_mul_i32 s19, s15, s16
	s_mul_hi_u32 s15, s15, s20
	s_add_u32 s15, s15, s19
	s_addc_u32 s17, 0, s17
	s_mul_hi_u32 s21, s14, s20
	s_mul_i32 s20, s14, s20
	s_add_u32 s15, s15, s20
	s_mul_hi_u32 s19, s14, s16
	s_addc_u32 s15, s17, s21
	s_addc_u32 s17, s19, 0
	s_mul_i32 s16, s14, s16
	s_add_u32 s15, s15, s16
	s_addc_u32 s16, 0, s17
	v_add_co_u32_e32 v1, vcc, s15, v1
	s_cmp_lg_u64 vcc, 0
	s_addc_u32 s14, s14, s16
	v_readfirstlane_b32 s16, v1
	s_mul_i32 s15, s2, s14
	s_mul_hi_u32 s17, s2, s16
	s_add_i32 s15, s17, s15
	s_mul_i32 s11, s11, s16
	s_add_i32 s15, s15, s11
	s_mul_i32 s2, s2, s16
	s_mul_hi_u32 s17, s14, s2
	s_mul_i32 s19, s14, s2
	s_mul_i32 s21, s16, s15
	s_mul_hi_u32 s2, s16, s2
	s_mul_hi_u32 s20, s16, s15
	s_add_u32 s2, s2, s21
	s_addc_u32 s16, 0, s20
	s_add_u32 s2, s2, s19
	s_mul_hi_u32 s11, s14, s15
	s_addc_u32 s2, s16, s17
	s_addc_u32 s11, s11, 0
	s_mul_i32 s15, s14, s15
	s_add_u32 s2, s2, s15
	s_addc_u32 s11, 0, s11
	v_add_co_u32_e32 v1, vcc, s2, v1
	s_cmp_lg_u64 vcc, 0
	s_addc_u32 s11, s14, s11
	s_ashr_i32 s14, s3, 31
	s_add_u32 s2, s10, s14
	s_mov_b32 s15, s14
	s_addc_u32 s3, s3, s14
	s_xor_b64 s[2:3], s[2:3], s[14:15]
	v_readfirstlane_b32 s19, v1
	s_mul_i32 s17, s2, s11
	s_mul_hi_u32 s20, s2, s19
	s_mul_hi_u32 s16, s2, s11
	s_add_u32 s17, s20, s17
	s_addc_u32 s16, 0, s16
	s_mul_hi_u32 s21, s3, s19
	s_mul_i32 s19, s3, s19
	s_add_u32 s17, s17, s19
	s_mul_hi_u32 s20, s3, s11
	s_addc_u32 s16, s16, s21
	s_addc_u32 s17, s20, 0
	s_mul_i32 s11, s3, s11
	s_add_u32 s11, s16, s11
	s_addc_u32 s16, 0, s17
	s_add_u32 s17, s11, 1
	s_addc_u32 s19, s16, 0
	s_add_u32 s20, s11, 2
	s_mul_i32 s22, s13, s16
	s_mul_hi_u32 s23, s13, s11
	s_addc_u32 s21, s16, 0
	s_add_i32 s23, s23, s22
	s_mul_i32 s22, s13, s11
	v_mov_b32_e32 v1, s22
	v_sub_co_u32_e32 v1, vcc, s2, v1
	s_cmp_lg_u64 vcc, 0
	s_subb_u32 s2, s3, s23
	v_subrev_co_u32_e32 v4, vcc, s13, v1
	s_cmp_lg_u64 vcc, 0
	s_subb_u32 s3, s2, 0
	v_readfirstlane_b32 s22, v4
	s_cmp_ge_u32 s22, s13
	s_cselect_b32 s22, -1, 0
	s_cmp_eq_u32 s3, 0
	s_cselect_b32 s3, s22, -1
	s_cmp_lg_u32 s3, 0
	s_cselect_b32 s3, s21, s19
	v_readfirstlane_b32 s19, v1
	s_cselect_b32 s17, s20, s17
	s_cmp_ge_u32 s19, s13
	s_cselect_b32 s19, -1, 0
	s_cmp_eq_u32 s2, 0
	s_cselect_b32 s2, s19, -1
	s_cmp_lg_u32 s2, 0
	s_cselect_b32 s3, s3, s16
	s_cselect_b32 s2, s17, s11
	s_xor_b64 s[2:3], s[2:3], s[14:15]
	s_sub_u32 s2, s2, s14
	s_subb_u32 s3, s3, s14
	s_cbranch_execnz .LBB92_5
.LBB92_4:
	v_cvt_f32_u32_e32 v1, s13
	s_sub_i32 s0, 0, s13
	s_mov_b32 s3, 0
	v_rcp_iflag_f32_e32 v1, v1
	v_mul_f32_e32 v1, 0x4f7ffffe, v1
	v_cvt_u32_f32_e32 v1, v1
	v_readfirstlane_b32 s1, v1
	s_mul_i32 s0, s0, s1
	s_mul_hi_u32 s0, s1, s0
	s_add_i32 s1, s1, s0
	s_mul_hi_u32 s0, s10, s1
	s_mul_i32 s2, s0, s13
	s_sub_i32 s2, s10, s2
	s_add_i32 s1, s0, 1
	s_sub_i32 s10, s2, s13
	s_cmp_ge_u32 s2, s13
	s_cselect_b32 s0, s1, s0
	s_cselect_b32 s2, s10, s2
	s_add_i32 s1, s0, 1
	s_cmp_ge_u32 s2, s13
	s_cselect_b32 s2, s1, s0
.LBB92_5:
	v_mov_b32_e32 v1, 0
	v_mov_b32_e32 v4, s6
	v_mad_u64_u32 v[16:17], s[0:1], s7, v4, v[0:1]
	s_add_u32 s0, s2, 1
	s_addc_u32 s1, s3, 0
	s_mul_hi_u32 s2, s18, s7
	s_mul_i32 s1, s12, s1
	s_mul_hi_u32 s3, s12, s0
	s_add_i32 s1, s3, s1
	s_mul_i32 s2, s2, s0
	s_add_i32 s1, s1, s2
	s_mul_i32 s0, s12, s0
	s_lshl_b64 s[2:3], s[0:1], 1
	v_cmp_gt_i64_e32 vcc, s[2:3], v[16:17]
	s_and_saveexec_b64 s[0:1], vcc
	s_cbranch_execz .LBB92_22
; %bb.6:
	s_mov_b32 s0, 0x5384540f
	v_mov_b32_e32 v4, v15
	v_add_co_u32_e32 v22, vcc, s0, v14
	s_mov_b32 s0, 0x646e171e
	v_add_co_u32_e32 v23, vcc, s0, v4
	s_mov_b32 s0, 0x1715609d
	;; [unrolled: 2-line block ×6, first 2 shown]
	v_alignbit_b32 v29, v3, v2, 2
	s_mov_b32 s15, 0xd2511f53
	v_add_co_u32_e32 v28, vcc, s0, v14
	v_mad_u64_u32 v[6:7], s[0:1], v29, s15, 0
	v_xor_b32_e32 v1, v7, v15
	v_xor_b32_e32 v1, v1, v17
	s_mov_b32 s16, 0xcd9e8d57
	v_mad_u64_u32 v[8:9], s[0:1], v1, s16, 0
	v_xor_b32_e32 v1, v28, v9
	v_mad_u64_u32 v[10:11], s[0:1], v16, s16, 0
	v_and_b32_e32 v18, 3, v2
	v_xor_b32_e32 v1, v1, v10
	v_xor_b32_e32 v2, v14, v11
	v_lshrrev_b32_e32 v30, 2, v3
	v_mad_u64_u32 v[12:13], s[0:1], v1, s15, 0
	v_xor_b32_e32 v2, v2, v30
	v_xor_b32_e32 v1, v27, v13
	v_mad_u64_u32 v[2:3], s[0:1], v2, s15, 0
	v_xor_b32_e32 v1, v1, v2
	v_mad_u64_u32 v[10:11], s[0:1], v1, s16, 0
	s_mov_b32 s0, 0xbb67ae85
	v_add_co_u32_e32 v31, vcc, s0, v4
	v_xor_b32_e32 v2, v31, v3
	v_xor_b32_e32 v2, v2, v6
	v_xor_b32_e32 v1, v26, v11
	v_mad_u64_u32 v[2:3], s[0:1], v2, s16, 0
	v_xor_b32_e32 v1, v1, v2
	v_mad_u64_u32 v[6:7], s[0:1], v1, s15, 0
	s_mov_b32 s0, 0x3c6ef372
	v_add_co_u32_e32 v32, vcc, s0, v14
	v_xor_b32_e32 v2, v32, v3
	;; [unrolled: 8-line block ×6, first 2 shown]
	v_add_co_u32_e32 v21, vcc, 0xdb3d7428, v4
	v_xor_b32_e32 v2, v2, v8
	v_xor_b32_e32 v1, v21, v7
	v_mad_u64_u32 v[2:3], s[0:1], v2, s15, 0
	v_xor_b32_e32 v1, v1, v2
	v_mad_u64_u32 v[8:9], s[0:1], v1, s16, 0
	s_mov_b32 s0, 0x1fd5c5a3
	v_add_co_u32_e32 v37, vcc, s0, v4
	v_xor_b32_e32 v1, v37, v3
	v_xor_b32_e32 v1, v1, v12
	v_mad_u64_u32 v[2:3], s[0:1], v1, s16, 0
	s_mov_b32 s0, 0xf1bbcdc8
	s_load_dwordx2 s[10:11], s[4:5], 0x30
	s_load_dword s19, s[4:5], 0x38
	v_add_u32_e32 v19, 0x8ff34781, v14
	v_xor_b32_e32 v1, v9, v2
	v_add_co_u32_e32 v38, vcc, s0, v14
	v_xor_b32_e32 v2, v19, v1
	v_xor_b32_e32 v1, v38, v3
	;; [unrolled: 1-line block ×3, first 2 shown]
	v_mad_u64_u32 v[10:11], s[0:1], v1, s15, 0
	v_add_u32_e32 v20, 0x96a522ad, v15
	v_xor_b32_e32 v1, v11, v6
	s_mul_i32 s0, s6, s7
	v_xor_b32_e32 v4, v20, v1
	v_add_u32_e32 v1, s0, v0
	s_waitcnt lgkmcnt(0)
	s_mul_i32 s0, s18, s19
	s_mul_i32 s0, s0, s7
	s_lshl_b32 s17, s0, 1
	s_add_i32 s0, s6, s18
	s_mul_i32 s0, s0, s7
	s_mov_b32 s14, 0
	v_add_u32_e32 v0, s0, v0
	v_mov_b32_e32 v3, v8
	v_mov_b32_e32 v5, v10
	v_mul_lo_u32 v39, s19, v1
	v_mul_lo_u32 v40, s19, v0
	s_mov_b64 s[4:5], 0
	s_mov_b32 s18, 0x1000001
	s_mov_b32 s19, 0x1000000
	;; [unrolled: 1-line block ×3, first 2 shown]
	v_mov_b32_e32 v41, 0xfffc0000
	s_mov_b32 s21, s14
	v_mov_b32_e32 v42, v16
	v_mov_b32_e32 v43, v17
	s_branch .LBB92_8
.LBB92_7:                               ;   in Loop: Header=BB92_8 Depth=1
	s_or_b64 exec, exec, s[6:7]
	v_add_co_u32_e32 v16, vcc, s13, v16
	v_addc_co_u32_e32 v17, vcc, 0, v17, vcc
	v_mov_b32_e32 v9, v0
	s_add_i32 s21, s21, s17
	v_cmp_le_i64_e32 vcc, s[2:3], v[16:17]
	v_pk_mov_b32 v[2:3], v[6:7], v[6:7] op_sel:[0,1]
	s_or_b64 s[4:5], vcc, s[4:5]
	v_pk_mov_b32 v[4:5], v[8:9], v[8:9] op_sel:[0,1]
	s_barrier
	s_andn2_b64 exec, exec, s[4:5]
	s_cbranch_execz .LBB92_22
.LBB92_8:                               ; =>This Inner Loop Header: Depth=1
	v_add_co_u32_e32 v29, vcc, 1, v29
	v_cndmask_b32_e64 v0, 0, 1, vcc
	v_addc_co_u32_e32 v30, vcc, 0, v30, vcc
	v_cmp_eq_u32_e32 vcc, 0, v30
	v_cndmask_b32_e32 v0, 0, v0, vcc
	v_add_u32_e32 v42, v0, v42
	v_cmp_eq_u32_e32 vcc, 0, v42
	v_cndmask_b32_e32 v0, 0, v0, vcc
	v_add_u32_e32 v43, v0, v43
	v_mad_u64_u32 v[0:1], s[0:1], v29, s15, 0
	v_mad_u64_u32 v[6:7], s[0:1], v42, s16, 0
	v_xor_b32_e32 v1, v1, v15
	v_xor_b32_e32 v7, v7, v14
	v_xor_b32_e32 v1, v43, v1
	v_xor_b32_e32 v7, v30, v7
	v_mad_u64_u32 v[10:11], s[0:1], v1, s16, 0
	v_mad_u64_u32 v[8:9], s[0:1], v7, s15, 0
	v_xor_b32_e32 v1, v28, v11
	v_xor_b32_e32 v1, v1, v6
	v_xor_b32_e32 v6, v31, v9
	v_xor_b32_e32 v6, v6, v0
	;; [unrolled: 6-line block ×10, first 2 shown]
	v_mov_b32_e32 v7, v12
	v_mov_b32_e32 v8, v13
	v_cmp_lt_i32_e32 vcc, 1, v18
	s_and_saveexec_b64 s[0:1], vcc
	s_xor_b64 s[0:1], exec, s[0:1]
	s_cbranch_execnz .LBB92_14
; %bb.9:                                ;   in Loop: Header=BB92_8 Depth=1
	s_andn2_saveexec_b64 s[0:1], s[0:1]
	s_cbranch_execnz .LBB92_19
.LBB92_10:                              ;   in Loop: Header=BB92_8 Depth=1
	s_or_b64 exec, exec, s[0:1]
	v_cmp_gt_i64_e32 vcc, s[8:9], v[16:17]
	s_and_saveexec_b64 s[6:7], vcc
	s_cbranch_execz .LBB92_12
.LBB92_11:                              ;   in Loop: Header=BB92_8 Depth=1
	s_add_u32 s0, 0x2ff, s20
	s_addc_u32 s1, 0, 0
	v_add_co_u32_e32 v10, vcc, s0, v41
	s_cmp_lg_u64 vcc, 0
	v_readfirstlane_b32 s22, v10
	s_addc_u32 s0, s1, 0xff
	s_mul_hi_u32 s23, s22, 0xfeffffff
	s_mul_i32 s1, s0, 0xfeffffff
	s_sub_i32 s23, s23, s22
	s_add_i32 s23, s23, s1
	s_mul_i32 s25, s22, 0xfeffffff
	s_mul_hi_u32 s1, s22, s23
	s_mul_i32 s24, s22, s23
	s_mul_hi_u32 s22, s22, s25
	s_add_u32 s22, s22, s24
	s_addc_u32 s1, 0, s1
	s_mul_hi_u32 s26, s0, s25
	s_mul_i32 s25, s0, s25
	s_add_u32 s22, s22, s25
	s_mul_hi_u32 s24, s0, s23
	s_addc_u32 s1, s1, s26
	s_addc_u32 s22, s24, 0
	s_mul_i32 s23, s0, s23
	s_add_u32 s1, s1, s23
	s_addc_u32 s22, 0, s22
	v_add_co_u32_e32 v12, vcc, s1, v10
	s_cmp_lg_u64 vcc, 0
	s_addc_u32 s22, s0, s22
	v_mad_u64_u32 v[10:11], s[0:1], v3, s22, 0
	v_mul_hi_u32 v13, v3, v12
	v_add_co_u32_e32 v45, vcc, v13, v10
	v_addc_co_u32_e32 v46, vcc, 0, v11, vcc
	v_mad_u64_u32 v[12:13], s[0:1], v2, v12, 0
	v_add_co_u32_e32 v12, vcc, v45, v12
	v_mad_u64_u32 v[10:11], s[0:1], v2, s22, 0
	v_addc_co_u32_e32 v12, vcc, v46, v13, vcc
	v_addc_co_u32_e32 v11, vcc, 0, v11, vcc
	v_add_co_u32_e32 v10, vcc, v12, v10
	v_addc_co_u32_e32 v13, vcc, 0, v11, vcc
	v_mad_u64_u32 v[10:11], s[0:1], v10, s18, 0
	v_mov_b32_e32 v12, v11
	v_mad_u64_u32 v[12:13], s[0:1], v13, s18, v[12:13]
	v_sub_co_u32_e32 v10, vcc, v3, v10
	v_subb_co_u32_e32 v2, vcc, v2, v12, vcc
	v_subrev_co_u32_e32 v11, vcc, s18, v10
	v_subbrev_co_u32_e32 v3, vcc, 0, v2, vcc
	v_subrev_co_u32_e32 v12, vcc, s18, v11
	v_subbrev_co_u32_e32 v13, vcc, 0, v3, vcc
	v_cmp_lt_u32_e32 vcc, s19, v11
	v_cndmask_b32_e64 v45, 0, -1, vcc
	v_cmp_eq_u32_e32 vcc, 0, v3
	v_cndmask_b32_e32 v45, -1, v45, vcc
	v_cmp_ne_u32_e32 vcc, 0, v45
	v_cmp_lt_u32_e64 s[0:1], s19, v10
	v_cndmask_b32_e32 v3, v3, v13, vcc
	v_cndmask_b32_e64 v13, 0, -1, s[0:1]
	v_cmp_eq_u32_e64 s[0:1], 0, v2
	v_cndmask_b32_e64 v13, -1, v13, s[0:1]
	v_cmp_ne_u32_e64 s[0:1], 0, v13
	v_cndmask_b32_e64 v3, v2, v3, s[0:1]
	v_cndmask_b32_e32 v2, v11, v12, vcc
	v_cndmask_b32_e64 v2, v10, v2, s[0:1]
	v_ffbh_u32_e32 v10, v3
	v_min_u32_e32 v10, 32, v10
	v_lshlrev_b64 v[2:3], v10, v[2:3]
	v_min_u32_e32 v2, 1, v2
	v_or_b32_e32 v2, v3, v2
	v_cvt_f32_u32_e32 v11, v2
	v_add_u32_e32 v1, s21, v39
	v_ashrrev_i32_e32 v9, 31, v1
	v_mov_b32_e32 v44, s11
	v_add_co_u32_e32 v2, vcc, s10, v1
	v_sub_u32_e32 v1, 32, v10
	v_addc_co_u32_e32 v3, vcc, v44, v9, vcc
	v_ldexp_f32 v1, v11, v1
	global_store_dword v[2:3], v1, off
.LBB92_12:                              ;   in Loop: Header=BB92_8 Depth=1
	s_or_b64 exec, exec, s[6:7]
	v_mov_b32_e32 v1, s14
	v_add_co_u32_e32 v2, vcc, s12, v16
	v_addc_co_u32_e32 v3, vcc, v1, v17, vcc
	v_cmp_gt_i64_e32 vcc, s[8:9], v[2:3]
	s_and_saveexec_b64 s[6:7], vcc
	s_cbranch_execz .LBB92_7
; %bb.13:                               ;   in Loop: Header=BB92_8 Depth=1
	s_add_u32 s0, 0x2ff, s20
	s_addc_u32 s1, 0, 0
	v_add_co_u32_e32 v2, vcc, s0, v41
	s_cmp_lg_u64 vcc, 0
	v_readfirstlane_b32 s22, v2
	s_addc_u32 s0, s1, 0xff
	s_mul_hi_u32 s23, s22, 0xfeffffff
	s_mul_i32 s1, s0, 0xfeffffff
	s_sub_i32 s23, s23, s22
	s_add_i32 s23, s23, s1
	s_mul_i32 s25, s22, 0xfeffffff
	s_mul_hi_u32 s1, s22, s23
	s_mul_i32 s24, s22, s23
	s_mul_hi_u32 s22, s22, s25
	s_add_u32 s22, s22, s24
	s_addc_u32 s1, 0, s1
	s_mul_hi_u32 s26, s0, s25
	s_mul_i32 s25, s0, s25
	s_add_u32 s22, s22, s25
	s_mul_hi_u32 s24, s0, s23
	s_addc_u32 s1, s1, s26
	s_addc_u32 s22, s24, 0
	s_mul_i32 s23, s0, s23
	s_add_u32 s1, s1, s23
	s_addc_u32 s22, 0, s22
	v_add_co_u32_e32 v10, vcc, s1, v2
	s_cmp_lg_u64 vcc, 0
	s_addc_u32 s22, s0, s22
	v_mad_u64_u32 v[2:3], s[0:1], v5, s22, 0
	v_mul_hi_u32 v11, v5, v10
	v_add_co_u32_e32 v13, vcc, v11, v2
	v_addc_co_u32_e32 v44, vcc, 0, v3, vcc
	v_mad_u64_u32 v[10:11], s[0:1], v4, v10, 0
	v_add_co_u32_e32 v10, vcc, v13, v10
	v_mad_u64_u32 v[2:3], s[0:1], v4, s22, 0
	v_addc_co_u32_e32 v10, vcc, v44, v11, vcc
	v_addc_co_u32_e32 v3, vcc, 0, v3, vcc
	v_add_co_u32_e32 v2, vcc, v10, v2
	v_addc_co_u32_e32 v11, vcc, 0, v3, vcc
	v_mad_u64_u32 v[2:3], s[0:1], v2, s18, 0
	v_mov_b32_e32 v10, v3
	v_mad_u64_u32 v[10:11], s[0:1], v11, s18, v[10:11]
	v_sub_co_u32_e32 v2, vcc, v5, v2
	v_subb_co_u32_e32 v3, vcc, v4, v10, vcc
	v_subrev_co_u32_e32 v4, vcc, s18, v2
	v_subbrev_co_u32_e32 v5, vcc, 0, v3, vcc
	v_subrev_co_u32_e32 v10, vcc, s18, v4
	v_subbrev_co_u32_e32 v11, vcc, 0, v5, vcc
	v_cmp_lt_u32_e32 vcc, s19, v4
	v_cndmask_b32_e64 v13, 0, -1, vcc
	v_cmp_eq_u32_e32 vcc, 0, v5
	v_cndmask_b32_e32 v13, -1, v13, vcc
	v_cmp_ne_u32_e32 vcc, 0, v13
	v_cmp_lt_u32_e64 s[0:1], s19, v2
	v_cndmask_b32_e32 v5, v5, v11, vcc
	v_cndmask_b32_e64 v11, 0, -1, s[0:1]
	v_cmp_eq_u32_e64 s[0:1], 0, v3
	v_cndmask_b32_e64 v11, -1, v11, s[0:1]
	v_cmp_ne_u32_e64 s[0:1], 0, v11
	v_cndmask_b32_e64 v3, v3, v5, s[0:1]
	v_cndmask_b32_e32 v4, v4, v10, vcc
	v_cndmask_b32_e64 v2, v2, v4, s[0:1]
	v_ffbh_u32_e32 v4, v3
	v_min_u32_e32 v4, 32, v4
	v_lshlrev_b64 v[2:3], v4, v[2:3]
	v_min_u32_e32 v2, 1, v2
	v_or_b32_e32 v2, v3, v2
	v_cvt_f32_u32_e32 v5, v2
	v_add_u32_e32 v1, s21, v40
	v_ashrrev_i32_e32 v9, 31, v1
	v_mov_b32_e32 v12, s11
	v_add_co_u32_e32 v2, vcc, s10, v1
	v_sub_u32_e32 v1, 32, v4
	v_addc_co_u32_e32 v3, vcc, v12, v9, vcc
	v_ldexp_f32 v1, v5, v1
	global_store_dword v[2:3], v1, off
	s_branch .LBB92_7
.LBB92_14:                              ;   in Loop: Header=BB92_8 Depth=1
	v_cmp_lt_i32_e32 vcc, 2, v18
	s_and_saveexec_b64 s[6:7], vcc
	s_xor_b64 s[6:7], exec, s[6:7]
; %bb.15:                               ;   in Loop: Header=BB92_8 Depth=1
	v_mov_b32_e32 v10, v5
	v_mov_b32_e32 v11, v6
	v_pk_mov_b32 v[2:3], v[10:11], v[10:11] op_sel:[0,1]
	v_pk_mov_b32 v[4:5], v[12:13], v[12:13] op_sel:[0,1]
                                        ; implicit-def: $vgpr12_vgpr13
; %bb.16:                               ;   in Loop: Header=BB92_8 Depth=1
	s_andn2_saveexec_b64 s[6:7], s[6:7]
; %bb.17:                               ;   in Loop: Header=BB92_8 Depth=1
	v_mov_b32_e32 v2, v4
	v_mov_b32_e32 v3, v5
	v_mov_b32_e32 v4, v6
	v_mov_b32_e32 v5, v12
; %bb.18:                               ;   in Loop: Header=BB92_8 Depth=1
	s_or_b64 exec, exec, s[6:7]
	s_andn2_saveexec_b64 s[0:1], s[0:1]
	s_cbranch_execz .LBB92_10
.LBB92_19:                              ;   in Loop: Header=BB92_8 Depth=1
	v_cmp_eq_u32_e32 vcc, 1, v18
	s_and_saveexec_b64 s[6:7], vcc
; %bb.20:                               ;   in Loop: Header=BB92_8 Depth=1
	v_mov_b32_e32 v2, v3
	v_mov_b32_e32 v3, v4
	v_mov_b32_e32 v4, v5
	v_mov_b32_e32 v5, v6
; %bb.21:                               ;   in Loop: Header=BB92_8 Depth=1
	s_or_b64 exec, exec, s[6:7]
	s_or_b64 exec, exec, s[0:1]
	v_cmp_gt_i64_e32 vcc, s[8:9], v[16:17]
	s_and_saveexec_b64 s[6:7], vcc
	s_cbranch_execnz .LBB92_11
	s_branch .LBB92_12
.LBB92_22:
	s_endpgm
.LBB92_23:
                                        ; implicit-def: $sgpr2_sgpr3
	s_andn2_b64 vcc, exec, s[0:1]
	s_cbranch_vccz .LBB92_4
	s_branch .LBB92_5
	.section	.rodata,"a",@progbits
	.p2align	6, 0x0
	.amdhsa_kernel _ZN2at6native12_GLOBAL__N_143distribution_elementwise_grid_stride_kernelImLi2EZZZNS0_9templates4cuda13random_kernelIPNS_17CUDAGeneratorImplEEEvRNS_18TensorIteratorBaseET_ENKUlvE_clEvENKUlvE5_clEvEUlP25hiprandStatePhilox4_32_10E_ZNS1_27distribution_nullary_kernelIfm15HIP_vector_typeIyLj2EES7_SF_ZZZNS5_IS7_EEvS9_SA_ENKSB_clEvENKSC_clEvEUlmE_EEvS9_T2_RKT3_T4_EUlimE_EEvlNS_15PhiloxCudaStateET1_SK_
		.amdhsa_group_segment_fixed_size 0
		.amdhsa_private_segment_fixed_size 0
		.amdhsa_kernarg_size 320
		.amdhsa_user_sgpr_count 6
		.amdhsa_user_sgpr_private_segment_buffer 1
		.amdhsa_user_sgpr_dispatch_ptr 0
		.amdhsa_user_sgpr_queue_ptr 0
		.amdhsa_user_sgpr_kernarg_segment_ptr 1
		.amdhsa_user_sgpr_dispatch_id 0
		.amdhsa_user_sgpr_flat_scratch_init 0
		.amdhsa_user_sgpr_kernarg_preload_length 0
		.amdhsa_user_sgpr_kernarg_preload_offset 0
		.amdhsa_user_sgpr_private_segment_size 0
		.amdhsa_uses_dynamic_stack 0
		.amdhsa_system_sgpr_private_segment_wavefront_offset 0
		.amdhsa_system_sgpr_workgroup_id_x 1
		.amdhsa_system_sgpr_workgroup_id_y 0
		.amdhsa_system_sgpr_workgroup_id_z 0
		.amdhsa_system_sgpr_workgroup_info 0
		.amdhsa_system_vgpr_workitem_id 0
		.amdhsa_next_free_vgpr 47
		.amdhsa_next_free_sgpr 27
		.amdhsa_accum_offset 48
		.amdhsa_reserve_vcc 1
		.amdhsa_reserve_flat_scratch 0
		.amdhsa_float_round_mode_32 0
		.amdhsa_float_round_mode_16_64 0
		.amdhsa_float_denorm_mode_32 3
		.amdhsa_float_denorm_mode_16_64 3
		.amdhsa_dx10_clamp 1
		.amdhsa_ieee_mode 1
		.amdhsa_fp16_overflow 0
		.amdhsa_tg_split 0
		.amdhsa_exception_fp_ieee_invalid_op 0
		.amdhsa_exception_fp_denorm_src 0
		.amdhsa_exception_fp_ieee_div_zero 0
		.amdhsa_exception_fp_ieee_overflow 0
		.amdhsa_exception_fp_ieee_underflow 0
		.amdhsa_exception_fp_ieee_inexact 0
		.amdhsa_exception_int_div_zero 0
	.end_amdhsa_kernel
	.section	.text._ZN2at6native12_GLOBAL__N_143distribution_elementwise_grid_stride_kernelImLi2EZZZNS0_9templates4cuda13random_kernelIPNS_17CUDAGeneratorImplEEEvRNS_18TensorIteratorBaseET_ENKUlvE_clEvENKUlvE5_clEvEUlP25hiprandStatePhilox4_32_10E_ZNS1_27distribution_nullary_kernelIfm15HIP_vector_typeIyLj2EES7_SF_ZZZNS5_IS7_EEvS9_SA_ENKSB_clEvENKSC_clEvEUlmE_EEvS9_T2_RKT3_T4_EUlimE_EEvlNS_15PhiloxCudaStateET1_SK_,"axG",@progbits,_ZN2at6native12_GLOBAL__N_143distribution_elementwise_grid_stride_kernelImLi2EZZZNS0_9templates4cuda13random_kernelIPNS_17CUDAGeneratorImplEEEvRNS_18TensorIteratorBaseET_ENKUlvE_clEvENKUlvE5_clEvEUlP25hiprandStatePhilox4_32_10E_ZNS1_27distribution_nullary_kernelIfm15HIP_vector_typeIyLj2EES7_SF_ZZZNS5_IS7_EEvS9_SA_ENKSB_clEvENKSC_clEvEUlmE_EEvS9_T2_RKT3_T4_EUlimE_EEvlNS_15PhiloxCudaStateET1_SK_,comdat
.Lfunc_end92:
	.size	_ZN2at6native12_GLOBAL__N_143distribution_elementwise_grid_stride_kernelImLi2EZZZNS0_9templates4cuda13random_kernelIPNS_17CUDAGeneratorImplEEEvRNS_18TensorIteratorBaseET_ENKUlvE_clEvENKUlvE5_clEvEUlP25hiprandStatePhilox4_32_10E_ZNS1_27distribution_nullary_kernelIfm15HIP_vector_typeIyLj2EES7_SF_ZZZNS5_IS7_EEvS9_SA_ENKSB_clEvENKSC_clEvEUlmE_EEvS9_T2_RKT3_T4_EUlimE_EEvlNS_15PhiloxCudaStateET1_SK_, .Lfunc_end92-_ZN2at6native12_GLOBAL__N_143distribution_elementwise_grid_stride_kernelImLi2EZZZNS0_9templates4cuda13random_kernelIPNS_17CUDAGeneratorImplEEEvRNS_18TensorIteratorBaseET_ENKUlvE_clEvENKUlvE5_clEvEUlP25hiprandStatePhilox4_32_10E_ZNS1_27distribution_nullary_kernelIfm15HIP_vector_typeIyLj2EES7_SF_ZZZNS5_IS7_EEvS9_SA_ENKSB_clEvENKSC_clEvEUlmE_EEvS9_T2_RKT3_T4_EUlimE_EEvlNS_15PhiloxCudaStateET1_SK_
                                        ; -- End function
	.section	.AMDGPU.csdata,"",@progbits
; Kernel info:
; codeLenInByte = 2920
; NumSgprs: 31
; NumVgprs: 47
; NumAgprs: 0
; TotalNumVgprs: 47
; ScratchSize: 0
; MemoryBound: 0
; FloatMode: 240
; IeeeMode: 1
; LDSByteSize: 0 bytes/workgroup (compile time only)
; SGPRBlocks: 3
; VGPRBlocks: 5
; NumSGPRsForWavesPerEU: 31
; NumVGPRsForWavesPerEU: 47
; AccumOffset: 48
; Occupancy: 8
; WaveLimiterHint : 0
; COMPUTE_PGM_RSRC2:SCRATCH_EN: 0
; COMPUTE_PGM_RSRC2:USER_SGPR: 6
; COMPUTE_PGM_RSRC2:TRAP_HANDLER: 0
; COMPUTE_PGM_RSRC2:TGID_X_EN: 1
; COMPUTE_PGM_RSRC2:TGID_Y_EN: 0
; COMPUTE_PGM_RSRC2:TGID_Z_EN: 0
; COMPUTE_PGM_RSRC2:TIDIG_COMP_CNT: 0
; COMPUTE_PGM_RSRC3_GFX90A:ACCUM_OFFSET: 11
; COMPUTE_PGM_RSRC3_GFX90A:TG_SPLIT: 0
	.section	.text._ZN2at6native12_GLOBAL__N_143distribution_elementwise_grid_stride_kernelImLi2EZZZNS0_9templates4cuda13random_kernelIPNS_17CUDAGeneratorImplEEEvRNS_18TensorIteratorBaseET_ENKUlvE_clEvENKUlvE5_clEvEUlP25hiprandStatePhilox4_32_10E_ZNS1_27distribution_nullary_kernelIfm15HIP_vector_typeIyLj2EES7_SF_ZZZNS5_IS7_EEvS9_SA_ENKSB_clEvENKSC_clEvEUlmE_EEvS9_T2_RKT3_T4_EUlimE0_EEvlNS_15PhiloxCudaStateET1_SK_,"axG",@progbits,_ZN2at6native12_GLOBAL__N_143distribution_elementwise_grid_stride_kernelImLi2EZZZNS0_9templates4cuda13random_kernelIPNS_17CUDAGeneratorImplEEEvRNS_18TensorIteratorBaseET_ENKUlvE_clEvENKUlvE5_clEvEUlP25hiprandStatePhilox4_32_10E_ZNS1_27distribution_nullary_kernelIfm15HIP_vector_typeIyLj2EES7_SF_ZZZNS5_IS7_EEvS9_SA_ENKSB_clEvENKSC_clEvEUlmE_EEvS9_T2_RKT3_T4_EUlimE0_EEvlNS_15PhiloxCudaStateET1_SK_,comdat
	.globl	_ZN2at6native12_GLOBAL__N_143distribution_elementwise_grid_stride_kernelImLi2EZZZNS0_9templates4cuda13random_kernelIPNS_17CUDAGeneratorImplEEEvRNS_18TensorIteratorBaseET_ENKUlvE_clEvENKUlvE5_clEvEUlP25hiprandStatePhilox4_32_10E_ZNS1_27distribution_nullary_kernelIfm15HIP_vector_typeIyLj2EES7_SF_ZZZNS5_IS7_EEvS9_SA_ENKSB_clEvENKSC_clEvEUlmE_EEvS9_T2_RKT3_T4_EUlimE0_EEvlNS_15PhiloxCudaStateET1_SK_ ; -- Begin function _ZN2at6native12_GLOBAL__N_143distribution_elementwise_grid_stride_kernelImLi2EZZZNS0_9templates4cuda13random_kernelIPNS_17CUDAGeneratorImplEEEvRNS_18TensorIteratorBaseET_ENKUlvE_clEvENKUlvE5_clEvEUlP25hiprandStatePhilox4_32_10E_ZNS1_27distribution_nullary_kernelIfm15HIP_vector_typeIyLj2EES7_SF_ZZZNS5_IS7_EEvS9_SA_ENKSB_clEvENKSC_clEvEUlmE_EEvS9_T2_RKT3_T4_EUlimE0_EEvlNS_15PhiloxCudaStateET1_SK_
	.p2align	8
	.type	_ZN2at6native12_GLOBAL__N_143distribution_elementwise_grid_stride_kernelImLi2EZZZNS0_9templates4cuda13random_kernelIPNS_17CUDAGeneratorImplEEEvRNS_18TensorIteratorBaseET_ENKUlvE_clEvENKUlvE5_clEvEUlP25hiprandStatePhilox4_32_10E_ZNS1_27distribution_nullary_kernelIfm15HIP_vector_typeIyLj2EES7_SF_ZZZNS5_IS7_EEvS9_SA_ENKSB_clEvENKSC_clEvEUlmE_EEvS9_T2_RKT3_T4_EUlimE0_EEvlNS_15PhiloxCudaStateET1_SK_,@function
_ZN2at6native12_GLOBAL__N_143distribution_elementwise_grid_stride_kernelImLi2EZZZNS0_9templates4cuda13random_kernelIPNS_17CUDAGeneratorImplEEEvRNS_18TensorIteratorBaseET_ENKUlvE_clEvENKUlvE5_clEvEUlP25hiprandStatePhilox4_32_10E_ZNS1_27distribution_nullary_kernelIfm15HIP_vector_typeIyLj2EES7_SF_ZZZNS5_IS7_EEvS9_SA_ENKSB_clEvENKSC_clEvEUlmE_EEvS9_T2_RKT3_T4_EUlimE0_EEvlNS_15PhiloxCudaStateET1_SK_: ; @_ZN2at6native12_GLOBAL__N_143distribution_elementwise_grid_stride_kernelImLi2EZZZNS0_9templates4cuda13random_kernelIPNS_17CUDAGeneratorImplEEEvRNS_18TensorIteratorBaseET_ENKUlvE_clEvENKUlvE5_clEvEUlP25hiprandStatePhilox4_32_10E_ZNS1_27distribution_nullary_kernelIfm15HIP_vector_typeIyLj2EES7_SF_ZZZNS5_IS7_EEvS9_SA_ENKSB_clEvENKSC_clEvEUlmE_EEvS9_T2_RKT3_T4_EUlimE0_EEvlNS_15PhiloxCudaStateET1_SK_
; %bb.0:
	s_load_dword s2, s[4:5], 0x20
	s_load_dwordx2 s[0:1], s[4:5], 0x10
	s_load_dwordx4 s[24:27], s[4:5], 0x0
	s_waitcnt lgkmcnt(0)
	s_bitcmp0_b32 s2, 0
	s_mov_b32 s2, 0
	v_pk_mov_b32 v[2:3], s[0:1], s[0:1] op_sel:[0,1]
	v_pk_mov_b32 v[12:13], s[26:27], s[26:27] op_sel:[0,1]
	s_cbranch_scc1 .LBB93_2
; %bb.1:
	v_pk_mov_b32 v[2:3], s[0:1], s[0:1] op_sel:[0,1]
	flat_load_dwordx2 v[2:3], v[2:3]
	v_pk_mov_b32 v[4:5], s[26:27], s[26:27] op_sel:[0,1]
	flat_load_dwordx2 v[12:13], v[4:5]
	s_load_dwordx2 s[0:1], s[4:5], 0x18
	s_waitcnt lgkmcnt(0)
	v_mov_b32_e32 v1, s1
	s_waitcnt vmcnt(0)
	v_add_co_u32_e32 v2, vcc, s0, v2
	v_addc_co_u32_e32 v3, vcc, v3, v1, vcc
.LBB93_2:
	s_load_dword s0, s[4:5], 0x154
	s_load_dword s7, s[4:5], 0x148
	s_waitcnt lgkmcnt(0)
	s_and_b32 s8, s0, 0xffff
	s_add_u32 s9, s24, -1
	s_mul_i32 s33, s7, s8
	s_addc_u32 s3, s25, -1
	s_lshl_b32 s58, s33, 1
	s_cmp_lg_u64 s[2:3], 0
	s_mov_b64 s[0:1], -1
	s_cbranch_scc0 .LBB93_51
; %bb.3:
	v_cvt_f32_u32_e32 v1, s58
	v_cvt_f32_ubyte0_e32 v4, 0
	s_sub_u32 s2, 0, s58
	s_subb_u32 s10, 0, 0
	v_madmk_f32 v1, v4, 0x4f800000, v1
	v_rcp_f32_e32 v1, v1
	v_mul_f32_e32 v1, 0x5f7ffffc, v1
	v_mul_f32_e32 v4, 0x2f800000, v1
	v_trunc_f32_e32 v4, v4
	v_madmk_f32 v1, v4, 0xcf800000, v1
	v_cvt_u32_f32_e32 v4, v4
	v_cvt_u32_f32_e32 v1, v1
	v_readfirstlane_b32 s11, v4
	v_readfirstlane_b32 s12, v1
	s_mul_i32 s13, s2, s11
	s_mul_hi_u32 s15, s2, s12
	s_mul_i32 s14, s10, s12
	s_add_i32 s13, s15, s13
	s_add_i32 s13, s13, s14
	s_mul_i32 s16, s2, s12
	s_mul_hi_u32 s14, s12, s13
	s_mul_i32 s15, s12, s13
	s_mul_hi_u32 s12, s12, s16
	s_add_u32 s12, s12, s15
	s_addc_u32 s14, 0, s14
	s_mul_hi_u32 s17, s11, s16
	s_mul_i32 s16, s11, s16
	s_add_u32 s12, s12, s16
	s_mul_hi_u32 s15, s11, s13
	s_addc_u32 s12, s14, s17
	s_addc_u32 s14, s15, 0
	s_mul_i32 s13, s11, s13
	s_add_u32 s12, s12, s13
	s_addc_u32 s13, 0, s14
	v_add_co_u32_e32 v1, vcc, s12, v1
	s_cmp_lg_u64 vcc, 0
	s_addc_u32 s11, s11, s13
	v_readfirstlane_b32 s13, v1
	s_mul_i32 s12, s2, s11
	s_mul_hi_u32 s14, s2, s13
	s_add_i32 s12, s14, s12
	s_mul_i32 s10, s10, s13
	s_add_i32 s12, s12, s10
	s_mul_i32 s2, s2, s13
	s_mul_hi_u32 s14, s11, s2
	s_mul_i32 s15, s11, s2
	s_mul_i32 s17, s13, s12
	s_mul_hi_u32 s2, s13, s2
	s_mul_hi_u32 s16, s13, s12
	s_add_u32 s2, s2, s17
	s_addc_u32 s13, 0, s16
	s_add_u32 s2, s2, s15
	s_mul_hi_u32 s10, s11, s12
	s_addc_u32 s2, s13, s14
	s_addc_u32 s10, s10, 0
	s_mul_i32 s12, s11, s12
	s_add_u32 s2, s2, s12
	s_addc_u32 s10, 0, s10
	v_add_co_u32_e32 v1, vcc, s2, v1
	s_cmp_lg_u64 vcc, 0
	s_addc_u32 s12, s11, s10
	s_ashr_i32 s10, s3, 31
	s_add_u32 s2, s9, s10
	s_mov_b32 s11, s10
	s_addc_u32 s3, s3, s10
	s_xor_b64 s[2:3], s[2:3], s[10:11]
	v_readfirstlane_b32 s15, v1
	s_mul_i32 s14, s2, s12
	s_mul_hi_u32 s16, s2, s15
	s_mul_hi_u32 s13, s2, s12
	s_add_u32 s14, s16, s14
	s_addc_u32 s13, 0, s13
	s_mul_hi_u32 s17, s3, s15
	s_mul_i32 s15, s3, s15
	s_add_u32 s14, s14, s15
	s_mul_hi_u32 s16, s3, s12
	s_addc_u32 s13, s13, s17
	s_addc_u32 s14, s16, 0
	s_mul_i32 s12, s3, s12
	s_add_u32 s12, s13, s12
	s_addc_u32 s13, 0, s14
	s_add_u32 s14, s12, 1
	s_addc_u32 s15, s13, 0
	s_add_u32 s16, s12, 2
	s_mul_i32 s18, s58, s13
	s_mul_hi_u32 s19, s58, s12
	s_addc_u32 s17, s13, 0
	s_add_i32 s19, s19, s18
	s_mul_i32 s18, s58, s12
	v_mov_b32_e32 v1, s18
	v_sub_co_u32_e32 v1, vcc, s2, v1
	s_cmp_lg_u64 vcc, 0
	s_subb_u32 s2, s3, s19
	v_subrev_co_u32_e32 v4, vcc, s58, v1
	s_cmp_lg_u64 vcc, 0
	s_subb_u32 s3, s2, 0
	v_readfirstlane_b32 s18, v4
	s_cmp_ge_u32 s18, s58
	s_cselect_b32 s18, -1, 0
	s_cmp_eq_u32 s3, 0
	s_cselect_b32 s3, s18, -1
	s_cmp_lg_u32 s3, 0
	s_cselect_b32 s3, s17, s15
	v_readfirstlane_b32 s15, v1
	s_cselect_b32 s14, s16, s14
	s_cmp_ge_u32 s15, s58
	s_cselect_b32 s15, -1, 0
	s_cmp_eq_u32 s2, 0
	s_cselect_b32 s2, s15, -1
	s_cmp_lg_u32 s2, 0
	s_cselect_b32 s3, s3, s13
	s_cselect_b32 s2, s14, s12
	s_xor_b64 s[2:3], s[2:3], s[10:11]
	s_sub_u32 s2, s2, s10
	s_subb_u32 s3, s3, s10
	s_cbranch_execnz .LBB93_5
.LBB93_4:
	v_cvt_f32_u32_e32 v1, s58
	s_sub_i32 s0, 0, s58
	s_mov_b32 s3, 0
	v_rcp_iflag_f32_e32 v1, v1
	v_mul_f32_e32 v1, 0x4f7ffffe, v1
	v_cvt_u32_f32_e32 v1, v1
	v_readfirstlane_b32 s1, v1
	s_mul_i32 s0, s0, s1
	s_mul_hi_u32 s0, s1, s0
	s_add_i32 s1, s1, s0
	s_mul_hi_u32 s0, s9, s1
	s_mul_i32 s2, s0, s58
	s_sub_i32 s2, s9, s2
	s_add_i32 s1, s0, 1
	s_sub_i32 s9, s2, s58
	s_cmp_ge_u32 s2, s58
	s_cselect_b32 s0, s1, s0
	s_cselect_b32 s2, s9, s2
	s_add_i32 s1, s0, 1
	s_cmp_ge_u32 s2, s58
	s_cselect_b32 s2, s1, s0
.LBB93_5:
	v_mov_b32_e32 v1, 0
	v_mov_b32_e32 v4, s6
	v_mad_u64_u32 v[14:15], s[0:1], s8, v4, v[0:1]
	s_add_u32 s0, s2, 1
	s_addc_u32 s1, s3, 0
	s_mul_hi_u32 s2, s7, s8
	s_mul_i32 s1, s33, s1
	s_mul_hi_u32 s3, s33, s0
	s_add_i32 s1, s3, s1
	s_mul_i32 s2, s2, s0
	s_add_i32 s1, s1, s2
	s_mul_i32 s0, s33, s0
	s_lshl_b64 s[26:27], s[0:1], 1
	v_cmp_gt_i64_e32 vcc, s[26:27], v[14:15]
	s_and_saveexec_b64 s[0:1], vcc
	s_cbranch_execz .LBB93_50
; %bb.6:
	s_mov_b32 s0, 0x5384540f
	v_mov_b32_e32 v0, v13
	v_add_co_u32_e32 v22, vcc, s0, v12
	s_mov_b32 s0, 0x646e171e
	v_add_co_u32_e32 v23, vcc, s0, v0
	s_mov_b32 s0, 0x1715609d
	;; [unrolled: 2-line block ×6, first 2 shown]
	v_alignbit_b32 v29, v3, v2, 2
	s_mov_b32 s60, 0xd2511f53
	v_add_co_u32_e32 v28, vcc, s0, v12
	v_mad_u64_u32 v[4:5], s[0:1], v29, s60, 0
	v_xor_b32_e32 v1, v5, v13
	v_xor_b32_e32 v1, v1, v15
	s_mov_b32 s61, 0xcd9e8d57
	v_mad_u64_u32 v[6:7], s[0:1], v1, s61, 0
	v_xor_b32_e32 v1, v28, v7
	v_mad_u64_u32 v[8:9], s[0:1], v14, s61, 0
	v_and_b32_e32 v18, 3, v2
	v_xor_b32_e32 v1, v1, v8
	v_xor_b32_e32 v2, v12, v9
	v_lshrrev_b32_e32 v30, 2, v3
	v_mad_u64_u32 v[10:11], s[0:1], v1, s60, 0
	v_xor_b32_e32 v2, v2, v30
	v_xor_b32_e32 v1, v27, v11
	v_mad_u64_u32 v[2:3], s[0:1], v2, s60, 0
	v_xor_b32_e32 v1, v1, v2
	v_mad_u64_u32 v[8:9], s[0:1], v1, s61, 0
	s_mov_b32 s0, 0xbb67ae85
	v_add_co_u32_e32 v31, vcc, s0, v0
	v_xor_b32_e32 v2, v31, v3
	v_xor_b32_e32 v2, v2, v4
	v_xor_b32_e32 v1, v26, v9
	v_mad_u64_u32 v[2:3], s[0:1], v2, s61, 0
	v_xor_b32_e32 v1, v1, v2
	v_mad_u64_u32 v[4:5], s[0:1], v1, s60, 0
	s_mov_b32 s0, 0x3c6ef372
	v_add_co_u32_e32 v32, vcc, s0, v12
	v_xor_b32_e32 v2, v32, v3
	;; [unrolled: 8-line block ×6, first 2 shown]
	v_add_co_u32_e32 v21, vcc, 0xdb3d7428, v0
	v_xor_b32_e32 v2, v2, v6
	v_xor_b32_e32 v1, v21, v5
	v_mad_u64_u32 v[2:3], s[0:1], v2, s60, 0
	v_xor_b32_e32 v1, v1, v2
	v_mad_u64_u32 v[6:7], s[0:1], v1, s61, 0
	s_mov_b32 s0, 0x1fd5c5a3
	v_add_co_u32_e32 v37, vcc, s0, v0
	v_xor_b32_e32 v0, v37, v3
	v_xor_b32_e32 v0, v0, v10
	v_mad_u64_u32 v[0:1], s[0:1], v0, s61, 0
	s_mov_b32 s0, 0xf1bbcdc8
	s_load_dwordx8 s[8:15], s[4:5], 0x30
	v_add_co_u32_e32 v38, vcc, s0, v12
	v_xor_b32_e32 v1, v38, v1
	v_xor_b32_e32 v1, v1, v8
	s_add_u32 s34, s4, 48
	v_mad_u64_u32 v[8:9], s[0:1], v1, s60, 0
	s_addc_u32 s35, s5, 0
	s_waitcnt lgkmcnt(0)
	s_add_i32 s0, s8, -1
	s_cmp_gt_u32 s0, 1
	s_cselect_b64 s[36:37], -1, 0
	s_cmp_lg_u32 s8, 0
	s_cselect_b64 s[38:39], -1, 0
	s_add_u32 s40, s4, 0xf4
	s_addc_u32 s41, s5, 0
	s_min_u32 s1, s0, 15
	s_cmp_gt_u32 s8, 1
	s_cselect_b64 s[42:43], -1, 0
	s_add_i32 s1, s1, 1
	s_mov_b32 s8, s13
	s_load_dwordx2 s[44:45], s[4:5], 0xf4
	s_load_dwordx2 s[46:47], s[4:5], 0x138
	s_and_b32 s13, s1, 3
	s_cmp_lg_u32 s0, 2
	s_cselect_b64 s[48:49], -1, 0
	s_and_b32 s15, s1, 28
	v_add_u32_e32 v19, 0x8ff34781, v12
	v_add_u32_e32 v20, 0x96a522ad, v13
	v_xor_b32_e32 v0, v7, v0
	v_xor_b32_e32 v1, v9, v4
	s_cmp_lg_u32 s13, 0
	s_mov_b32 s59, 0
	v_xor_b32_e32 v0, v19, v0
	v_xor_b32_e32 v2, v20, v1
	v_mov_b32_e32 v1, v6
	v_mov_b32_e32 v3, v8
	s_mov_b64 s[50:51], 0
	s_cselect_b64 s[52:53], -1, 0
	s_mov_b32 s62, 0x1000001
	s_mov_b32 s63, 0x1000000
	;; [unrolled: 1-line block ×3, first 2 shown]
	v_mov_b32_e32 v39, 0xfffc0000
	v_mov_b32_e32 v40, v14
	;; [unrolled: 1-line block ×3, first 2 shown]
	s_branch .LBB93_9
.LBB93_7:                               ;   in Loop: Header=BB93_9 Depth=1
	s_add_u32 s0, 0x2ff, s64
	s_addc_u32 s1, 0, 0
	v_add_co_u32_e32 v1, vcc, s0, v39
	s_cmp_lg_u64 vcc, 0
	v_readfirstlane_b32 s2, v1
	s_addc_u32 s0, s1, 0xff
	s_mul_hi_u32 s3, s2, 0xfeffffff
	s_mul_i32 s1, s0, 0xfeffffff
	s_sub_i32 s3, s3, s2
	s_add_i32 s3, s3, s1
	s_mul_i32 s5, s2, 0xfeffffff
	s_mul_hi_u32 s1, s2, s3
	s_mul_i32 s4, s2, s3
	s_mul_hi_u32 s2, s2, s5
	s_add_u32 s2, s2, s4
	s_addc_u32 s1, 0, s1
	s_mul_hi_u32 s6, s0, s5
	s_mul_i32 s5, s0, s5
	s_add_u32 s2, s2, s5
	s_mul_hi_u32 s4, s0, s3
	s_addc_u32 s1, s1, s6
	s_addc_u32 s2, s4, 0
	s_mul_i32 s3, s0, s3
	s_add_u32 s1, s1, s3
	s_addc_u32 s2, 0, s2
	v_add_co_u32_e32 v1, vcc, s1, v1
	s_cmp_lg_u64 vcc, 0
	s_addc_u32 s2, s0, s2
	v_mad_u64_u32 v[8:9], s[0:1], v3, s2, 0
	v_mul_hi_u32 v7, v3, v1
	v_add_co_u32_e32 v7, vcc, v7, v8
	v_addc_co_u32_e32 v17, vcc, 0, v9, vcc
	v_mad_u64_u32 v[10:11], s[0:1], v2, v1, 0
	v_add_co_u32_e32 v1, vcc, v7, v10
	v_mad_u64_u32 v[8:9], s[0:1], v2, s2, 0
	v_addc_co_u32_e32 v1, vcc, v17, v11, vcc
	v_addc_co_u32_e32 v7, vcc, 0, v9, vcc
	v_add_co_u32_e32 v1, vcc, v1, v8
	v_mad_u64_u32 v[8:9], s[0:1], v1, s62, 0
	v_addc_co_u32_e32 v7, vcc, 0, v7, vcc
	v_mov_b32_e32 v10, v9
	v_mad_u64_u32 v[10:11], s[0:1], v7, s62, v[10:11]
	v_sub_co_u32_e32 v1, vcc, v3, v8
	v_subb_co_u32_e32 v2, vcc, v2, v10, vcc
	v_subrev_co_u32_e32 v7, vcc, s62, v1
	v_subbrev_co_u32_e32 v3, vcc, 0, v2, vcc
	v_subrev_co_u32_e32 v8, vcc, s62, v7
	v_subbrev_co_u32_e32 v9, vcc, 0, v3, vcc
	v_cmp_lt_u32_e32 vcc, s63, v7
	v_cndmask_b32_e64 v10, 0, -1, vcc
	v_cmp_eq_u32_e32 vcc, 0, v3
	v_cndmask_b32_e32 v10, -1, v10, vcc
	v_cmp_ne_u32_e32 vcc, 0, v10
	v_cmp_lt_u32_e64 s[0:1], s63, v1
	v_cndmask_b32_e32 v3, v3, v9, vcc
	v_cndmask_b32_e64 v9, 0, -1, s[0:1]
	v_cmp_eq_u32_e64 s[0:1], 0, v2
	v_cndmask_b32_e64 v9, -1, v9, s[0:1]
	v_cmp_ne_u32_e64 s[0:1], 0, v9
	v_cndmask_b32_e64 v3, v2, v3, s[0:1]
	v_cndmask_b32_e32 v2, v7, v8, vcc
	v_cndmask_b32_e64 v2, v1, v2, s[0:1]
	v_ffbh_u32_e32 v1, v3
	v_min_u32_e32 v1, 32, v1
	v_lshlrev_b64 v[2:3], v1, v[2:3]
	v_min_u32_e32 v2, 1, v2
	v_or_b32_e32 v2, v3, v2
	v_cvt_f32_u32_e32 v2, v2
	v_sub_u32_e32 v1, 32, v1
	v_ldexp_f32 v1, v2, v1
	s_waitcnt lgkmcnt(0)
	global_store_dword v0, v1, s[46:47]
.LBB93_8:                               ;   in Loop: Header=BB93_9 Depth=1
	s_or_b64 exec, exec, s[28:29]
	v_add_co_u32_e32 v14, vcc, s58, v14
	v_addc_co_u32_e32 v15, vcc, 0, v15, vcc
	v_mov_b32_e32 v7, v16
	v_cmp_le_i64_e32 vcc, s[26:27], v[14:15]
	v_pk_mov_b32 v[0:1], v[4:5], v[4:5] op_sel:[0,1]
	s_or_b64 s[50:51], vcc, s[50:51]
	v_pk_mov_b32 v[2:3], v[6:7], v[6:7] op_sel:[0,1]
	s_waitcnt lgkmcnt(0)
	s_barrier
	s_andn2_b64 exec, exec, s[50:51]
	s_cbranch_execz .LBB93_50
.LBB93_9:                               ; =>This Loop Header: Depth=1
                                        ;     Child Loop BB93_24 Depth 2
                                        ;     Child Loop BB93_30 Depth 2
                                        ;     Child Loop BB93_40 Depth 2
                                        ;     Child Loop BB93_46 Depth 2
	v_add_co_u32_e32 v29, vcc, 1, v29
	v_cndmask_b32_e64 v4, 0, 1, vcc
	v_addc_co_u32_e32 v30, vcc, 0, v30, vcc
	v_cmp_eq_u32_e32 vcc, 0, v30
	v_cndmask_b32_e32 v4, 0, v4, vcc
	v_add_u32_e32 v40, v4, v40
	v_cmp_eq_u32_e32 vcc, 0, v40
	v_cndmask_b32_e32 v4, 0, v4, vcc
	v_add_u32_e32 v41, v4, v41
	v_mad_u64_u32 v[4:5], s[0:1], v29, s60, 0
	v_mad_u64_u32 v[6:7], s[0:1], v40, s61, 0
	v_xor_b32_e32 v5, v5, v13
	v_xor_b32_e32 v7, v7, v12
	v_xor_b32_e32 v5, v41, v5
	v_xor_b32_e32 v7, v30, v7
	v_mad_u64_u32 v[10:11], s[0:1], v5, s61, 0
	v_mad_u64_u32 v[8:9], s[0:1], v7, s60, 0
	v_xor_b32_e32 v5, v28, v11
	v_xor_b32_e32 v5, v5, v6
	v_xor_b32_e32 v6, v31, v9
	v_xor_b32_e32 v6, v6, v4
	;; [unrolled: 6-line block ×10, first 2 shown]
	v_mov_b32_e32 v5, v10
	v_mov_b32_e32 v6, v11
	v_cmp_lt_i32_e32 vcc, 1, v18
	s_and_saveexec_b64 s[0:1], vcc
	s_xor_b64 s[0:1], exec, s[0:1]
	s_cbranch_execz .LBB93_15
; %bb.10:                               ;   in Loop: Header=BB93_9 Depth=1
	v_cmp_lt_i32_e32 vcc, 2, v18
	s_and_saveexec_b64 s[2:3], vcc
	s_xor_b64 s[2:3], exec, s[2:3]
; %bb.11:                               ;   in Loop: Header=BB93_9 Depth=1
	v_mov_b32_e32 v8, v3
	v_mov_b32_e32 v9, v4
	v_pk_mov_b32 v[0:1], v[8:9], v[8:9] op_sel:[0,1]
	v_pk_mov_b32 v[2:3], v[10:11], v[10:11] op_sel:[0,1]
                                        ; implicit-def: $vgpr10_vgpr11
; %bb.12:                               ;   in Loop: Header=BB93_9 Depth=1
	s_andn2_saveexec_b64 s[2:3], s[2:3]
; %bb.13:                               ;   in Loop: Header=BB93_9 Depth=1
	v_mov_b32_e32 v0, v2
	v_mov_b32_e32 v1, v3
	;; [unrolled: 1-line block ×4, first 2 shown]
; %bb.14:                               ;   in Loop: Header=BB93_9 Depth=1
	s_or_b64 exec, exec, s[2:3]
.LBB93_15:                              ;   in Loop: Header=BB93_9 Depth=1
	s_andn2_saveexec_b64 s[0:1], s[0:1]
	s_cbranch_execz .LBB93_19
; %bb.16:                               ;   in Loop: Header=BB93_9 Depth=1
	v_cmp_eq_u32_e32 vcc, 1, v18
	s_and_saveexec_b64 s[2:3], vcc
; %bb.17:                               ;   in Loop: Header=BB93_9 Depth=1
	v_mov_b32_e32 v0, v1
	v_mov_b32_e32 v1, v2
	;; [unrolled: 1-line block ×4, first 2 shown]
; %bb.18:                               ;   in Loop: Header=BB93_9 Depth=1
	s_or_b64 exec, exec, s[2:3]
.LBB93_19:                              ;   in Loop: Header=BB93_9 Depth=1
	s_or_b64 exec, exec, s[0:1]
	v_cndmask_b32_e64 v7, 0, 1, s[36:37]
	v_cmp_gt_i64_e32 vcc, s[24:25], v[14:15]
	v_cmp_ne_u32_e64 s[0:1], 1, v7
	s_and_saveexec_b64 s[54:55], vcc
	s_cbranch_execz .LBB93_35
; %bb.20:                               ;   in Loop: Header=BB93_9 Depth=1
	s_and_b64 vcc, exec, s[0:1]
	s_cbranch_vccnz .LBB93_26
; %bb.21:                               ;   in Loop: Header=BB93_9 Depth=1
	s_andn2_b64 vcc, exec, s[38:39]
	s_cbranch_vccnz .LBB93_27
; %bb.22:                               ;   in Loop: Header=BB93_9 Depth=1
	s_mov_b32 s4, 0
	s_andn2_b64 vcc, exec, s[48:49]
	v_mov_b32_e32 v8, 0
	s_cbranch_vccnz .LBB93_28
; %bb.23:                               ;   in Loop: Header=BB93_9 Depth=1
	s_mov_b32 s65, 0
	v_mov_b32_e32 v8, 0
	s_mov_b64 s[2:3], s[34:35]
	s_mov_b64 s[56:57], s[40:41]
	v_mov_b32_e32 v7, v14
.LBB93_24:                              ;   Parent Loop BB93_9 Depth=1
                                        ; =>  This Inner Loop Header: Depth=2
	s_load_dwordx8 s[16:23], s[2:3], 0x4
	s_load_dwordx4 s[4:7], s[2:3], 0x24
	s_load_dwordx4 s[28:31], s[56:57], 0x0
	s_add_u32 s2, s2, 48
	s_addc_u32 s3, s3, 0
	s_waitcnt lgkmcnt(0)
	v_mul_hi_u32 v9, s17, v7
	v_add_u32_e32 v9, v7, v9
	v_lshrrev_b32_e32 v9, s18, v9
	v_mul_lo_u32 v10, v9, s16
	v_mul_hi_u32 v11, s20, v9
	v_sub_u32_e32 v7, v7, v10
	v_add_u32_e32 v10, v9, v11
	v_lshrrev_b32_e32 v10, s21, v10
	v_mul_lo_u32 v11, v10, s19
	v_mul_hi_u32 v17, s23, v10
	v_sub_u32_e32 v9, v9, v11
	v_add_u32_e32 v11, v10, v17
	v_mul_lo_u32 v7, v7, s28
	v_mul_lo_u32 v9, v9, s29
	v_lshrrev_b32_e32 v11, s4, v11
	v_add3_u32 v8, v7, v8, v9
	v_mul_lo_u32 v7, v11, s22
	v_mul_hi_u32 v9, s6, v11
	v_sub_u32_e32 v7, v10, v7
	v_add_u32_e32 v9, v11, v9
	v_mul_lo_u32 v10, v7, s30
	v_lshrrev_b32_e32 v7, s7, v9
	s_add_i32 s65, s65, 4
	v_mul_lo_u32 v9, v7, s5
	s_add_u32 s56, s56, 16
	v_sub_u32_e32 v9, v11, v9
	s_addc_u32 s57, s57, 0
	v_mul_lo_u32 v9, v9, s31
	s_cmp_lg_u32 s15, s65
	v_add3_u32 v8, v10, v8, v9
	s_cbranch_scc1 .LBB93_24
; %bb.25:                               ;   in Loop: Header=BB93_9 Depth=1
	s_mov_b32 s4, s15
	s_andn2_b64 vcc, exec, s[52:53]
	s_cbranch_vccz .LBB93_29
	s_branch .LBB93_31
.LBB93_26:                              ;   in Loop: Header=BB93_9 Depth=1
                                        ; implicit-def: $vgpr8
	s_branch .LBB93_32
.LBB93_27:                              ;   in Loop: Header=BB93_9 Depth=1
	v_mov_b32_e32 v8, 0
	s_branch .LBB93_31
.LBB93_28:                              ;   in Loop: Header=BB93_9 Depth=1
	v_mov_b32_e32 v7, v14
	s_andn2_b64 vcc, exec, s[52:53]
	s_cbranch_vccnz .LBB93_31
.LBB93_29:                              ;   in Loop: Header=BB93_9 Depth=1
	s_lshl_b32 s2, s4, 2
	s_add_u32 s2, s40, s2
	s_addc_u32 s3, s41, 0
	s_mul_i32 s4, s4, 12
	s_add_u32 s4, s34, s4
	s_addc_u32 s5, s35, 0
	s_mov_b32 s6, s13
.LBB93_30:                              ;   Parent Loop BB93_9 Depth=1
                                        ; =>  This Inner Loop Header: Depth=2
	s_load_dwordx2 s[16:17], s[4:5], 0x4
	s_load_dword s7, s[4:5], 0xc
	s_load_dword s18, s[2:3], 0x0
	s_add_u32 s4, s4, 12
	s_addc_u32 s5, s5, 0
	s_waitcnt lgkmcnt(0)
	v_mul_hi_u32 v9, s17, v7
	v_add_u32_e32 v9, v7, v9
	v_lshrrev_b32_e32 v9, s7, v9
	s_add_u32 s2, s2, 4
	v_mul_lo_u32 v10, v9, s16
	s_addc_u32 s3, s3, 0
	s_add_i32 s6, s6, -1
	v_sub_u32_e32 v10, v7, v10
	s_cmp_lg_u32 s6, 0
	v_mov_b32_e32 v7, v9
	v_mad_u64_u32 v[8:9], s[16:17], v10, s18, v[8:9]
	s_cbranch_scc1 .LBB93_30
.LBB93_31:                              ;   in Loop: Header=BB93_9 Depth=1
	s_cbranch_execnz .LBB93_34
.LBB93_32:                              ;   in Loop: Header=BB93_9 Depth=1
	v_mul_hi_u32 v7, v14, s10
	v_add_u32_e32 v7, v7, v14
	v_lshrrev_b32_e32 v7, s11, v7
	v_mul_lo_u32 v8, v7, s9
	v_sub_u32_e32 v8, v14, v8
	s_andn2_b64 vcc, exec, s[42:43]
	s_waitcnt lgkmcnt(0)
	v_mul_lo_u32 v8, v8, s44
	s_cbranch_vccnz .LBB93_34
; %bb.33:                               ;   in Loop: Header=BB93_9 Depth=1
	v_mul_hi_u32 v9, s8, v7
	v_add_u32_e32 v9, v7, v9
	v_lshrrev_b32_e32 v9, s14, v9
	v_mul_lo_u32 v9, v9, s12
	v_sub_u32_e32 v7, v7, v9
	v_mad_u64_u32 v[8:9], s[2:3], v7, s45, v[8:9]
.LBB93_34:                              ;   in Loop: Header=BB93_9 Depth=1
	s_add_u32 s2, 0x2ff, s64
	s_addc_u32 s3, 0, 0
	v_add_co_u32_e32 v7, vcc, s2, v39
	s_cmp_lg_u64 vcc, 0
	v_readfirstlane_b32 s4, v7
	s_addc_u32 s2, s3, 0xff
	s_mul_hi_u32 s5, s4, 0xfeffffff
	s_mul_i32 s3, s2, 0xfeffffff
	s_sub_i32 s5, s5, s4
	s_add_i32 s5, s5, s3
	s_mul_i32 s7, s4, 0xfeffffff
	s_mul_hi_u32 s3, s4, s5
	s_mul_i32 s6, s4, s5
	s_mul_hi_u32 s4, s4, s7
	s_add_u32 s4, s4, s6
	s_addc_u32 s3, 0, s3
	s_mul_hi_u32 s16, s2, s7
	s_mul_i32 s7, s2, s7
	s_add_u32 s4, s4, s7
	s_mul_hi_u32 s6, s2, s5
	s_addc_u32 s3, s3, s16
	s_addc_u32 s4, s6, 0
	s_mul_i32 s5, s2, s5
	s_add_u32 s3, s3, s5
	s_addc_u32 s4, 0, s4
	v_add_co_u32_e32 v7, vcc, s3, v7
	s_cmp_lg_u64 vcc, 0
	s_addc_u32 s4, s2, s4
	v_mad_u64_u32 v[10:11], s[2:3], v1, s4, 0
	v_mul_hi_u32 v9, v1, v7
	v_add_co_u32_e32 v9, vcc, v9, v10
	v_addc_co_u32_e32 v17, vcc, 0, v11, vcc
	v_mad_u64_u32 v[42:43], s[2:3], v0, v7, 0
	v_add_co_u32_e32 v7, vcc, v9, v42
	v_mad_u64_u32 v[10:11], s[2:3], v0, s4, 0
	v_addc_co_u32_e32 v7, vcc, v17, v43, vcc
	v_addc_co_u32_e32 v9, vcc, 0, v11, vcc
	v_add_co_u32_e32 v7, vcc, v7, v10
	v_mad_u64_u32 v[10:11], s[2:3], v7, s62, 0
	v_addc_co_u32_e32 v9, vcc, 0, v9, vcc
	v_mov_b32_e32 v42, v11
	v_mad_u64_u32 v[42:43], s[2:3], v9, s62, v[42:43]
	v_sub_co_u32_e32 v7, vcc, v1, v10
	v_subb_co_u32_e32 v0, vcc, v0, v42, vcc
	v_subrev_co_u32_e32 v9, vcc, s62, v7
	v_subbrev_co_u32_e32 v1, vcc, 0, v0, vcc
	v_subrev_co_u32_e32 v10, vcc, s62, v9
	v_subbrev_co_u32_e32 v11, vcc, 0, v1, vcc
	v_cmp_lt_u32_e32 vcc, s63, v9
	v_cndmask_b32_e64 v17, 0, -1, vcc
	v_cmp_eq_u32_e32 vcc, 0, v1
	v_cndmask_b32_e32 v17, -1, v17, vcc
	v_cmp_ne_u32_e32 vcc, 0, v17
	v_cmp_lt_u32_e64 s[2:3], s63, v7
	v_cndmask_b32_e32 v1, v1, v11, vcc
	v_cndmask_b32_e64 v11, 0, -1, s[2:3]
	v_cmp_eq_u32_e64 s[2:3], 0, v0
	v_cndmask_b32_e64 v11, -1, v11, s[2:3]
	v_cmp_ne_u32_e64 s[2:3], 0, v11
	v_cndmask_b32_e64 v1, v0, v1, s[2:3]
	v_cndmask_b32_e32 v0, v9, v10, vcc
	v_cndmask_b32_e64 v0, v7, v0, s[2:3]
	v_ffbh_u32_e32 v7, v1
	v_min_u32_e32 v7, 32, v7
	v_lshlrev_b64 v[0:1], v7, v[0:1]
	v_min_u32_e32 v0, 1, v0
	v_or_b32_e32 v0, v1, v0
	v_cvt_f32_u32_e32 v0, v0
	v_sub_u32_e32 v1, 32, v7
	v_ldexp_f32 v0, v0, v1
	s_waitcnt lgkmcnt(0)
	global_store_dword v8, v0, s[46:47]
.LBB93_35:                              ;   in Loop: Header=BB93_9 Depth=1
	s_or_b64 exec, exec, s[54:55]
	v_mov_b32_e32 v0, s59
	v_add_co_u32_e32 v8, vcc, s33, v14
	v_addc_co_u32_e32 v9, vcc, v15, v0, vcc
	v_cmp_gt_i64_e32 vcc, s[24:25], v[8:9]
	s_and_saveexec_b64 s[28:29], vcc
	s_cbranch_execz .LBB93_8
; %bb.36:                               ;   in Loop: Header=BB93_9 Depth=1
	s_and_b64 vcc, exec, s[0:1]
	s_cbranch_vccnz .LBB93_42
; %bb.37:                               ;   in Loop: Header=BB93_9 Depth=1
	s_andn2_b64 vcc, exec, s[38:39]
	s_cbranch_vccnz .LBB93_43
; %bb.38:                               ;   in Loop: Header=BB93_9 Depth=1
	s_mov_b32 s2, 0
	s_andn2_b64 vcc, exec, s[48:49]
	v_mov_b32_e32 v0, 0
	s_cbranch_vccnz .LBB93_44
; %bb.39:                               ;   in Loop: Header=BB93_9 Depth=1
	s_mov_b32 s56, 0
	v_mov_b32_e32 v0, 0
	s_mov_b64 s[30:31], s[34:35]
	s_mov_b64 s[54:55], s[40:41]
	v_mov_b32_e32 v7, v8
.LBB93_40:                              ;   Parent Loop BB93_9 Depth=1
                                        ; =>  This Inner Loop Header: Depth=2
	s_load_dwordx8 s[0:7], s[30:31], 0x4
	s_load_dwordx4 s[16:19], s[30:31], 0x24
	s_load_dwordx4 s[20:23], s[54:55], 0x0
	s_add_u32 s30, s30, 48
	s_addc_u32 s31, s31, 0
	s_waitcnt lgkmcnt(0)
	v_mul_hi_u32 v1, s1, v7
	v_add_u32_e32 v1, v7, v1
	v_lshrrev_b32_e32 v1, s2, v1
	v_mul_lo_u32 v9, v1, s0
	v_mul_hi_u32 v10, s4, v1
	v_sub_u32_e32 v7, v7, v9
	v_add_u32_e32 v9, v1, v10
	v_lshrrev_b32_e32 v9, s5, v9
	v_mul_lo_u32 v10, v9, s3
	v_mul_hi_u32 v11, s7, v9
	v_sub_u32_e32 v1, v1, v10
	v_add_u32_e32 v10, v9, v11
	v_mul_lo_u32 v7, v7, s20
	v_mul_lo_u32 v1, v1, s21
	v_lshrrev_b32_e32 v10, s16, v10
	v_add3_u32 v0, v7, v0, v1
	v_mul_hi_u32 v7, s18, v10
	v_add_u32_e32 v7, v10, v7
	v_mul_lo_u32 v1, v10, s6
	v_lshrrev_b32_e32 v7, s19, v7
	s_add_i32 s56, s56, 4
	v_sub_u32_e32 v1, v9, v1
	v_mul_lo_u32 v9, v7, s17
	s_add_u32 s54, s54, 16
	v_sub_u32_e32 v9, v10, v9
	s_addc_u32 s55, s55, 0
	v_mul_lo_u32 v1, v1, s22
	v_mul_lo_u32 v9, v9, s23
	s_cmp_eq_u32 s15, s56
	v_add3_u32 v0, v1, v0, v9
	s_cbranch_scc0 .LBB93_40
; %bb.41:                               ;   in Loop: Header=BB93_9 Depth=1
	s_mov_b32 s2, s15
	s_andn2_b64 vcc, exec, s[52:53]
	s_cbranch_vccz .LBB93_45
	s_branch .LBB93_47
.LBB93_42:                              ;   in Loop: Header=BB93_9 Depth=1
                                        ; implicit-def: $vgpr0
	s_branch .LBB93_48
.LBB93_43:                              ;   in Loop: Header=BB93_9 Depth=1
	v_mov_b32_e32 v0, 0
	s_branch .LBB93_47
.LBB93_44:                              ;   in Loop: Header=BB93_9 Depth=1
	v_mov_b32_e32 v7, v8
	s_andn2_b64 vcc, exec, s[52:53]
	s_cbranch_vccnz .LBB93_47
.LBB93_45:                              ;   in Loop: Header=BB93_9 Depth=1
	s_lshl_b32 s0, s2, 2
	s_add_u32 s0, s40, s0
	s_addc_u32 s1, s41, 0
	s_mul_i32 s2, s2, 12
	s_add_u32 s2, s34, s2
	s_addc_u32 s3, s35, 0
	s_mov_b32 s4, s13
.LBB93_46:                              ;   Parent Loop BB93_9 Depth=1
                                        ; =>  This Inner Loop Header: Depth=2
	s_load_dwordx2 s[6:7], s[2:3], 0x4
	s_load_dword s5, s[2:3], 0xc
	s_load_dword s16, s[0:1], 0x0
	s_add_u32 s2, s2, 12
	s_addc_u32 s3, s3, 0
	s_waitcnt lgkmcnt(0)
	v_mul_hi_u32 v1, s7, v7
	v_add_u32_e32 v1, v7, v1
	v_lshrrev_b32_e32 v1, s5, v1
	s_add_u32 s0, s0, 4
	v_mul_lo_u32 v9, v1, s6
	s_addc_u32 s1, s1, 0
	s_add_i32 s4, s4, -1
	v_sub_u32_e32 v9, v7, v9
	s_cmp_lg_u32 s4, 0
	v_mov_b32_e32 v7, v1
	v_mad_u64_u32 v[0:1], s[6:7], v9, s16, v[0:1]
	s_cbranch_scc1 .LBB93_46
.LBB93_47:                              ;   in Loop: Header=BB93_9 Depth=1
	s_cbranch_execnz .LBB93_7
.LBB93_48:                              ;   in Loop: Header=BB93_9 Depth=1
	v_mul_hi_u32 v0, v8, s10
	v_add_u32_e32 v0, v0, v8
	v_lshrrev_b32_e32 v1, s11, v0
	v_mul_lo_u32 v0, v1, s9
	v_sub_u32_e32 v0, v8, v0
	s_andn2_b64 vcc, exec, s[42:43]
	s_waitcnt lgkmcnt(0)
	v_mul_lo_u32 v0, v0, s44
	s_cbranch_vccnz .LBB93_7
; %bb.49:                               ;   in Loop: Header=BB93_9 Depth=1
	v_mul_hi_u32 v7, s8, v1
	v_add_u32_e32 v7, v1, v7
	v_lshrrev_b32_e32 v7, s14, v7
	v_mul_lo_u32 v7, v7, s12
	v_sub_u32_e32 v1, v1, v7
	v_mad_u64_u32 v[0:1], s[0:1], v1, s45, v[0:1]
	s_branch .LBB93_7
.LBB93_50:
	s_endpgm
.LBB93_51:
                                        ; implicit-def: $sgpr2_sgpr3
	s_andn2_b64 vcc, exec, s[0:1]
	s_cbranch_vccz .LBB93_4
	s_branch .LBB93_5
	.section	.rodata,"a",@progbits
	.p2align	6, 0x0
	.amdhsa_kernel _ZN2at6native12_GLOBAL__N_143distribution_elementwise_grid_stride_kernelImLi2EZZZNS0_9templates4cuda13random_kernelIPNS_17CUDAGeneratorImplEEEvRNS_18TensorIteratorBaseET_ENKUlvE_clEvENKUlvE5_clEvEUlP25hiprandStatePhilox4_32_10E_ZNS1_27distribution_nullary_kernelIfm15HIP_vector_typeIyLj2EES7_SF_ZZZNS5_IS7_EEvS9_SA_ENKSB_clEvENKSC_clEvEUlmE_EEvS9_T2_RKT3_T4_EUlimE0_EEvlNS_15PhiloxCudaStateET1_SK_
		.amdhsa_group_segment_fixed_size 0
		.amdhsa_private_segment_fixed_size 0
		.amdhsa_kernarg_size 584
		.amdhsa_user_sgpr_count 6
		.amdhsa_user_sgpr_private_segment_buffer 1
		.amdhsa_user_sgpr_dispatch_ptr 0
		.amdhsa_user_sgpr_queue_ptr 0
		.amdhsa_user_sgpr_kernarg_segment_ptr 1
		.amdhsa_user_sgpr_dispatch_id 0
		.amdhsa_user_sgpr_flat_scratch_init 0
		.amdhsa_user_sgpr_kernarg_preload_length 0
		.amdhsa_user_sgpr_kernarg_preload_offset 0
		.amdhsa_user_sgpr_private_segment_size 0
		.amdhsa_uses_dynamic_stack 0
		.amdhsa_system_sgpr_private_segment_wavefront_offset 0
		.amdhsa_system_sgpr_workgroup_id_x 1
		.amdhsa_system_sgpr_workgroup_id_y 0
		.amdhsa_system_sgpr_workgroup_id_z 0
		.amdhsa_system_sgpr_workgroup_info 0
		.amdhsa_system_vgpr_workitem_id 0
		.amdhsa_next_free_vgpr 44
		.amdhsa_next_free_sgpr 66
		.amdhsa_accum_offset 44
		.amdhsa_reserve_vcc 1
		.amdhsa_reserve_flat_scratch 0
		.amdhsa_float_round_mode_32 0
		.amdhsa_float_round_mode_16_64 0
		.amdhsa_float_denorm_mode_32 3
		.amdhsa_float_denorm_mode_16_64 3
		.amdhsa_dx10_clamp 1
		.amdhsa_ieee_mode 1
		.amdhsa_fp16_overflow 0
		.amdhsa_tg_split 0
		.amdhsa_exception_fp_ieee_invalid_op 0
		.amdhsa_exception_fp_denorm_src 0
		.amdhsa_exception_fp_ieee_div_zero 0
		.amdhsa_exception_fp_ieee_overflow 0
		.amdhsa_exception_fp_ieee_underflow 0
		.amdhsa_exception_fp_ieee_inexact 0
		.amdhsa_exception_int_div_zero 0
	.end_amdhsa_kernel
	.section	.text._ZN2at6native12_GLOBAL__N_143distribution_elementwise_grid_stride_kernelImLi2EZZZNS0_9templates4cuda13random_kernelIPNS_17CUDAGeneratorImplEEEvRNS_18TensorIteratorBaseET_ENKUlvE_clEvENKUlvE5_clEvEUlP25hiprandStatePhilox4_32_10E_ZNS1_27distribution_nullary_kernelIfm15HIP_vector_typeIyLj2EES7_SF_ZZZNS5_IS7_EEvS9_SA_ENKSB_clEvENKSC_clEvEUlmE_EEvS9_T2_RKT3_T4_EUlimE0_EEvlNS_15PhiloxCudaStateET1_SK_,"axG",@progbits,_ZN2at6native12_GLOBAL__N_143distribution_elementwise_grid_stride_kernelImLi2EZZZNS0_9templates4cuda13random_kernelIPNS_17CUDAGeneratorImplEEEvRNS_18TensorIteratorBaseET_ENKUlvE_clEvENKUlvE5_clEvEUlP25hiprandStatePhilox4_32_10E_ZNS1_27distribution_nullary_kernelIfm15HIP_vector_typeIyLj2EES7_SF_ZZZNS5_IS7_EEvS9_SA_ENKSB_clEvENKSC_clEvEUlmE_EEvS9_T2_RKT3_T4_EUlimE0_EEvlNS_15PhiloxCudaStateET1_SK_,comdat
.Lfunc_end93:
	.size	_ZN2at6native12_GLOBAL__N_143distribution_elementwise_grid_stride_kernelImLi2EZZZNS0_9templates4cuda13random_kernelIPNS_17CUDAGeneratorImplEEEvRNS_18TensorIteratorBaseET_ENKUlvE_clEvENKUlvE5_clEvEUlP25hiprandStatePhilox4_32_10E_ZNS1_27distribution_nullary_kernelIfm15HIP_vector_typeIyLj2EES7_SF_ZZZNS5_IS7_EEvS9_SA_ENKSB_clEvENKSC_clEvEUlmE_EEvS9_T2_RKT3_T4_EUlimE0_EEvlNS_15PhiloxCudaStateET1_SK_, .Lfunc_end93-_ZN2at6native12_GLOBAL__N_143distribution_elementwise_grid_stride_kernelImLi2EZZZNS0_9templates4cuda13random_kernelIPNS_17CUDAGeneratorImplEEEvRNS_18TensorIteratorBaseET_ENKUlvE_clEvENKUlvE5_clEvEUlP25hiprandStatePhilox4_32_10E_ZNS1_27distribution_nullary_kernelIfm15HIP_vector_typeIyLj2EES7_SF_ZZZNS5_IS7_EEvS9_SA_ENKSB_clEvENKSC_clEvEUlmE_EEvS9_T2_RKT3_T4_EUlimE0_EEvlNS_15PhiloxCudaStateET1_SK_
                                        ; -- End function
	.section	.AMDGPU.csdata,"",@progbits
; Kernel info:
; codeLenInByte = 3956
; NumSgprs: 70
; NumVgprs: 44
; NumAgprs: 0
; TotalNumVgprs: 44
; ScratchSize: 0
; MemoryBound: 0
; FloatMode: 240
; IeeeMode: 1
; LDSByteSize: 0 bytes/workgroup (compile time only)
; SGPRBlocks: 8
; VGPRBlocks: 5
; NumSGPRsForWavesPerEU: 70
; NumVGPRsForWavesPerEU: 44
; AccumOffset: 44
; Occupancy: 8
; WaveLimiterHint : 1
; COMPUTE_PGM_RSRC2:SCRATCH_EN: 0
; COMPUTE_PGM_RSRC2:USER_SGPR: 6
; COMPUTE_PGM_RSRC2:TRAP_HANDLER: 0
; COMPUTE_PGM_RSRC2:TGID_X_EN: 1
; COMPUTE_PGM_RSRC2:TGID_Y_EN: 0
; COMPUTE_PGM_RSRC2:TGID_Z_EN: 0
; COMPUTE_PGM_RSRC2:TIDIG_COMP_CNT: 0
; COMPUTE_PGM_RSRC3_GFX90A:ACCUM_OFFSET: 10
; COMPUTE_PGM_RSRC3_GFX90A:TG_SPLIT: 0
	.section	.text._ZN2at6native12_GLOBAL__N_143distribution_elementwise_grid_stride_kernelIjLi4EZZZNS0_9templates4cuda13random_kernelIPNS_17CUDAGeneratorImplEEEvRNS_18TensorIteratorBaseET_ENKUlvE_clEvENKUlvE5_clEvEUlP25hiprandStatePhilox4_32_10E0_ZNS1_27distribution_nullary_kernelIfj15HIP_vector_typeIjLj4EES7_SF_ZZZNS5_IS7_EEvS9_SA_ENKSB_clEvENKSC_clEvEUljE_EEvS9_T2_RKT3_T4_EUlijE_EEvlNS_15PhiloxCudaStateET1_SK_,"axG",@progbits,_ZN2at6native12_GLOBAL__N_143distribution_elementwise_grid_stride_kernelIjLi4EZZZNS0_9templates4cuda13random_kernelIPNS_17CUDAGeneratorImplEEEvRNS_18TensorIteratorBaseET_ENKUlvE_clEvENKUlvE5_clEvEUlP25hiprandStatePhilox4_32_10E0_ZNS1_27distribution_nullary_kernelIfj15HIP_vector_typeIjLj4EES7_SF_ZZZNS5_IS7_EEvS9_SA_ENKSB_clEvENKSC_clEvEUljE_EEvS9_T2_RKT3_T4_EUlijE_EEvlNS_15PhiloxCudaStateET1_SK_,comdat
	.globl	_ZN2at6native12_GLOBAL__N_143distribution_elementwise_grid_stride_kernelIjLi4EZZZNS0_9templates4cuda13random_kernelIPNS_17CUDAGeneratorImplEEEvRNS_18TensorIteratorBaseET_ENKUlvE_clEvENKUlvE5_clEvEUlP25hiprandStatePhilox4_32_10E0_ZNS1_27distribution_nullary_kernelIfj15HIP_vector_typeIjLj4EES7_SF_ZZZNS5_IS7_EEvS9_SA_ENKSB_clEvENKSC_clEvEUljE_EEvS9_T2_RKT3_T4_EUlijE_EEvlNS_15PhiloxCudaStateET1_SK_ ; -- Begin function _ZN2at6native12_GLOBAL__N_143distribution_elementwise_grid_stride_kernelIjLi4EZZZNS0_9templates4cuda13random_kernelIPNS_17CUDAGeneratorImplEEEvRNS_18TensorIteratorBaseET_ENKUlvE_clEvENKUlvE5_clEvEUlP25hiprandStatePhilox4_32_10E0_ZNS1_27distribution_nullary_kernelIfj15HIP_vector_typeIjLj4EES7_SF_ZZZNS5_IS7_EEvS9_SA_ENKSB_clEvENKSC_clEvEUljE_EEvS9_T2_RKT3_T4_EUlijE_EEvlNS_15PhiloxCudaStateET1_SK_
	.p2align	8
	.type	_ZN2at6native12_GLOBAL__N_143distribution_elementwise_grid_stride_kernelIjLi4EZZZNS0_9templates4cuda13random_kernelIPNS_17CUDAGeneratorImplEEEvRNS_18TensorIteratorBaseET_ENKUlvE_clEvENKUlvE5_clEvEUlP25hiprandStatePhilox4_32_10E0_ZNS1_27distribution_nullary_kernelIfj15HIP_vector_typeIjLj4EES7_SF_ZZZNS5_IS7_EEvS9_SA_ENKSB_clEvENKSC_clEvEUljE_EEvS9_T2_RKT3_T4_EUlijE_EEvlNS_15PhiloxCudaStateET1_SK_,@function
_ZN2at6native12_GLOBAL__N_143distribution_elementwise_grid_stride_kernelIjLi4EZZZNS0_9templates4cuda13random_kernelIPNS_17CUDAGeneratorImplEEEvRNS_18TensorIteratorBaseET_ENKUlvE_clEvENKUlvE5_clEvEUlP25hiprandStatePhilox4_32_10E0_ZNS1_27distribution_nullary_kernelIfj15HIP_vector_typeIjLj4EES7_SF_ZZZNS5_IS7_EEvS9_SA_ENKSB_clEvENKSC_clEvEUljE_EEvS9_T2_RKT3_T4_EUlijE_EEvlNS_15PhiloxCudaStateET1_SK_: ; @_ZN2at6native12_GLOBAL__N_143distribution_elementwise_grid_stride_kernelIjLi4EZZZNS0_9templates4cuda13random_kernelIPNS_17CUDAGeneratorImplEEEvRNS_18TensorIteratorBaseET_ENKUlvE_clEvENKUlvE5_clEvEUlP25hiprandStatePhilox4_32_10E0_ZNS1_27distribution_nullary_kernelIfj15HIP_vector_typeIjLj4EES7_SF_ZZZNS5_IS7_EEvS9_SA_ENKSB_clEvENKSC_clEvEUljE_EEvS9_T2_RKT3_T4_EUlijE_EEvlNS_15PhiloxCudaStateET1_SK_
; %bb.0:
	s_load_dword s7, s[4:5], 0x20
	s_load_dwordx2 s[10:11], s[4:5], 0x10
	s_load_dwordx4 s[0:3], s[4:5], 0x0
	s_mov_b32 s8, 0
	s_waitcnt lgkmcnt(0)
	s_bitcmp0_b32 s7, 0
	v_pk_mov_b32 v[2:3], s[10:11], s[10:11] op_sel:[0,1]
	v_pk_mov_b32 v[14:15], s[2:3], s[2:3] op_sel:[0,1]
	s_cbranch_scc1 .LBB94_2
; %bb.1:
	v_pk_mov_b32 v[2:3], s[10:11], s[10:11] op_sel:[0,1]
	flat_load_dwordx2 v[2:3], v[2:3]
	v_pk_mov_b32 v[4:5], s[2:3], s[2:3] op_sel:[0,1]
	flat_load_dwordx2 v[14:15], v[4:5]
	s_load_dwordx2 s[2:3], s[4:5], 0x18
	s_waitcnt lgkmcnt(0)
	v_mov_b32_e32 v1, s3
	s_waitcnt vmcnt(0)
	v_add_co_u32_e32 v2, vcc, s2, v2
	v_addc_co_u32_e32 v3, vcc, v3, v1, vcc
.LBB94_2:
	s_load_dword s2, s[4:5], 0x4c
	s_load_dword s10, s[4:5], 0x40
	s_waitcnt lgkmcnt(0)
	s_and_b32 s7, s2, 0xffff
	s_add_u32 s11, s0, -1
	s_mul_i32 s12, s10, s7
	s_addc_u32 s9, s1, -1
	s_lshl_b32 s13, s12, 2
	s_cmp_lg_u64 s[8:9], 0
	s_mov_b64 s[2:3], -1
	s_cbranch_scc0 .LBB94_27
; %bb.3:
	v_cvt_f32_u32_e32 v1, s13
	v_cvt_f32_ubyte0_e32 v4, 0
	s_sub_u32 s8, 0, s13
	s_subb_u32 s14, 0, 0
	v_madmk_f32 v1, v4, 0x4f800000, v1
	v_rcp_f32_e32 v1, v1
	v_mul_f32_e32 v1, 0x5f7ffffc, v1
	v_mul_f32_e32 v4, 0x2f800000, v1
	v_trunc_f32_e32 v4, v4
	v_madmk_f32 v1, v4, 0xcf800000, v1
	v_cvt_u32_f32_e32 v4, v4
	v_cvt_u32_f32_e32 v1, v1
	v_readfirstlane_b32 s15, v4
	v_readfirstlane_b32 s16, v1
	s_mul_i32 s17, s8, s15
	s_mul_hi_u32 s19, s8, s16
	s_mul_i32 s18, s14, s16
	s_add_i32 s17, s19, s17
	s_add_i32 s17, s17, s18
	s_mul_i32 s20, s8, s16
	s_mul_hi_u32 s18, s16, s17
	s_mul_i32 s19, s16, s17
	s_mul_hi_u32 s16, s16, s20
	s_add_u32 s16, s16, s19
	s_addc_u32 s18, 0, s18
	s_mul_hi_u32 s21, s15, s20
	s_mul_i32 s20, s15, s20
	s_add_u32 s16, s16, s20
	s_mul_hi_u32 s19, s15, s17
	s_addc_u32 s16, s18, s21
	s_addc_u32 s18, s19, 0
	s_mul_i32 s17, s15, s17
	s_add_u32 s16, s16, s17
	s_addc_u32 s17, 0, s18
	v_add_co_u32_e32 v1, vcc, s16, v1
	s_cmp_lg_u64 vcc, 0
	s_addc_u32 s15, s15, s17
	v_readfirstlane_b32 s17, v1
	s_mul_i32 s16, s8, s15
	s_mul_hi_u32 s18, s8, s17
	s_add_i32 s16, s18, s16
	s_mul_i32 s14, s14, s17
	s_add_i32 s16, s16, s14
	s_mul_i32 s8, s8, s17
	s_mul_hi_u32 s18, s15, s8
	s_mul_i32 s19, s15, s8
	s_mul_i32 s21, s17, s16
	s_mul_hi_u32 s8, s17, s8
	s_mul_hi_u32 s20, s17, s16
	s_add_u32 s8, s8, s21
	s_addc_u32 s17, 0, s20
	s_add_u32 s8, s8, s19
	s_mul_hi_u32 s14, s15, s16
	s_addc_u32 s8, s17, s18
	s_addc_u32 s14, s14, 0
	s_mul_i32 s16, s15, s16
	s_add_u32 s8, s8, s16
	s_addc_u32 s14, 0, s14
	v_add_co_u32_e32 v1, vcc, s8, v1
	s_cmp_lg_u64 vcc, 0
	s_addc_u32 s16, s15, s14
	s_ashr_i32 s14, s9, 31
	s_add_u32 s8, s11, s14
	s_mov_b32 s15, s14
	s_addc_u32 s9, s9, s14
	s_xor_b64 s[8:9], s[8:9], s[14:15]
	v_readfirstlane_b32 s19, v1
	s_mul_i32 s18, s8, s16
	s_mul_hi_u32 s20, s8, s19
	s_mul_hi_u32 s17, s8, s16
	s_add_u32 s18, s20, s18
	s_addc_u32 s17, 0, s17
	s_mul_hi_u32 s21, s9, s19
	s_mul_i32 s19, s9, s19
	s_add_u32 s18, s18, s19
	s_mul_hi_u32 s20, s9, s16
	s_addc_u32 s17, s17, s21
	s_addc_u32 s18, s20, 0
	s_mul_i32 s16, s9, s16
	s_add_u32 s16, s17, s16
	s_addc_u32 s17, 0, s18
	s_add_u32 s18, s16, 1
	s_addc_u32 s19, s17, 0
	s_add_u32 s20, s16, 2
	s_mul_i32 s22, s13, s17
	s_mul_hi_u32 s23, s13, s16
	s_addc_u32 s21, s17, 0
	s_add_i32 s23, s23, s22
	s_mul_i32 s22, s13, s16
	v_mov_b32_e32 v1, s22
	v_sub_co_u32_e32 v1, vcc, s8, v1
	s_cmp_lg_u64 vcc, 0
	s_subb_u32 s8, s9, s23
	v_subrev_co_u32_e32 v4, vcc, s13, v1
	s_cmp_lg_u64 vcc, 0
	s_subb_u32 s9, s8, 0
	v_readfirstlane_b32 s22, v4
	s_cmp_ge_u32 s22, s13
	s_cselect_b32 s22, -1, 0
	s_cmp_eq_u32 s9, 0
	s_cselect_b32 s9, s22, -1
	s_cmp_lg_u32 s9, 0
	s_cselect_b32 s9, s21, s19
	v_readfirstlane_b32 s19, v1
	s_cselect_b32 s18, s20, s18
	s_cmp_ge_u32 s19, s13
	s_cselect_b32 s19, -1, 0
	s_cmp_eq_u32 s8, 0
	s_cselect_b32 s8, s19, -1
	s_cmp_lg_u32 s8, 0
	s_cselect_b32 s9, s9, s17
	s_cselect_b32 s8, s18, s16
	s_xor_b64 s[8:9], s[8:9], s[14:15]
	s_sub_u32 s8, s8, s14
	s_subb_u32 s9, s9, s14
	s_cbranch_execnz .LBB94_5
.LBB94_4:
	v_cvt_f32_u32_e32 v1, s13
	s_sub_i32 s2, 0, s13
	s_mov_b32 s9, 0
	v_rcp_iflag_f32_e32 v1, v1
	v_mul_f32_e32 v1, 0x4f7ffffe, v1
	v_cvt_u32_f32_e32 v1, v1
	v_readfirstlane_b32 s3, v1
	s_mul_i32 s2, s2, s3
	s_mul_hi_u32 s2, s3, s2
	s_add_i32 s3, s3, s2
	s_mul_hi_u32 s2, s11, s3
	s_mul_i32 s8, s2, s13
	s_sub_i32 s8, s11, s8
	s_add_i32 s3, s2, 1
	s_sub_i32 s11, s8, s13
	s_cmp_ge_u32 s8, s13
	s_cselect_b32 s2, s3, s2
	s_cselect_b32 s8, s11, s8
	s_add_i32 s3, s2, 1
	s_cmp_ge_u32 s8, s13
	s_cselect_b32 s8, s3, s2
.LBB94_5:
	v_mov_b32_e32 v1, 0
	v_mov_b32_e32 v4, s6
	v_mad_u64_u32 v[16:17], s[2:3], s7, v4, v[0:1]
	s_add_u32 s2, s8, 1
	s_addc_u32 s3, s9, 0
	s_mul_hi_u32 s8, s10, s7
	s_mul_i32 s3, s12, s3
	s_mul_hi_u32 s9, s12, s2
	s_add_i32 s3, s9, s3
	s_mul_i32 s8, s8, s2
	s_add_i32 s3, s3, s8
	s_mul_i32 s2, s12, s2
	s_lshl_b64 s[2:3], s[2:3], 2
	v_cmp_gt_i64_e32 vcc, s[2:3], v[16:17]
	s_and_saveexec_b64 s[8:9], vcc
	s_cbranch_execz .LBB94_26
; %bb.6:
	s_load_dwordx2 s[8:9], s[4:5], 0x30
	s_load_dword s11, s[4:5], 0x38
	s_mov_b32 s4, 0x5384540f
	v_mov_b32_e32 v4, v15
	v_add_co_u32_e32 v22, vcc, s4, v14
	s_mov_b32 s4, 0x646e171e
	v_add_co_u32_e32 v23, vcc, s4, v4
	s_mov_b32 s4, 0x1715609d
	;; [unrolled: 2-line block ×6, first 2 shown]
	v_alignbit_b32 v29, v3, v2, 2
	s_mov_b32 s15, 0xd2511f53
	v_add_co_u32_e32 v28, vcc, s4, v14
	v_mad_u64_u32 v[6:7], s[4:5], v29, s15, 0
	v_xor_b32_e32 v1, v7, v15
	v_xor_b32_e32 v1, v1, v17
	s_mov_b32 s16, 0xcd9e8d57
	v_mad_u64_u32 v[8:9], s[4:5], v1, s16, 0
	v_xor_b32_e32 v1, v28, v9
	v_mad_u64_u32 v[10:11], s[4:5], v16, s16, 0
	v_and_b32_e32 v18, 3, v2
	v_xor_b32_e32 v1, v1, v10
	v_xor_b32_e32 v2, v14, v11
	v_lshrrev_b32_e32 v30, 2, v3
	v_mad_u64_u32 v[12:13], s[4:5], v1, s15, 0
	v_xor_b32_e32 v2, v2, v30
	v_xor_b32_e32 v1, v27, v13
	v_mad_u64_u32 v[2:3], s[4:5], v2, s15, 0
	v_xor_b32_e32 v1, v1, v2
	v_mad_u64_u32 v[10:11], s[4:5], v1, s16, 0
	s_mov_b32 s4, 0xbb67ae85
	v_add_co_u32_e32 v31, vcc, s4, v4
	v_xor_b32_e32 v2, v31, v3
	v_xor_b32_e32 v2, v2, v6
	v_xor_b32_e32 v1, v26, v11
	v_mad_u64_u32 v[2:3], s[4:5], v2, s16, 0
	v_xor_b32_e32 v1, v1, v2
	v_mad_u64_u32 v[6:7], s[4:5], v1, s15, 0
	s_mov_b32 s4, 0x3c6ef372
	v_add_co_u32_e32 v32, vcc, s4, v14
	v_xor_b32_e32 v2, v32, v3
	;; [unrolled: 8-line block ×6, first 2 shown]
	v_add_co_u32_e32 v21, vcc, 0xdb3d7428, v4
	v_xor_b32_e32 v2, v2, v8
	v_xor_b32_e32 v1, v21, v7
	v_mad_u64_u32 v[2:3], s[4:5], v2, s15, 0
	v_xor_b32_e32 v1, v1, v2
	v_mad_u64_u32 v[8:9], s[4:5], v1, s16, 0
	s_mov_b32 s4, 0x1fd5c5a3
	v_add_co_u32_e32 v37, vcc, s4, v4
	v_xor_b32_e32 v1, v37, v3
	v_xor_b32_e32 v1, v1, v12
	v_mad_u64_u32 v[2:3], s[4:5], v1, s16, 0
	s_mov_b32 s4, 0xf1bbcdc8
	v_add_u32_e32 v19, 0x8ff34781, v14
	v_xor_b32_e32 v1, v9, v2
	v_add_co_u32_e32 v38, vcc, s4, v14
	v_xor_b32_e32 v2, v19, v1
	v_xor_b32_e32 v1, v38, v3
	;; [unrolled: 1-line block ×3, first 2 shown]
	v_mad_u64_u32 v[10:11], s[4:5], v1, s15, 0
	v_add_u32_e32 v20, 0x96a522ad, v15
	v_xor_b32_e32 v1, v11, v6
	s_mul_i32 s4, s6, s7
	v_xor_b32_e32 v4, v20, v1
	v_add_u32_e32 v1, s4, v0
	s_waitcnt lgkmcnt(0)
	s_mul_i32 s4, s10, s11
	s_mul_i32 s4, s4, s7
	s_lshl_b32 s21, s4, 2
	s_mul_i32 s4, s10, 3
	s_add_i32 s4, s6, s4
	s_mul_i32 s4, s4, s7
	v_mul_lo_u32 v39, s11, v1
	v_add_u32_e32 v1, s4, v0
	s_lshl_b32 s4, s10, 1
	s_add_i32 s4, s6, s4
	s_mul_i32 s4, s4, s7
	v_mul_lo_u32 v40, s11, v1
	v_add_u32_e32 v1, s4, v0
	s_add_i32 s4, s6, s10
	s_mul_i32 s4, s4, s7
	s_mov_b32 s14, 0
	v_add_u32_e32 v0, s4, v0
	v_mov_b32_e32 v3, v8
	v_mov_b32_e32 v5, v10
	s_lshl_b32 s17, s12, 1
	s_mov_b32 s18, s14
	s_mul_i32 s19, s12, 3
	s_mov_b32 s20, s14
	v_mul_lo_u32 v41, s11, v1
	v_mul_lo_u32 v42, s11, v0
	s_mov_b64 s[4:5], 0
	s_movk_i32 s22, 0xff01
	s_mov_b32 s23, s14
	v_mov_b32_e32 v43, v16
	v_mov_b32_e32 v44, v17
	s_branch .LBB94_8
.LBB94_7:                               ;   in Loop: Header=BB94_8 Depth=1
	s_or_b64 exec, exec, s[6:7]
	v_add_co_u32_e32 v16, vcc, s13, v16
	v_addc_co_u32_e32 v17, vcc, 0, v17, vcc
	v_mov_b32_e32 v9, v0
	s_add_i32 s23, s23, s21
	v_cmp_le_i64_e32 vcc, s[2:3], v[16:17]
	v_pk_mov_b32 v[2:3], v[6:7], v[6:7] op_sel:[0,1]
	s_or_b64 s[4:5], vcc, s[4:5]
	v_pk_mov_b32 v[4:5], v[8:9], v[8:9] op_sel:[0,1]
	s_barrier
	s_andn2_b64 exec, exec, s[4:5]
	s_cbranch_execz .LBB94_26
.LBB94_8:                               ; =>This Inner Loop Header: Depth=1
	v_add_co_u32_e32 v29, vcc, 1, v29
	v_cndmask_b32_e64 v0, 0, 1, vcc
	v_addc_co_u32_e32 v30, vcc, 0, v30, vcc
	v_cmp_eq_u32_e32 vcc, 0, v30
	v_cndmask_b32_e32 v0, 0, v0, vcc
	v_add_u32_e32 v43, v0, v43
	v_cmp_eq_u32_e32 vcc, 0, v43
	v_cndmask_b32_e32 v0, 0, v0, vcc
	v_add_u32_e32 v44, v0, v44
	v_mad_u64_u32 v[0:1], s[6:7], v29, s15, 0
	v_mad_u64_u32 v[6:7], s[6:7], v43, s16, 0
	v_xor_b32_e32 v1, v1, v15
	v_xor_b32_e32 v7, v7, v14
	v_xor_b32_e32 v1, v44, v1
	v_xor_b32_e32 v7, v30, v7
	v_mad_u64_u32 v[10:11], s[6:7], v1, s16, 0
	v_mad_u64_u32 v[8:9], s[6:7], v7, s15, 0
	v_xor_b32_e32 v1, v28, v11
	v_xor_b32_e32 v1, v1, v6
	v_xor_b32_e32 v6, v31, v9
	v_xor_b32_e32 v6, v6, v0
	v_mad_u64_u32 v[0:1], s[6:7], v1, s15, 0
	v_mad_u64_u32 v[6:7], s[6:7], v6, s16, 0
	v_xor_b32_e32 v1, v27, v1
	v_xor_b32_e32 v7, v32, v7
	v_xor_b32_e32 v1, v1, v8
	v_xor_b32_e32 v7, v7, v10
	v_mad_u64_u32 v[10:11], s[6:7], v1, s16, 0
	v_mad_u64_u32 v[8:9], s[6:7], v7, s15, 0
	v_xor_b32_e32 v1, v26, v11
	v_xor_b32_e32 v1, v1, v6
	v_xor_b32_e32 v6, v33, v9
	v_xor_b32_e32 v6, v6, v0
	v_mad_u64_u32 v[0:1], s[6:7], v1, s15, 0
	v_mad_u64_u32 v[6:7], s[6:7], v6, s16, 0
	v_xor_b32_e32 v1, v25, v1
	v_xor_b32_e32 v7, v34, v7
	v_xor_b32_e32 v1, v1, v8
	v_xor_b32_e32 v7, v7, v10
	v_mad_u64_u32 v[10:11], s[6:7], v1, s16, 0
	v_mad_u64_u32 v[8:9], s[6:7], v7, s15, 0
	v_xor_b32_e32 v1, v24, v11
	v_xor_b32_e32 v1, v1, v6
	v_xor_b32_e32 v6, v35, v9
	v_xor_b32_e32 v6, v6, v0
	v_mad_u64_u32 v[0:1], s[6:7], v1, s15, 0
	v_mad_u64_u32 v[6:7], s[6:7], v6, s16, 0
	v_xor_b32_e32 v1, v23, v1
	v_xor_b32_e32 v7, v36, v7
	v_xor_b32_e32 v1, v1, v8
	v_xor_b32_e32 v7, v7, v10
	v_mad_u64_u32 v[10:11], s[6:7], v1, s16, 0
	v_mad_u64_u32 v[8:9], s[6:7], v7, s15, 0
	v_xor_b32_e32 v1, v22, v11
	v_xor_b32_e32 v1, v1, v6
	v_xor_b32_e32 v6, v37, v9
	v_xor_b32_e32 v0, v6, v0
	v_mad_u64_u32 v[6:7], s[6:7], v0, s16, 0
	v_mad_u64_u32 v[46:47], s[6:7], v1, s15, 0
	v_xor_b32_e32 v0, v38, v7
	v_xor_b32_e32 v0, v0, v10
	v_xor_b32_e32 v1, v21, v47
	v_xor_b32_e32 v7, v1, v8
	v_mad_u64_u32 v[0:1], s[6:7], v0, s15, 0
	v_mad_u64_u32 v[12:13], s[6:7], v7, s16, 0
	v_xor_b32_e32 v1, v1, v46
	v_xor_b32_e32 v6, v13, v6
	v_xor_b32_e32 v13, v20, v1
	v_xor_b32_e32 v6, v19, v6
	v_mov_b32_e32 v7, v12
	v_mov_b32_e32 v8, v13
	v_cmp_lt_i32_e32 vcc, 1, v18
	s_and_saveexec_b64 s[6:7], vcc
	s_xor_b64 s[6:7], exec, s[6:7]
	s_cbranch_execnz .LBB94_18
; %bb.9:                                ;   in Loop: Header=BB94_8 Depth=1
	s_andn2_saveexec_b64 s[6:7], s[6:7]
	s_cbranch_execnz .LBB94_23
.LBB94_10:                              ;   in Loop: Header=BB94_8 Depth=1
	s_or_b64 exec, exec, s[6:7]
	v_cmp_gt_i64_e32 vcc, s[0:1], v[16:17]
	s_and_saveexec_b64 s[6:7], vcc
	s_cbranch_execz .LBB94_12
.LBB94_11:                              ;   in Loop: Header=BB94_8 Depth=1
	v_mul_hi_u32 v10, v2, s22
	v_lshrrev_b32_e32 v10, 24, v10
	v_lshl_add_u32 v10, v10, 24, v10
	v_sub_u32_e32 v2, v2, v10
	v_cvt_f32_u32_e32 v2, v2
	v_add_u32_e32 v1, s23, v39
	v_ashrrev_i32_e32 v9, 31, v1
	v_mov_b32_e32 v11, s9
	v_add_co_u32_e32 v10, vcc, s8, v1
	v_addc_co_u32_e32 v11, vcc, v11, v9, vcc
	global_store_dword v[10:11], v2, off
.LBB94_12:                              ;   in Loop: Header=BB94_8 Depth=1
	s_or_b64 exec, exec, s[6:7]
	v_mov_b32_e32 v1, s14
	v_add_co_u32_e32 v10, vcc, s12, v16
	v_addc_co_u32_e32 v11, vcc, v1, v17, vcc
	v_cmp_gt_i64_e32 vcc, s[0:1], v[10:11]
	s_and_saveexec_b64 s[6:7], vcc
	s_cbranch_execz .LBB94_14
; %bb.13:                               ;   in Loop: Header=BB94_8 Depth=1
	v_mul_hi_u32 v2, v3, s22
	v_lshrrev_b32_e32 v2, 24, v2
	v_lshl_add_u32 v2, v2, 24, v2
	v_sub_u32_e32 v2, v3, v2
	v_cvt_f32_u32_e32 v11, v2
	v_add_u32_e32 v1, s23, v42
	v_ashrrev_i32_e32 v9, 31, v1
	v_mov_b32_e32 v10, s9
	v_add_co_u32_e32 v2, vcc, s8, v1
	v_addc_co_u32_e32 v3, vcc, v10, v9, vcc
	global_store_dword v[2:3], v11, off
.LBB94_14:                              ;   in Loop: Header=BB94_8 Depth=1
	s_or_b64 exec, exec, s[6:7]
	v_mov_b32_e32 v1, s18
	v_add_co_u32_e32 v2, vcc, s17, v16
	v_addc_co_u32_e32 v3, vcc, v1, v17, vcc
	v_cmp_gt_i64_e32 vcc, s[0:1], v[2:3]
	s_and_saveexec_b64 s[6:7], vcc
	s_cbranch_execz .LBB94_16
; %bb.15:                               ;   in Loop: Header=BB94_8 Depth=1
	v_mul_hi_u32 v2, v4, s22
	v_lshrrev_b32_e32 v2, 24, v2
	v_lshl_add_u32 v2, v2, 24, v2
	v_sub_u32_e32 v2, v4, v2
	v_cvt_f32_u32_e32 v4, v2
	v_add_u32_e32 v1, s23, v41
	v_ashrrev_i32_e32 v3, 31, v1
	v_mov_b32_e32 v9, s9
	v_add_co_u32_e32 v2, vcc, s8, v1
	v_addc_co_u32_e32 v3, vcc, v9, v3, vcc
	global_store_dword v[2:3], v4, off
.LBB94_16:                              ;   in Loop: Header=BB94_8 Depth=1
	s_or_b64 exec, exec, s[6:7]
	v_mov_b32_e32 v1, s20
	v_add_co_u32_e32 v2, vcc, s19, v16
	v_addc_co_u32_e32 v3, vcc, v1, v17, vcc
	v_cmp_gt_i64_e32 vcc, s[0:1], v[2:3]
	s_and_saveexec_b64 s[6:7], vcc
	s_cbranch_execz .LBB94_7
; %bb.17:                               ;   in Loop: Header=BB94_8 Depth=1
	v_mul_hi_u32 v2, v5, s22
	v_lshrrev_b32_e32 v2, 24, v2
	v_lshl_add_u32 v2, v2, 24, v2
	v_sub_u32_e32 v2, v5, v2
	v_cvt_f32_u32_e32 v5, v2
	v_add_u32_e32 v1, s23, v40
	v_ashrrev_i32_e32 v3, 31, v1
	v_mov_b32_e32 v4, s9
	v_add_co_u32_e32 v2, vcc, s8, v1
	v_addc_co_u32_e32 v3, vcc, v4, v3, vcc
	global_store_dword v[2:3], v5, off
	s_branch .LBB94_7
.LBB94_18:                              ;   in Loop: Header=BB94_8 Depth=1
	v_cmp_lt_i32_e32 vcc, 2, v18
	s_and_saveexec_b64 s[10:11], vcc
	s_xor_b64 s[10:11], exec, s[10:11]
; %bb.19:                               ;   in Loop: Header=BB94_8 Depth=1
	v_mov_b32_e32 v10, v5
	v_mov_b32_e32 v11, v6
	v_pk_mov_b32 v[2:3], v[10:11], v[10:11] op_sel:[0,1]
	v_pk_mov_b32 v[4:5], v[12:13], v[12:13] op_sel:[0,1]
                                        ; implicit-def: $vgpr12_vgpr13
; %bb.20:                               ;   in Loop: Header=BB94_8 Depth=1
	s_andn2_saveexec_b64 s[10:11], s[10:11]
; %bb.21:                               ;   in Loop: Header=BB94_8 Depth=1
	v_mov_b32_e32 v2, v4
	v_mov_b32_e32 v3, v5
	;; [unrolled: 1-line block ×4, first 2 shown]
; %bb.22:                               ;   in Loop: Header=BB94_8 Depth=1
	s_or_b64 exec, exec, s[10:11]
	s_andn2_saveexec_b64 s[6:7], s[6:7]
	s_cbranch_execz .LBB94_10
.LBB94_23:                              ;   in Loop: Header=BB94_8 Depth=1
	v_cmp_eq_u32_e32 vcc, 1, v18
	s_and_saveexec_b64 s[10:11], vcc
; %bb.24:                               ;   in Loop: Header=BB94_8 Depth=1
	v_mov_b32_e32 v2, v3
	v_mov_b32_e32 v3, v4
	v_mov_b32_e32 v4, v5
	v_mov_b32_e32 v5, v6
; %bb.25:                               ;   in Loop: Header=BB94_8 Depth=1
	s_or_b64 exec, exec, s[10:11]
	s_or_b64 exec, exec, s[6:7]
	v_cmp_gt_i64_e32 vcc, s[0:1], v[16:17]
	s_and_saveexec_b64 s[6:7], vcc
	s_cbranch_execnz .LBB94_11
	s_branch .LBB94_12
.LBB94_26:
	s_endpgm
.LBB94_27:
                                        ; implicit-def: $sgpr8_sgpr9
	s_andn2_b64 vcc, exec, s[2:3]
	s_cbranch_vccz .LBB94_4
	s_branch .LBB94_5
	.section	.rodata,"a",@progbits
	.p2align	6, 0x0
	.amdhsa_kernel _ZN2at6native12_GLOBAL__N_143distribution_elementwise_grid_stride_kernelIjLi4EZZZNS0_9templates4cuda13random_kernelIPNS_17CUDAGeneratorImplEEEvRNS_18TensorIteratorBaseET_ENKUlvE_clEvENKUlvE5_clEvEUlP25hiprandStatePhilox4_32_10E0_ZNS1_27distribution_nullary_kernelIfj15HIP_vector_typeIjLj4EES7_SF_ZZZNS5_IS7_EEvS9_SA_ENKSB_clEvENKSC_clEvEUljE_EEvS9_T2_RKT3_T4_EUlijE_EEvlNS_15PhiloxCudaStateET1_SK_
		.amdhsa_group_segment_fixed_size 0
		.amdhsa_private_segment_fixed_size 0
		.amdhsa_kernarg_size 320
		.amdhsa_user_sgpr_count 6
		.amdhsa_user_sgpr_private_segment_buffer 1
		.amdhsa_user_sgpr_dispatch_ptr 0
		.amdhsa_user_sgpr_queue_ptr 0
		.amdhsa_user_sgpr_kernarg_segment_ptr 1
		.amdhsa_user_sgpr_dispatch_id 0
		.amdhsa_user_sgpr_flat_scratch_init 0
		.amdhsa_user_sgpr_kernarg_preload_length 0
		.amdhsa_user_sgpr_kernarg_preload_offset 0
		.amdhsa_user_sgpr_private_segment_size 0
		.amdhsa_uses_dynamic_stack 0
		.amdhsa_system_sgpr_private_segment_wavefront_offset 0
		.amdhsa_system_sgpr_workgroup_id_x 1
		.amdhsa_system_sgpr_workgroup_id_y 0
		.amdhsa_system_sgpr_workgroup_id_z 0
		.amdhsa_system_sgpr_workgroup_info 0
		.amdhsa_system_vgpr_workitem_id 0
		.amdhsa_next_free_vgpr 48
		.amdhsa_next_free_sgpr 24
		.amdhsa_accum_offset 48
		.amdhsa_reserve_vcc 1
		.amdhsa_reserve_flat_scratch 0
		.amdhsa_float_round_mode_32 0
		.amdhsa_float_round_mode_16_64 0
		.amdhsa_float_denorm_mode_32 3
		.amdhsa_float_denorm_mode_16_64 3
		.amdhsa_dx10_clamp 1
		.amdhsa_ieee_mode 1
		.amdhsa_fp16_overflow 0
		.amdhsa_tg_split 0
		.amdhsa_exception_fp_ieee_invalid_op 0
		.amdhsa_exception_fp_denorm_src 0
		.amdhsa_exception_fp_ieee_div_zero 0
		.amdhsa_exception_fp_ieee_overflow 0
		.amdhsa_exception_fp_ieee_underflow 0
		.amdhsa_exception_fp_ieee_inexact 0
		.amdhsa_exception_int_div_zero 0
	.end_amdhsa_kernel
	.section	.text._ZN2at6native12_GLOBAL__N_143distribution_elementwise_grid_stride_kernelIjLi4EZZZNS0_9templates4cuda13random_kernelIPNS_17CUDAGeneratorImplEEEvRNS_18TensorIteratorBaseET_ENKUlvE_clEvENKUlvE5_clEvEUlP25hiprandStatePhilox4_32_10E0_ZNS1_27distribution_nullary_kernelIfj15HIP_vector_typeIjLj4EES7_SF_ZZZNS5_IS7_EEvS9_SA_ENKSB_clEvENKSC_clEvEUljE_EEvS9_T2_RKT3_T4_EUlijE_EEvlNS_15PhiloxCudaStateET1_SK_,"axG",@progbits,_ZN2at6native12_GLOBAL__N_143distribution_elementwise_grid_stride_kernelIjLi4EZZZNS0_9templates4cuda13random_kernelIPNS_17CUDAGeneratorImplEEEvRNS_18TensorIteratorBaseET_ENKUlvE_clEvENKUlvE5_clEvEUlP25hiprandStatePhilox4_32_10E0_ZNS1_27distribution_nullary_kernelIfj15HIP_vector_typeIjLj4EES7_SF_ZZZNS5_IS7_EEvS9_SA_ENKSB_clEvENKSC_clEvEUljE_EEvS9_T2_RKT3_T4_EUlijE_EEvlNS_15PhiloxCudaStateET1_SK_,comdat
.Lfunc_end94:
	.size	_ZN2at6native12_GLOBAL__N_143distribution_elementwise_grid_stride_kernelIjLi4EZZZNS0_9templates4cuda13random_kernelIPNS_17CUDAGeneratorImplEEEvRNS_18TensorIteratorBaseET_ENKUlvE_clEvENKUlvE5_clEvEUlP25hiprandStatePhilox4_32_10E0_ZNS1_27distribution_nullary_kernelIfj15HIP_vector_typeIjLj4EES7_SF_ZZZNS5_IS7_EEvS9_SA_ENKSB_clEvENKSC_clEvEUljE_EEvS9_T2_RKT3_T4_EUlijE_EEvlNS_15PhiloxCudaStateET1_SK_, .Lfunc_end94-_ZN2at6native12_GLOBAL__N_143distribution_elementwise_grid_stride_kernelIjLi4EZZZNS0_9templates4cuda13random_kernelIPNS_17CUDAGeneratorImplEEEvRNS_18TensorIteratorBaseET_ENKUlvE_clEvENKUlvE5_clEvEUlP25hiprandStatePhilox4_32_10E0_ZNS1_27distribution_nullary_kernelIfj15HIP_vector_typeIjLj4EES7_SF_ZZZNS5_IS7_EEvS9_SA_ENKSB_clEvENKSC_clEvEUljE_EEvS9_T2_RKT3_T4_EUlijE_EEvlNS_15PhiloxCudaStateET1_SK_
                                        ; -- End function
	.section	.AMDGPU.csdata,"",@progbits
; Kernel info:
; codeLenInByte = 2452
; NumSgprs: 28
; NumVgprs: 48
; NumAgprs: 0
; TotalNumVgprs: 48
; ScratchSize: 0
; MemoryBound: 0
; FloatMode: 240
; IeeeMode: 1
; LDSByteSize: 0 bytes/workgroup (compile time only)
; SGPRBlocks: 3
; VGPRBlocks: 5
; NumSGPRsForWavesPerEU: 28
; NumVGPRsForWavesPerEU: 48
; AccumOffset: 48
; Occupancy: 8
; WaveLimiterHint : 0
; COMPUTE_PGM_RSRC2:SCRATCH_EN: 0
; COMPUTE_PGM_RSRC2:USER_SGPR: 6
; COMPUTE_PGM_RSRC2:TRAP_HANDLER: 0
; COMPUTE_PGM_RSRC2:TGID_X_EN: 1
; COMPUTE_PGM_RSRC2:TGID_Y_EN: 0
; COMPUTE_PGM_RSRC2:TGID_Z_EN: 0
; COMPUTE_PGM_RSRC2:TIDIG_COMP_CNT: 0
; COMPUTE_PGM_RSRC3_GFX90A:ACCUM_OFFSET: 11
; COMPUTE_PGM_RSRC3_GFX90A:TG_SPLIT: 0
	.section	.text._ZN2at6native12_GLOBAL__N_143distribution_elementwise_grid_stride_kernelIjLi4EZZZNS0_9templates4cuda13random_kernelIPNS_17CUDAGeneratorImplEEEvRNS_18TensorIteratorBaseET_ENKUlvE_clEvENKUlvE5_clEvEUlP25hiprandStatePhilox4_32_10E0_ZNS1_27distribution_nullary_kernelIfj15HIP_vector_typeIjLj4EES7_SF_ZZZNS5_IS7_EEvS9_SA_ENKSB_clEvENKSC_clEvEUljE_EEvS9_T2_RKT3_T4_EUlijE0_EEvlNS_15PhiloxCudaStateET1_SK_,"axG",@progbits,_ZN2at6native12_GLOBAL__N_143distribution_elementwise_grid_stride_kernelIjLi4EZZZNS0_9templates4cuda13random_kernelIPNS_17CUDAGeneratorImplEEEvRNS_18TensorIteratorBaseET_ENKUlvE_clEvENKUlvE5_clEvEUlP25hiprandStatePhilox4_32_10E0_ZNS1_27distribution_nullary_kernelIfj15HIP_vector_typeIjLj4EES7_SF_ZZZNS5_IS7_EEvS9_SA_ENKSB_clEvENKSC_clEvEUljE_EEvS9_T2_RKT3_T4_EUlijE0_EEvlNS_15PhiloxCudaStateET1_SK_,comdat
	.globl	_ZN2at6native12_GLOBAL__N_143distribution_elementwise_grid_stride_kernelIjLi4EZZZNS0_9templates4cuda13random_kernelIPNS_17CUDAGeneratorImplEEEvRNS_18TensorIteratorBaseET_ENKUlvE_clEvENKUlvE5_clEvEUlP25hiprandStatePhilox4_32_10E0_ZNS1_27distribution_nullary_kernelIfj15HIP_vector_typeIjLj4EES7_SF_ZZZNS5_IS7_EEvS9_SA_ENKSB_clEvENKSC_clEvEUljE_EEvS9_T2_RKT3_T4_EUlijE0_EEvlNS_15PhiloxCudaStateET1_SK_ ; -- Begin function _ZN2at6native12_GLOBAL__N_143distribution_elementwise_grid_stride_kernelIjLi4EZZZNS0_9templates4cuda13random_kernelIPNS_17CUDAGeneratorImplEEEvRNS_18TensorIteratorBaseET_ENKUlvE_clEvENKUlvE5_clEvEUlP25hiprandStatePhilox4_32_10E0_ZNS1_27distribution_nullary_kernelIfj15HIP_vector_typeIjLj4EES7_SF_ZZZNS5_IS7_EEvS9_SA_ENKSB_clEvENKSC_clEvEUljE_EEvS9_T2_RKT3_T4_EUlijE0_EEvlNS_15PhiloxCudaStateET1_SK_
	.p2align	8
	.type	_ZN2at6native12_GLOBAL__N_143distribution_elementwise_grid_stride_kernelIjLi4EZZZNS0_9templates4cuda13random_kernelIPNS_17CUDAGeneratorImplEEEvRNS_18TensorIteratorBaseET_ENKUlvE_clEvENKUlvE5_clEvEUlP25hiprandStatePhilox4_32_10E0_ZNS1_27distribution_nullary_kernelIfj15HIP_vector_typeIjLj4EES7_SF_ZZZNS5_IS7_EEvS9_SA_ENKSB_clEvENKSC_clEvEUljE_EEvS9_T2_RKT3_T4_EUlijE0_EEvlNS_15PhiloxCudaStateET1_SK_,@function
_ZN2at6native12_GLOBAL__N_143distribution_elementwise_grid_stride_kernelIjLi4EZZZNS0_9templates4cuda13random_kernelIPNS_17CUDAGeneratorImplEEEvRNS_18TensorIteratorBaseET_ENKUlvE_clEvENKUlvE5_clEvEUlP25hiprandStatePhilox4_32_10E0_ZNS1_27distribution_nullary_kernelIfj15HIP_vector_typeIjLj4EES7_SF_ZZZNS5_IS7_EEvS9_SA_ENKSB_clEvENKSC_clEvEUljE_EEvS9_T2_RKT3_T4_EUlijE0_EEvlNS_15PhiloxCudaStateET1_SK_: ; @_ZN2at6native12_GLOBAL__N_143distribution_elementwise_grid_stride_kernelIjLi4EZZZNS0_9templates4cuda13random_kernelIPNS_17CUDAGeneratorImplEEEvRNS_18TensorIteratorBaseET_ENKUlvE_clEvENKUlvE5_clEvEUlP25hiprandStatePhilox4_32_10E0_ZNS1_27distribution_nullary_kernelIfj15HIP_vector_typeIjLj4EES7_SF_ZZZNS5_IS7_EEvS9_SA_ENKSB_clEvENKSC_clEvEUljE_EEvS9_T2_RKT3_T4_EUlijE0_EEvlNS_15PhiloxCudaStateET1_SK_
; %bb.0:
	s_load_dword s2, s[4:5], 0x20
	s_load_dwordx2 s[0:1], s[4:5], 0x10
	s_load_dwordx4 s[24:27], s[4:5], 0x0
	s_waitcnt lgkmcnt(0)
	s_bitcmp0_b32 s2, 0
	s_mov_b32 s2, 0
	v_pk_mov_b32 v[2:3], s[0:1], s[0:1] op_sel:[0,1]
	v_pk_mov_b32 v[12:13], s[26:27], s[26:27] op_sel:[0,1]
	s_cbranch_scc1 .LBB95_2
; %bb.1:
	v_pk_mov_b32 v[2:3], s[0:1], s[0:1] op_sel:[0,1]
	flat_load_dwordx2 v[2:3], v[2:3]
	v_pk_mov_b32 v[4:5], s[26:27], s[26:27] op_sel:[0,1]
	flat_load_dwordx2 v[12:13], v[4:5]
	s_load_dwordx2 s[0:1], s[4:5], 0x18
	s_waitcnt lgkmcnt(0)
	v_mov_b32_e32 v1, s1
	s_waitcnt vmcnt(0)
	v_add_co_u32_e32 v2, vcc, s0, v2
	v_addc_co_u32_e32 v3, vcc, v3, v1, vcc
.LBB95_2:
	s_load_dword s0, s[4:5], 0x154
	s_load_dword s7, s[4:5], 0x148
	s_waitcnt lgkmcnt(0)
	s_and_b32 s8, s0, 0xffff
	s_add_u32 s9, s24, -1
	s_mul_i32 s33, s7, s8
	s_addc_u32 s3, s25, -1
	s_lshl_b32 s58, s33, 2
	s_cmp_lg_u64 s[2:3], 0
	s_mov_b64 s[0:1], -1
	s_cbranch_scc0 .LBB95_83
; %bb.3:
	v_cvt_f32_u32_e32 v1, s58
	v_cvt_f32_ubyte0_e32 v4, 0
	s_sub_u32 s2, 0, s58
	s_subb_u32 s10, 0, 0
	v_madmk_f32 v1, v4, 0x4f800000, v1
	v_rcp_f32_e32 v1, v1
	v_mul_f32_e32 v1, 0x5f7ffffc, v1
	v_mul_f32_e32 v4, 0x2f800000, v1
	v_trunc_f32_e32 v4, v4
	v_madmk_f32 v1, v4, 0xcf800000, v1
	v_cvt_u32_f32_e32 v4, v4
	v_cvt_u32_f32_e32 v1, v1
	v_readfirstlane_b32 s11, v4
	v_readfirstlane_b32 s12, v1
	s_mul_i32 s13, s2, s11
	s_mul_hi_u32 s15, s2, s12
	s_mul_i32 s14, s10, s12
	s_add_i32 s13, s15, s13
	s_add_i32 s13, s13, s14
	s_mul_i32 s16, s2, s12
	s_mul_hi_u32 s14, s12, s13
	s_mul_i32 s15, s12, s13
	s_mul_hi_u32 s12, s12, s16
	s_add_u32 s12, s12, s15
	s_addc_u32 s14, 0, s14
	s_mul_hi_u32 s17, s11, s16
	s_mul_i32 s16, s11, s16
	s_add_u32 s12, s12, s16
	s_mul_hi_u32 s15, s11, s13
	s_addc_u32 s12, s14, s17
	s_addc_u32 s14, s15, 0
	s_mul_i32 s13, s11, s13
	s_add_u32 s12, s12, s13
	s_addc_u32 s13, 0, s14
	v_add_co_u32_e32 v1, vcc, s12, v1
	s_cmp_lg_u64 vcc, 0
	s_addc_u32 s11, s11, s13
	v_readfirstlane_b32 s13, v1
	s_mul_i32 s12, s2, s11
	s_mul_hi_u32 s14, s2, s13
	s_add_i32 s12, s14, s12
	s_mul_i32 s10, s10, s13
	s_add_i32 s12, s12, s10
	s_mul_i32 s2, s2, s13
	s_mul_hi_u32 s14, s11, s2
	s_mul_i32 s15, s11, s2
	s_mul_i32 s17, s13, s12
	s_mul_hi_u32 s2, s13, s2
	s_mul_hi_u32 s16, s13, s12
	s_add_u32 s2, s2, s17
	s_addc_u32 s13, 0, s16
	s_add_u32 s2, s2, s15
	s_mul_hi_u32 s10, s11, s12
	s_addc_u32 s2, s13, s14
	s_addc_u32 s10, s10, 0
	s_mul_i32 s12, s11, s12
	s_add_u32 s2, s2, s12
	s_addc_u32 s10, 0, s10
	v_add_co_u32_e32 v1, vcc, s2, v1
	s_cmp_lg_u64 vcc, 0
	s_addc_u32 s12, s11, s10
	s_ashr_i32 s10, s3, 31
	s_add_u32 s2, s9, s10
	s_mov_b32 s11, s10
	s_addc_u32 s3, s3, s10
	s_xor_b64 s[2:3], s[2:3], s[10:11]
	v_readfirstlane_b32 s15, v1
	s_mul_i32 s14, s2, s12
	s_mul_hi_u32 s16, s2, s15
	s_mul_hi_u32 s13, s2, s12
	s_add_u32 s14, s16, s14
	s_addc_u32 s13, 0, s13
	s_mul_hi_u32 s17, s3, s15
	s_mul_i32 s15, s3, s15
	s_add_u32 s14, s14, s15
	s_mul_hi_u32 s16, s3, s12
	s_addc_u32 s13, s13, s17
	s_addc_u32 s14, s16, 0
	s_mul_i32 s12, s3, s12
	s_add_u32 s12, s13, s12
	s_addc_u32 s13, 0, s14
	s_add_u32 s14, s12, 1
	s_addc_u32 s15, s13, 0
	s_add_u32 s16, s12, 2
	s_mul_i32 s18, s58, s13
	s_mul_hi_u32 s19, s58, s12
	s_addc_u32 s17, s13, 0
	s_add_i32 s19, s19, s18
	s_mul_i32 s18, s58, s12
	v_mov_b32_e32 v1, s18
	v_sub_co_u32_e32 v1, vcc, s2, v1
	s_cmp_lg_u64 vcc, 0
	s_subb_u32 s2, s3, s19
	v_subrev_co_u32_e32 v4, vcc, s58, v1
	s_cmp_lg_u64 vcc, 0
	s_subb_u32 s3, s2, 0
	v_readfirstlane_b32 s18, v4
	s_cmp_ge_u32 s18, s58
	s_cselect_b32 s18, -1, 0
	s_cmp_eq_u32 s3, 0
	s_cselect_b32 s3, s18, -1
	s_cmp_lg_u32 s3, 0
	s_cselect_b32 s3, s17, s15
	v_readfirstlane_b32 s15, v1
	s_cselect_b32 s14, s16, s14
	s_cmp_ge_u32 s15, s58
	s_cselect_b32 s15, -1, 0
	s_cmp_eq_u32 s2, 0
	s_cselect_b32 s2, s15, -1
	s_cmp_lg_u32 s2, 0
	s_cselect_b32 s3, s3, s13
	s_cselect_b32 s2, s14, s12
	s_xor_b64 s[2:3], s[2:3], s[10:11]
	s_sub_u32 s2, s2, s10
	s_subb_u32 s3, s3, s10
	s_cbranch_execnz .LBB95_5
.LBB95_4:
	v_cvt_f32_u32_e32 v1, s58
	s_sub_i32 s0, 0, s58
	s_mov_b32 s3, 0
	v_rcp_iflag_f32_e32 v1, v1
	v_mul_f32_e32 v1, 0x4f7ffffe, v1
	v_cvt_u32_f32_e32 v1, v1
	v_readfirstlane_b32 s1, v1
	s_mul_i32 s0, s0, s1
	s_mul_hi_u32 s0, s1, s0
	s_add_i32 s1, s1, s0
	s_mul_hi_u32 s0, s9, s1
	s_mul_i32 s2, s0, s58
	s_sub_i32 s2, s9, s2
	s_add_i32 s1, s0, 1
	s_sub_i32 s9, s2, s58
	s_cmp_ge_u32 s2, s58
	s_cselect_b32 s0, s1, s0
	s_cselect_b32 s2, s9, s2
	s_add_i32 s1, s0, 1
	s_cmp_ge_u32 s2, s58
	s_cselect_b32 s2, s1, s0
.LBB95_5:
	v_mov_b32_e32 v1, 0
	v_mov_b32_e32 v4, s6
	v_mad_u64_u32 v[14:15], s[0:1], s8, v4, v[0:1]
	s_add_u32 s0, s2, 1
	s_addc_u32 s1, s3, 0
	s_mul_hi_u32 s2, s7, s8
	s_mul_i32 s1, s33, s1
	s_mul_hi_u32 s3, s33, s0
	s_add_i32 s1, s3, s1
	s_mul_i32 s2, s2, s0
	s_add_i32 s1, s1, s2
	s_mul_i32 s0, s33, s0
	s_lshl_b64 s[26:27], s[0:1], 2
	v_cmp_gt_i64_e32 vcc, s[26:27], v[14:15]
	s_and_saveexec_b64 s[0:1], vcc
	s_cbranch_execz .LBB95_82
; %bb.6:
	s_mov_b32 s0, 0x5384540f
	v_mov_b32_e32 v0, v13
	v_add_co_u32_e32 v22, vcc, s0, v12
	s_mov_b32 s0, 0x646e171e
	v_add_co_u32_e32 v23, vcc, s0, v0
	s_mov_b32 s0, 0x1715609d
	;; [unrolled: 2-line block ×6, first 2 shown]
	v_alignbit_b32 v29, v3, v2, 2
	s_mov_b32 s60, 0xd2511f53
	v_add_co_u32_e32 v28, vcc, s0, v12
	v_mad_u64_u32 v[4:5], s[0:1], v29, s60, 0
	v_xor_b32_e32 v1, v5, v13
	v_xor_b32_e32 v1, v1, v15
	s_mov_b32 s61, 0xcd9e8d57
	v_mad_u64_u32 v[6:7], s[0:1], v1, s61, 0
	v_xor_b32_e32 v1, v28, v7
	v_mad_u64_u32 v[8:9], s[0:1], v14, s61, 0
	v_and_b32_e32 v18, 3, v2
	v_xor_b32_e32 v1, v1, v8
	v_xor_b32_e32 v2, v12, v9
	v_lshrrev_b32_e32 v30, 2, v3
	v_mad_u64_u32 v[10:11], s[0:1], v1, s60, 0
	v_xor_b32_e32 v2, v2, v30
	v_xor_b32_e32 v1, v27, v11
	v_mad_u64_u32 v[2:3], s[0:1], v2, s60, 0
	v_xor_b32_e32 v1, v1, v2
	v_mad_u64_u32 v[8:9], s[0:1], v1, s61, 0
	s_mov_b32 s0, 0xbb67ae85
	v_add_co_u32_e32 v31, vcc, s0, v0
	v_xor_b32_e32 v2, v31, v3
	v_xor_b32_e32 v2, v2, v4
	v_xor_b32_e32 v1, v26, v9
	v_mad_u64_u32 v[2:3], s[0:1], v2, s61, 0
	v_xor_b32_e32 v1, v1, v2
	v_mad_u64_u32 v[4:5], s[0:1], v1, s60, 0
	s_mov_b32 s0, 0x3c6ef372
	v_add_co_u32_e32 v32, vcc, s0, v12
	v_xor_b32_e32 v2, v32, v3
	;; [unrolled: 8-line block ×6, first 2 shown]
	v_add_co_u32_e32 v21, vcc, 0xdb3d7428, v0
	v_xor_b32_e32 v2, v2, v6
	v_xor_b32_e32 v1, v21, v5
	v_mad_u64_u32 v[2:3], s[0:1], v2, s60, 0
	v_xor_b32_e32 v1, v1, v2
	v_mad_u64_u32 v[6:7], s[0:1], v1, s61, 0
	s_mov_b32 s0, 0x1fd5c5a3
	v_add_co_u32_e32 v37, vcc, s0, v0
	v_xor_b32_e32 v0, v37, v3
	v_xor_b32_e32 v0, v0, v10
	v_mad_u64_u32 v[0:1], s[0:1], v0, s61, 0
	s_mov_b32 s0, 0xf1bbcdc8
	s_load_dwordx8 s[8:15], s[4:5], 0x30
	v_add_co_u32_e32 v38, vcc, s0, v12
	v_xor_b32_e32 v1, v38, v1
	v_xor_b32_e32 v1, v1, v8
	s_add_u32 s34, s4, 48
	v_mad_u64_u32 v[8:9], s[0:1], v1, s60, 0
	s_addc_u32 s35, s5, 0
	s_waitcnt lgkmcnt(0)
	s_add_i32 s0, s8, -1
	s_cmp_gt_u32 s0, 1
	s_cselect_b64 s[36:37], -1, 0
	s_cmp_lg_u32 s8, 0
	s_cselect_b64 s[38:39], -1, 0
	s_add_u32 s40, s4, 0xf4
	s_addc_u32 s41, s5, 0
	s_min_u32 s1, s0, 15
	s_cmp_gt_u32 s8, 1
	s_cselect_b64 s[42:43], -1, 0
	s_add_i32 s1, s1, 1
	s_mov_b32 s8, s13
	s_load_dwordx2 s[44:45], s[4:5], 0xf4
	s_load_dwordx2 s[46:47], s[4:5], 0x138
	s_lshl_b32 s13, s33, 1
	s_and_b32 s64, s1, 3
	s_cmp_lg_u32 s0, 2
	s_cselect_b64 s[48:49], -1, 0
	s_and_b32 s65, s1, 28
	s_mov_b32 s59, 0
	v_add_u32_e32 v19, 0x8ff34781, v12
	v_add_u32_e32 v20, 0x96a522ad, v13
	v_xor_b32_e32 v0, v7, v0
	v_xor_b32_e32 v1, v9, v4
	s_cmp_lg_u32 s64, 0
	v_xor_b32_e32 v0, v19, v0
	v_xor_b32_e32 v2, v20, v1
	v_mov_b32_e32 v1, v6
	v_mov_b32_e32 v3, v8
	s_mov_b32 s15, s59
	s_mul_i32 s62, s33, 3
	s_mov_b32 s63, s59
	s_mov_b64 s[50:51], 0
	s_cselect_b64 s[52:53], -1, 0
	s_movk_i32 s66, 0xff01
	v_mov_b32_e32 v39, v14
	v_mov_b32_e32 v40, v15
	s_branch .LBB95_9
.LBB95_7:                               ;   in Loop: Header=BB95_9 Depth=1
	v_mul_hi_u32 v0, v3, s66
	v_lshrrev_b32_e32 v0, 24, v0
	v_lshl_add_u32 v0, v0, 24, v0
	v_sub_u32_e32 v0, v3, v0
	v_cvt_f32_u32_e32 v0, v0
	s_waitcnt lgkmcnt(0)
	global_store_dword v8, v0, s[46:47]
.LBB95_8:                               ;   in Loop: Header=BB95_9 Depth=1
	s_or_b64 exec, exec, s[28:29]
	v_add_co_u32_e32 v14, vcc, s58, v14
	v_addc_co_u32_e32 v15, vcc, 0, v15, vcc
	v_mov_b32_e32 v7, v16
	v_cmp_le_i64_e32 vcc, s[26:27], v[14:15]
	v_pk_mov_b32 v[0:1], v[4:5], v[4:5] op_sel:[0,1]
	s_or_b64 s[50:51], vcc, s[50:51]
	v_pk_mov_b32 v[2:3], v[6:7], v[6:7] op_sel:[0,1]
	s_waitcnt lgkmcnt(0)
	s_barrier
	s_andn2_b64 exec, exec, s[50:51]
	s_cbranch_execz .LBB95_82
.LBB95_9:                               ; =>This Loop Header: Depth=1
                                        ;     Child Loop BB95_24 Depth 2
                                        ;     Child Loop BB95_30 Depth 2
	;; [unrolled: 1-line block ×8, first 2 shown]
	v_add_co_u32_e32 v29, vcc, 1, v29
	v_cndmask_b32_e64 v4, 0, 1, vcc
	v_addc_co_u32_e32 v30, vcc, 0, v30, vcc
	v_cmp_eq_u32_e32 vcc, 0, v30
	v_cndmask_b32_e32 v4, 0, v4, vcc
	v_add_u32_e32 v39, v4, v39
	v_cmp_eq_u32_e32 vcc, 0, v39
	v_cndmask_b32_e32 v4, 0, v4, vcc
	v_add_u32_e32 v40, v4, v40
	v_mad_u64_u32 v[4:5], s[0:1], v29, s60, 0
	v_mad_u64_u32 v[6:7], s[0:1], v39, s61, 0
	v_xor_b32_e32 v5, v5, v13
	v_xor_b32_e32 v7, v7, v12
	v_xor_b32_e32 v5, v40, v5
	v_xor_b32_e32 v7, v30, v7
	v_mad_u64_u32 v[10:11], s[0:1], v5, s61, 0
	v_mad_u64_u32 v[8:9], s[0:1], v7, s60, 0
	v_xor_b32_e32 v5, v28, v11
	v_xor_b32_e32 v5, v5, v6
	v_xor_b32_e32 v6, v31, v9
	v_xor_b32_e32 v6, v6, v4
	;; [unrolled: 6-line block ×10, first 2 shown]
	v_mov_b32_e32 v5, v10
	v_mov_b32_e32 v6, v11
	v_cmp_lt_i32_e32 vcc, 1, v18
	s_and_saveexec_b64 s[0:1], vcc
	s_xor_b64 s[0:1], exec, s[0:1]
	s_cbranch_execz .LBB95_15
; %bb.10:                               ;   in Loop: Header=BB95_9 Depth=1
	v_cmp_lt_i32_e32 vcc, 2, v18
	s_and_saveexec_b64 s[2:3], vcc
	s_xor_b64 s[2:3], exec, s[2:3]
; %bb.11:                               ;   in Loop: Header=BB95_9 Depth=1
	v_mov_b32_e32 v8, v3
	v_mov_b32_e32 v9, v4
	v_pk_mov_b32 v[0:1], v[8:9], v[8:9] op_sel:[0,1]
	v_pk_mov_b32 v[2:3], v[10:11], v[10:11] op_sel:[0,1]
                                        ; implicit-def: $vgpr10_vgpr11
; %bb.12:                               ;   in Loop: Header=BB95_9 Depth=1
	s_andn2_saveexec_b64 s[2:3], s[2:3]
; %bb.13:                               ;   in Loop: Header=BB95_9 Depth=1
	v_mov_b32_e32 v0, v2
	v_mov_b32_e32 v1, v3
	;; [unrolled: 1-line block ×4, first 2 shown]
; %bb.14:                               ;   in Loop: Header=BB95_9 Depth=1
	s_or_b64 exec, exec, s[2:3]
.LBB95_15:                              ;   in Loop: Header=BB95_9 Depth=1
	s_andn2_saveexec_b64 s[0:1], s[0:1]
	s_cbranch_execz .LBB95_19
; %bb.16:                               ;   in Loop: Header=BB95_9 Depth=1
	v_cmp_eq_u32_e32 vcc, 1, v18
	s_and_saveexec_b64 s[2:3], vcc
; %bb.17:                               ;   in Loop: Header=BB95_9 Depth=1
	v_mov_b32_e32 v0, v1
	v_mov_b32_e32 v1, v2
	;; [unrolled: 1-line block ×4, first 2 shown]
; %bb.18:                               ;   in Loop: Header=BB95_9 Depth=1
	s_or_b64 exec, exec, s[2:3]
.LBB95_19:                              ;   in Loop: Header=BB95_9 Depth=1
	s_or_b64 exec, exec, s[0:1]
	v_cndmask_b32_e64 v7, 0, 1, s[36:37]
	v_cmp_gt_i64_e32 vcc, s[24:25], v[14:15]
	v_cmp_ne_u32_e64 s[0:1], 1, v7
	s_and_saveexec_b64 s[2:3], vcc
	s_cbranch_execz .LBB95_35
; %bb.20:                               ;   in Loop: Header=BB95_9 Depth=1
	s_and_b64 vcc, exec, s[0:1]
	s_cbranch_vccnz .LBB95_26
; %bb.21:                               ;   in Loop: Header=BB95_9 Depth=1
	s_andn2_b64 vcc, exec, s[38:39]
	s_cbranch_vccnz .LBB95_27
; %bb.22:                               ;   in Loop: Header=BB95_9 Depth=1
	s_mov_b32 s6, 0
	s_andn2_b64 vcc, exec, s[48:49]
	v_mov_b32_e32 v8, 0
	s_cbranch_vccnz .LBB95_28
; %bb.23:                               ;   in Loop: Header=BB95_9 Depth=1
	s_mov_b32 s67, 0
	v_mov_b32_e32 v8, 0
	s_mov_b64 s[54:55], s[34:35]
	s_mov_b64 s[56:57], s[40:41]
	v_mov_b32_e32 v7, v14
.LBB95_24:                              ;   Parent Loop BB95_9 Depth=1
                                        ; =>  This Inner Loop Header: Depth=2
	s_load_dwordx8 s[16:23], s[54:55], 0x4
	s_load_dwordx4 s[4:7], s[54:55], 0x24
	s_load_dwordx4 s[28:31], s[56:57], 0x0
	s_add_u32 s54, s54, 48
	s_addc_u32 s55, s55, 0
	s_waitcnt lgkmcnt(0)
	v_mul_hi_u32 v9, s17, v7
	v_add_u32_e32 v9, v7, v9
	v_lshrrev_b32_e32 v9, s18, v9
	v_mul_lo_u32 v10, v9, s16
	v_mul_hi_u32 v11, s20, v9
	v_sub_u32_e32 v7, v7, v10
	v_add_u32_e32 v10, v9, v11
	v_lshrrev_b32_e32 v10, s21, v10
	v_mul_lo_u32 v11, v10, s19
	v_mul_hi_u32 v17, s23, v10
	v_sub_u32_e32 v9, v9, v11
	v_add_u32_e32 v11, v10, v17
	v_mul_lo_u32 v7, v7, s28
	v_mul_lo_u32 v9, v9, s29
	v_lshrrev_b32_e32 v11, s4, v11
	v_add3_u32 v8, v7, v8, v9
	v_mul_lo_u32 v7, v11, s22
	v_mul_hi_u32 v9, s6, v11
	v_sub_u32_e32 v7, v10, v7
	v_add_u32_e32 v9, v11, v9
	v_mul_lo_u32 v10, v7, s30
	v_lshrrev_b32_e32 v7, s7, v9
	s_add_i32 s67, s67, 4
	v_mul_lo_u32 v9, v7, s5
	s_add_u32 s56, s56, 16
	v_sub_u32_e32 v9, v11, v9
	s_addc_u32 s57, s57, 0
	v_mul_lo_u32 v9, v9, s31
	s_cmp_lg_u32 s65, s67
	v_add3_u32 v8, v10, v8, v9
	s_cbranch_scc1 .LBB95_24
; %bb.25:                               ;   in Loop: Header=BB95_9 Depth=1
	s_mov_b32 s6, s65
	s_andn2_b64 vcc, exec, s[52:53]
	s_cbranch_vccz .LBB95_29
	s_branch .LBB95_31
.LBB95_26:                              ;   in Loop: Header=BB95_9 Depth=1
                                        ; implicit-def: $vgpr8
	s_branch .LBB95_32
.LBB95_27:                              ;   in Loop: Header=BB95_9 Depth=1
	v_mov_b32_e32 v8, 0
	s_branch .LBB95_31
.LBB95_28:                              ;   in Loop: Header=BB95_9 Depth=1
	v_mov_b32_e32 v7, v14
	s_andn2_b64 vcc, exec, s[52:53]
	s_cbranch_vccnz .LBB95_31
.LBB95_29:                              ;   in Loop: Header=BB95_9 Depth=1
	s_lshl_b32 s4, s6, 2
	s_add_u32 s4, s40, s4
	s_addc_u32 s5, s41, 0
	s_mul_i32 s6, s6, 12
	s_add_u32 s6, s34, s6
	s_addc_u32 s7, s35, 0
	s_mov_b32 s16, s64
.LBB95_30:                              ;   Parent Loop BB95_9 Depth=1
                                        ; =>  This Inner Loop Header: Depth=2
	s_load_dwordx2 s[18:19], s[6:7], 0x4
	s_load_dword s17, s[6:7], 0xc
	s_load_dword s20, s[4:5], 0x0
	s_add_u32 s6, s6, 12
	s_addc_u32 s7, s7, 0
	s_waitcnt lgkmcnt(0)
	v_mul_hi_u32 v9, s19, v7
	v_add_u32_e32 v9, v7, v9
	v_lshrrev_b32_e32 v9, s17, v9
	s_add_u32 s4, s4, 4
	v_mul_lo_u32 v10, v9, s18
	s_addc_u32 s5, s5, 0
	s_add_i32 s16, s16, -1
	v_sub_u32_e32 v10, v7, v10
	s_cmp_lg_u32 s16, 0
	v_mov_b32_e32 v7, v9
	v_mad_u64_u32 v[8:9], s[18:19], v10, s20, v[8:9]
	s_cbranch_scc1 .LBB95_30
.LBB95_31:                              ;   in Loop: Header=BB95_9 Depth=1
	s_cbranch_execnz .LBB95_34
.LBB95_32:                              ;   in Loop: Header=BB95_9 Depth=1
	v_mul_hi_u32 v7, v14, s10
	v_add_u32_e32 v7, v7, v14
	v_lshrrev_b32_e32 v7, s11, v7
	v_mul_lo_u32 v8, v7, s9
	v_sub_u32_e32 v8, v14, v8
	s_andn2_b64 vcc, exec, s[42:43]
	s_waitcnt lgkmcnt(0)
	v_mul_lo_u32 v8, v8, s44
	s_cbranch_vccnz .LBB95_34
; %bb.33:                               ;   in Loop: Header=BB95_9 Depth=1
	v_mul_hi_u32 v9, s8, v7
	v_add_u32_e32 v9, v7, v9
	v_lshrrev_b32_e32 v9, s14, v9
	v_mul_lo_u32 v9, v9, s12
	v_sub_u32_e32 v7, v7, v9
	v_mad_u64_u32 v[8:9], s[4:5], v7, s45, v[8:9]
.LBB95_34:                              ;   in Loop: Header=BB95_9 Depth=1
	v_mul_hi_u32 v7, v0, s66
	v_lshrrev_b32_e32 v7, 24, v7
	v_lshl_add_u32 v7, v7, 24, v7
	v_sub_u32_e32 v0, v0, v7
	v_cvt_f32_u32_e32 v0, v0
	s_waitcnt lgkmcnt(0)
	global_store_dword v8, v0, s[46:47]
.LBB95_35:                              ;   in Loop: Header=BB95_9 Depth=1
	s_or_b64 exec, exec, s[2:3]
	v_mov_b32_e32 v0, s59
	v_add_co_u32_e32 v8, vcc, s33, v14
	v_addc_co_u32_e32 v9, vcc, v15, v0, vcc
	v_cmp_gt_i64_e32 vcc, s[24:25], v[8:9]
	s_and_saveexec_b64 s[2:3], vcc
	s_cbranch_execz .LBB95_51
; %bb.36:                               ;   in Loop: Header=BB95_9 Depth=1
	s_and_b64 vcc, exec, s[0:1]
	s_cbranch_vccnz .LBB95_42
; %bb.37:                               ;   in Loop: Header=BB95_9 Depth=1
	s_andn2_b64 vcc, exec, s[38:39]
	s_cbranch_vccnz .LBB95_43
; %bb.38:                               ;   in Loop: Header=BB95_9 Depth=1
	s_mov_b32 s6, 0
	s_andn2_b64 vcc, exec, s[48:49]
	v_mov_b32_e32 v10, 0
	s_cbranch_vccnz .LBB95_44
; %bb.39:                               ;   in Loop: Header=BB95_9 Depth=1
	s_mov_b32 s67, 0
	v_mov_b32_e32 v10, 0
	s_mov_b64 s[54:55], s[34:35]
	s_mov_b64 s[56:57], s[40:41]
	v_mov_b32_e32 v0, v8
.LBB95_40:                              ;   Parent Loop BB95_9 Depth=1
                                        ; =>  This Inner Loop Header: Depth=2
	s_load_dwordx8 s[16:23], s[54:55], 0x4
	s_load_dwordx4 s[4:7], s[54:55], 0x24
	s_load_dwordx4 s[28:31], s[56:57], 0x0
	s_add_u32 s54, s54, 48
	s_addc_u32 s55, s55, 0
	s_waitcnt lgkmcnt(0)
	v_mul_hi_u32 v7, s17, v0
	v_add_u32_e32 v7, v0, v7
	v_lshrrev_b32_e32 v7, s18, v7
	v_mul_lo_u32 v9, v7, s16
	v_mul_hi_u32 v11, s20, v7
	v_sub_u32_e32 v0, v0, v9
	v_add_u32_e32 v9, v7, v11
	v_lshrrev_b32_e32 v9, s21, v9
	v_mul_lo_u32 v11, v9, s19
	v_mul_hi_u32 v17, s23, v9
	v_sub_u32_e32 v7, v7, v11
	v_add_u32_e32 v11, v9, v17
	v_mul_lo_u32 v0, v0, s28
	v_mul_lo_u32 v7, v7, s29
	v_lshrrev_b32_e32 v11, s4, v11
	v_add3_u32 v7, v0, v10, v7
	v_mul_lo_u32 v0, v11, s22
	v_mul_hi_u32 v10, s6, v11
	v_sub_u32_e32 v0, v9, v0
	v_add_u32_e32 v9, v11, v10
	v_mul_lo_u32 v10, v0, s30
	v_lshrrev_b32_e32 v0, s7, v9
	s_add_i32 s67, s67, 4
	v_mul_lo_u32 v9, v0, s5
	s_add_u32 s56, s56, 16
	v_sub_u32_e32 v9, v11, v9
	s_addc_u32 s57, s57, 0
	v_mul_lo_u32 v9, v9, s31
	s_cmp_eq_u32 s65, s67
	v_add3_u32 v10, v10, v7, v9
	s_cbranch_scc0 .LBB95_40
; %bb.41:                               ;   in Loop: Header=BB95_9 Depth=1
	s_mov_b32 s6, s65
	s_andn2_b64 vcc, exec, s[52:53]
	s_cbranch_vccz .LBB95_45
	s_branch .LBB95_47
.LBB95_42:                              ;   in Loop: Header=BB95_9 Depth=1
                                        ; implicit-def: $vgpr10
	s_branch .LBB95_48
.LBB95_43:                              ;   in Loop: Header=BB95_9 Depth=1
	v_mov_b32_e32 v10, 0
	s_branch .LBB95_47
.LBB95_44:                              ;   in Loop: Header=BB95_9 Depth=1
	v_mov_b32_e32 v0, v8
	s_andn2_b64 vcc, exec, s[52:53]
	s_cbranch_vccnz .LBB95_47
.LBB95_45:                              ;   in Loop: Header=BB95_9 Depth=1
	s_lshl_b32 s4, s6, 2
	s_add_u32 s4, s40, s4
	s_addc_u32 s5, s41, 0
	s_mul_i32 s6, s6, 12
	s_add_u32 s6, s34, s6
	s_addc_u32 s7, s35, 0
	s_mov_b32 s16, s64
.LBB95_46:                              ;   Parent Loop BB95_9 Depth=1
                                        ; =>  This Inner Loop Header: Depth=2
	s_load_dwordx2 s[18:19], s[6:7], 0x4
	s_load_dword s17, s[6:7], 0xc
	s_load_dword s20, s[4:5], 0x0
	s_add_u32 s6, s6, 12
	s_addc_u32 s7, s7, 0
	s_waitcnt lgkmcnt(0)
	v_mul_hi_u32 v7, s19, v0
	v_add_u32_e32 v7, v0, v7
	v_lshrrev_b32_e32 v7, s17, v7
	s_add_u32 s4, s4, 4
	v_mul_lo_u32 v9, v7, s18
	s_addc_u32 s5, s5, 0
	s_add_i32 s16, s16, -1
	v_sub_u32_e32 v9, v0, v9
	s_cmp_lg_u32 s16, 0
	v_mov_b32_e32 v0, v7
	v_mad_u64_u32 v[10:11], s[18:19], v9, s20, v[10:11]
	s_cbranch_scc1 .LBB95_46
.LBB95_47:                              ;   in Loop: Header=BB95_9 Depth=1
	s_cbranch_execnz .LBB95_50
.LBB95_48:                              ;   in Loop: Header=BB95_9 Depth=1
	v_mul_hi_u32 v0, v8, s10
	v_add_u32_e32 v0, v0, v8
	v_lshrrev_b32_e32 v0, s11, v0
	v_mul_lo_u32 v7, v0, s9
	v_sub_u32_e32 v7, v8, v7
	s_andn2_b64 vcc, exec, s[42:43]
	s_waitcnt lgkmcnt(0)
	v_mul_lo_u32 v10, v7, s44
	s_cbranch_vccnz .LBB95_50
; %bb.49:                               ;   in Loop: Header=BB95_9 Depth=1
	v_mul_hi_u32 v7, s8, v0
	v_add_u32_e32 v7, v0, v7
	v_lshrrev_b32_e32 v7, s14, v7
	v_mul_lo_u32 v7, v7, s12
	v_sub_u32_e32 v0, v0, v7
	v_mad_u64_u32 v[10:11], s[4:5], v0, s45, v[10:11]
.LBB95_50:                              ;   in Loop: Header=BB95_9 Depth=1
	v_mul_hi_u32 v0, v1, s66
	v_lshrrev_b32_e32 v0, 24, v0
	v_lshl_add_u32 v0, v0, 24, v0
	v_sub_u32_e32 v0, v1, v0
	v_cvt_f32_u32_e32 v0, v0
	s_waitcnt lgkmcnt(0)
	global_store_dword v10, v0, s[46:47]
.LBB95_51:                              ;   in Loop: Header=BB95_9 Depth=1
	s_or_b64 exec, exec, s[2:3]
	v_mov_b32_e32 v1, s15
	v_add_co_u32_e32 v0, vcc, s13, v14
	v_addc_co_u32_e32 v1, vcc, v15, v1, vcc
	v_cmp_gt_i64_e32 vcc, s[24:25], v[0:1]
	s_and_saveexec_b64 s[2:3], vcc
	s_cbranch_execz .LBB95_67
; %bb.52:                               ;   in Loop: Header=BB95_9 Depth=1
	s_and_b64 vcc, exec, s[0:1]
	s_cbranch_vccnz .LBB95_58
; %bb.53:                               ;   in Loop: Header=BB95_9 Depth=1
	s_andn2_b64 vcc, exec, s[38:39]
	s_cbranch_vccnz .LBB95_59
; %bb.54:                               ;   in Loop: Header=BB95_9 Depth=1
	s_mov_b32 s6, 0
	s_andn2_b64 vcc, exec, s[48:49]
	v_mov_b32_e32 v8, 0
	s_cbranch_vccnz .LBB95_60
; %bb.55:                               ;   in Loop: Header=BB95_9 Depth=1
	s_mov_b32 s67, 0
	v_mov_b32_e32 v8, 0
	s_mov_b64 s[54:55], s[34:35]
	s_mov_b64 s[56:57], s[40:41]
	v_mov_b32_e32 v1, v0
.LBB95_56:                              ;   Parent Loop BB95_9 Depth=1
                                        ; =>  This Inner Loop Header: Depth=2
	s_load_dwordx8 s[16:23], s[54:55], 0x4
	s_load_dwordx4 s[4:7], s[54:55], 0x24
	s_load_dwordx4 s[28:31], s[56:57], 0x0
	s_add_u32 s54, s54, 48
	s_addc_u32 s55, s55, 0
	s_waitcnt lgkmcnt(0)
	v_mul_hi_u32 v7, s17, v1
	v_add_u32_e32 v7, v1, v7
	v_lshrrev_b32_e32 v7, s18, v7
	v_mul_lo_u32 v9, v7, s16
	v_mul_hi_u32 v10, s20, v7
	v_sub_u32_e32 v1, v1, v9
	v_add_u32_e32 v9, v7, v10
	v_lshrrev_b32_e32 v9, s21, v9
	v_mul_lo_u32 v10, v9, s19
	v_mul_hi_u32 v11, s23, v9
	v_sub_u32_e32 v7, v7, v10
	v_add_u32_e32 v10, v9, v11
	v_mul_lo_u32 v1, v1, s28
	v_mul_lo_u32 v7, v7, s29
	v_lshrrev_b32_e32 v10, s4, v10
	v_add3_u32 v7, v1, v8, v7
	v_mul_lo_u32 v1, v10, s22
	v_mul_hi_u32 v8, s6, v10
	v_sub_u32_e32 v1, v9, v1
	v_add_u32_e32 v8, v10, v8
	v_mul_lo_u32 v9, v1, s30
	v_lshrrev_b32_e32 v1, s7, v8
	s_add_i32 s67, s67, 4
	v_mul_lo_u32 v8, v1, s5
	s_add_u32 s56, s56, 16
	v_sub_u32_e32 v8, v10, v8
	s_addc_u32 s57, s57, 0
	v_mul_lo_u32 v8, v8, s31
	s_cmp_eq_u32 s65, s67
	v_add3_u32 v8, v9, v7, v8
	s_cbranch_scc0 .LBB95_56
; %bb.57:                               ;   in Loop: Header=BB95_9 Depth=1
	s_mov_b32 s6, s65
	s_andn2_b64 vcc, exec, s[52:53]
	s_cbranch_vccz .LBB95_61
	s_branch .LBB95_63
.LBB95_58:                              ;   in Loop: Header=BB95_9 Depth=1
                                        ; implicit-def: $vgpr8
	s_branch .LBB95_64
.LBB95_59:                              ;   in Loop: Header=BB95_9 Depth=1
	v_mov_b32_e32 v8, 0
	s_branch .LBB95_63
.LBB95_60:                              ;   in Loop: Header=BB95_9 Depth=1
	v_mov_b32_e32 v1, v0
	s_andn2_b64 vcc, exec, s[52:53]
	s_cbranch_vccnz .LBB95_63
.LBB95_61:                              ;   in Loop: Header=BB95_9 Depth=1
	s_lshl_b32 s4, s6, 2
	s_add_u32 s4, s40, s4
	s_addc_u32 s5, s41, 0
	s_mul_i32 s6, s6, 12
	s_add_u32 s6, s34, s6
	s_addc_u32 s7, s35, 0
	s_mov_b32 s16, s64
.LBB95_62:                              ;   Parent Loop BB95_9 Depth=1
                                        ; =>  This Inner Loop Header: Depth=2
	s_load_dwordx2 s[18:19], s[6:7], 0x4
	s_load_dword s17, s[6:7], 0xc
	s_load_dword s20, s[4:5], 0x0
	s_add_u32 s6, s6, 12
	s_addc_u32 s7, s7, 0
	s_waitcnt lgkmcnt(0)
	v_mul_hi_u32 v7, s19, v1
	v_add_u32_e32 v7, v1, v7
	v_lshrrev_b32_e32 v7, s17, v7
	s_add_u32 s4, s4, 4
	v_mul_lo_u32 v9, v7, s18
	s_addc_u32 s5, s5, 0
	s_add_i32 s16, s16, -1
	v_sub_u32_e32 v9, v1, v9
	s_cmp_lg_u32 s16, 0
	v_mov_b32_e32 v1, v7
	v_mad_u64_u32 v[8:9], s[18:19], v9, s20, v[8:9]
	s_cbranch_scc1 .LBB95_62
.LBB95_63:                              ;   in Loop: Header=BB95_9 Depth=1
	s_cbranch_execnz .LBB95_66
.LBB95_64:                              ;   in Loop: Header=BB95_9 Depth=1
	v_mul_hi_u32 v1, v0, s10
	v_add_u32_e32 v1, v1, v0
	v_lshrrev_b32_e32 v1, s11, v1
	v_mul_lo_u32 v7, v1, s9
	v_sub_u32_e32 v0, v0, v7
	s_andn2_b64 vcc, exec, s[42:43]
	s_waitcnt lgkmcnt(0)
	v_mul_lo_u32 v8, v0, s44
	s_cbranch_vccnz .LBB95_66
; %bb.65:                               ;   in Loop: Header=BB95_9 Depth=1
	v_mul_hi_u32 v0, s8, v1
	v_add_u32_e32 v0, v1, v0
	v_lshrrev_b32_e32 v0, s14, v0
	v_mul_lo_u32 v0, v0, s12
	v_sub_u32_e32 v0, v1, v0
	v_mad_u64_u32 v[8:9], s[4:5], v0, s45, v[8:9]
.LBB95_66:                              ;   in Loop: Header=BB95_9 Depth=1
	v_mul_hi_u32 v0, v2, s66
	v_lshrrev_b32_e32 v0, 24, v0
	v_lshl_add_u32 v0, v0, 24, v0
	v_sub_u32_e32 v0, v2, v0
	v_cvt_f32_u32_e32 v0, v0
	s_waitcnt lgkmcnt(0)
	global_store_dword v8, v0, s[46:47]
.LBB95_67:                              ;   in Loop: Header=BB95_9 Depth=1
	s_or_b64 exec, exec, s[2:3]
	v_mov_b32_e32 v1, s63
	v_add_co_u32_e32 v0, vcc, s62, v14
	v_addc_co_u32_e32 v1, vcc, v15, v1, vcc
	v_cmp_gt_i64_e32 vcc, s[24:25], v[0:1]
	s_and_saveexec_b64 s[28:29], vcc
	s_cbranch_execz .LBB95_8
; %bb.68:                               ;   in Loop: Header=BB95_9 Depth=1
	s_and_b64 vcc, exec, s[0:1]
	s_cbranch_vccnz .LBB95_74
; %bb.69:                               ;   in Loop: Header=BB95_9 Depth=1
	s_andn2_b64 vcc, exec, s[38:39]
	s_cbranch_vccnz .LBB95_75
; %bb.70:                               ;   in Loop: Header=BB95_9 Depth=1
	s_mov_b32 s2, 0
	s_andn2_b64 vcc, exec, s[48:49]
	v_mov_b32_e32 v8, 0
	s_cbranch_vccnz .LBB95_76
; %bb.71:                               ;   in Loop: Header=BB95_9 Depth=1
	s_mov_b32 s56, 0
	v_mov_b32_e32 v8, 0
	s_mov_b64 s[30:31], s[34:35]
	s_mov_b64 s[54:55], s[40:41]
	v_mov_b32_e32 v1, v0
.LBB95_72:                              ;   Parent Loop BB95_9 Depth=1
                                        ; =>  This Inner Loop Header: Depth=2
	s_load_dwordx8 s[0:7], s[30:31], 0x4
	s_load_dwordx4 s[16:19], s[30:31], 0x24
	s_load_dwordx4 s[20:23], s[54:55], 0x0
	s_add_u32 s30, s30, 48
	s_addc_u32 s31, s31, 0
	s_waitcnt lgkmcnt(0)
	v_mul_hi_u32 v2, s1, v1
	v_add_u32_e32 v2, v1, v2
	v_lshrrev_b32_e32 v2, s2, v2
	v_mul_lo_u32 v7, v2, s0
	v_mul_hi_u32 v9, s4, v2
	v_sub_u32_e32 v1, v1, v7
	v_add_u32_e32 v7, v2, v9
	v_lshrrev_b32_e32 v7, s5, v7
	v_mul_lo_u32 v9, v7, s3
	v_mul_hi_u32 v10, s7, v7
	v_sub_u32_e32 v2, v2, v9
	v_add_u32_e32 v9, v7, v10
	v_mul_lo_u32 v1, v1, s20
	v_mul_lo_u32 v2, v2, s21
	v_lshrrev_b32_e32 v9, s16, v9
	v_add3_u32 v2, v1, v8, v2
	v_mul_lo_u32 v1, v9, s6
	v_mul_hi_u32 v8, s18, v9
	v_sub_u32_e32 v1, v7, v1
	v_add_u32_e32 v7, v9, v8
	v_mul_lo_u32 v8, v1, s22
	v_lshrrev_b32_e32 v1, s19, v7
	s_add_i32 s56, s56, 4
	v_mul_lo_u32 v7, v1, s17
	s_add_u32 s54, s54, 16
	v_sub_u32_e32 v7, v9, v7
	s_addc_u32 s55, s55, 0
	v_mul_lo_u32 v7, v7, s23
	s_cmp_eq_u32 s65, s56
	v_add3_u32 v8, v8, v2, v7
	s_cbranch_scc0 .LBB95_72
; %bb.73:                               ;   in Loop: Header=BB95_9 Depth=1
	s_mov_b32 s2, s65
	s_andn2_b64 vcc, exec, s[52:53]
	s_cbranch_vccz .LBB95_77
	s_branch .LBB95_79
.LBB95_74:                              ;   in Loop: Header=BB95_9 Depth=1
                                        ; implicit-def: $vgpr8
	s_branch .LBB95_80
.LBB95_75:                              ;   in Loop: Header=BB95_9 Depth=1
	v_mov_b32_e32 v8, 0
	s_branch .LBB95_79
.LBB95_76:                              ;   in Loop: Header=BB95_9 Depth=1
	v_mov_b32_e32 v1, v0
	s_andn2_b64 vcc, exec, s[52:53]
	s_cbranch_vccnz .LBB95_79
.LBB95_77:                              ;   in Loop: Header=BB95_9 Depth=1
	s_lshl_b32 s0, s2, 2
	s_add_u32 s0, s40, s0
	s_addc_u32 s1, s41, 0
	s_mul_i32 s2, s2, 12
	s_add_u32 s2, s34, s2
	s_addc_u32 s3, s35, 0
	s_mov_b32 s4, s64
.LBB95_78:                              ;   Parent Loop BB95_9 Depth=1
                                        ; =>  This Inner Loop Header: Depth=2
	s_load_dwordx2 s[6:7], s[2:3], 0x4
	s_load_dword s5, s[2:3], 0xc
	s_load_dword s16, s[0:1], 0x0
	s_add_u32 s2, s2, 12
	s_addc_u32 s3, s3, 0
	s_waitcnt lgkmcnt(0)
	v_mul_hi_u32 v2, s7, v1
	v_add_u32_e32 v2, v1, v2
	v_lshrrev_b32_e32 v2, s5, v2
	s_add_u32 s0, s0, 4
	v_mul_lo_u32 v7, v2, s6
	s_addc_u32 s1, s1, 0
	s_add_i32 s4, s4, -1
	v_sub_u32_e32 v7, v1, v7
	s_cmp_lg_u32 s4, 0
	v_mov_b32_e32 v1, v2
	v_mad_u64_u32 v[8:9], s[6:7], v7, s16, v[8:9]
	s_cbranch_scc1 .LBB95_78
.LBB95_79:                              ;   in Loop: Header=BB95_9 Depth=1
	s_cbranch_execnz .LBB95_7
.LBB95_80:                              ;   in Loop: Header=BB95_9 Depth=1
	v_mul_hi_u32 v1, v0, s10
	v_add_u32_e32 v1, v1, v0
	v_lshrrev_b32_e32 v1, s11, v1
	v_mul_lo_u32 v2, v1, s9
	v_sub_u32_e32 v0, v0, v2
	s_andn2_b64 vcc, exec, s[42:43]
	s_waitcnt lgkmcnt(0)
	v_mul_lo_u32 v8, v0, s44
	s_cbranch_vccnz .LBB95_7
; %bb.81:                               ;   in Loop: Header=BB95_9 Depth=1
	v_mul_hi_u32 v0, s8, v1
	v_add_u32_e32 v0, v1, v0
	v_lshrrev_b32_e32 v0, s14, v0
	v_mul_lo_u32 v0, v0, s12
	v_sub_u32_e32 v0, v1, v0
	v_mad_u64_u32 v[8:9], s[0:1], v0, s45, v[8:9]
	s_branch .LBB95_7
.LBB95_82:
	s_endpgm
.LBB95_83:
                                        ; implicit-def: $sgpr2_sgpr3
	s_andn2_b64 vcc, exec, s[0:1]
	s_cbranch_vccz .LBB95_4
	s_branch .LBB95_5
	.section	.rodata,"a",@progbits
	.p2align	6, 0x0
	.amdhsa_kernel _ZN2at6native12_GLOBAL__N_143distribution_elementwise_grid_stride_kernelIjLi4EZZZNS0_9templates4cuda13random_kernelIPNS_17CUDAGeneratorImplEEEvRNS_18TensorIteratorBaseET_ENKUlvE_clEvENKUlvE5_clEvEUlP25hiprandStatePhilox4_32_10E0_ZNS1_27distribution_nullary_kernelIfj15HIP_vector_typeIjLj4EES7_SF_ZZZNS5_IS7_EEvS9_SA_ENKSB_clEvENKSC_clEvEUljE_EEvS9_T2_RKT3_T4_EUlijE0_EEvlNS_15PhiloxCudaStateET1_SK_
		.amdhsa_group_segment_fixed_size 0
		.amdhsa_private_segment_fixed_size 0
		.amdhsa_kernarg_size 584
		.amdhsa_user_sgpr_count 6
		.amdhsa_user_sgpr_private_segment_buffer 1
		.amdhsa_user_sgpr_dispatch_ptr 0
		.amdhsa_user_sgpr_queue_ptr 0
		.amdhsa_user_sgpr_kernarg_segment_ptr 1
		.amdhsa_user_sgpr_dispatch_id 0
		.amdhsa_user_sgpr_flat_scratch_init 0
		.amdhsa_user_sgpr_kernarg_preload_length 0
		.amdhsa_user_sgpr_kernarg_preload_offset 0
		.amdhsa_user_sgpr_private_segment_size 0
		.amdhsa_uses_dynamic_stack 0
		.amdhsa_system_sgpr_private_segment_wavefront_offset 0
		.amdhsa_system_sgpr_workgroup_id_x 1
		.amdhsa_system_sgpr_workgroup_id_y 0
		.amdhsa_system_sgpr_workgroup_id_z 0
		.amdhsa_system_sgpr_workgroup_info 0
		.amdhsa_system_vgpr_workitem_id 0
		.amdhsa_next_free_vgpr 41
		.amdhsa_next_free_sgpr 68
		.amdhsa_accum_offset 44
		.amdhsa_reserve_vcc 1
		.amdhsa_reserve_flat_scratch 0
		.amdhsa_float_round_mode_32 0
		.amdhsa_float_round_mode_16_64 0
		.amdhsa_float_denorm_mode_32 3
		.amdhsa_float_denorm_mode_16_64 3
		.amdhsa_dx10_clamp 1
		.amdhsa_ieee_mode 1
		.amdhsa_fp16_overflow 0
		.amdhsa_tg_split 0
		.amdhsa_exception_fp_ieee_invalid_op 0
		.amdhsa_exception_fp_denorm_src 0
		.amdhsa_exception_fp_ieee_div_zero 0
		.amdhsa_exception_fp_ieee_overflow 0
		.amdhsa_exception_fp_ieee_underflow 0
		.amdhsa_exception_fp_ieee_inexact 0
		.amdhsa_exception_int_div_zero 0
	.end_amdhsa_kernel
	.section	.text._ZN2at6native12_GLOBAL__N_143distribution_elementwise_grid_stride_kernelIjLi4EZZZNS0_9templates4cuda13random_kernelIPNS_17CUDAGeneratorImplEEEvRNS_18TensorIteratorBaseET_ENKUlvE_clEvENKUlvE5_clEvEUlP25hiprandStatePhilox4_32_10E0_ZNS1_27distribution_nullary_kernelIfj15HIP_vector_typeIjLj4EES7_SF_ZZZNS5_IS7_EEvS9_SA_ENKSB_clEvENKSC_clEvEUljE_EEvS9_T2_RKT3_T4_EUlijE0_EEvlNS_15PhiloxCudaStateET1_SK_,"axG",@progbits,_ZN2at6native12_GLOBAL__N_143distribution_elementwise_grid_stride_kernelIjLi4EZZZNS0_9templates4cuda13random_kernelIPNS_17CUDAGeneratorImplEEEvRNS_18TensorIteratorBaseET_ENKUlvE_clEvENKUlvE5_clEvEUlP25hiprandStatePhilox4_32_10E0_ZNS1_27distribution_nullary_kernelIfj15HIP_vector_typeIjLj4EES7_SF_ZZZNS5_IS7_EEvS9_SA_ENKSB_clEvENKSC_clEvEUljE_EEvS9_T2_RKT3_T4_EUlijE0_EEvlNS_15PhiloxCudaStateET1_SK_,comdat
.Lfunc_end95:
	.size	_ZN2at6native12_GLOBAL__N_143distribution_elementwise_grid_stride_kernelIjLi4EZZZNS0_9templates4cuda13random_kernelIPNS_17CUDAGeneratorImplEEEvRNS_18TensorIteratorBaseET_ENKUlvE_clEvENKUlvE5_clEvEUlP25hiprandStatePhilox4_32_10E0_ZNS1_27distribution_nullary_kernelIfj15HIP_vector_typeIjLj4EES7_SF_ZZZNS5_IS7_EEvS9_SA_ENKSB_clEvENKSC_clEvEUljE_EEvS9_T2_RKT3_T4_EUlijE0_EEvlNS_15PhiloxCudaStateET1_SK_, .Lfunc_end95-_ZN2at6native12_GLOBAL__N_143distribution_elementwise_grid_stride_kernelIjLi4EZZZNS0_9templates4cuda13random_kernelIPNS_17CUDAGeneratorImplEEEvRNS_18TensorIteratorBaseET_ENKUlvE_clEvENKUlvE5_clEvEUlP25hiprandStatePhilox4_32_10E0_ZNS1_27distribution_nullary_kernelIfj15HIP_vector_typeIjLj4EES7_SF_ZZZNS5_IS7_EEvS9_SA_ENKSB_clEvENKSC_clEvEUljE_EEvS9_T2_RKT3_T4_EUlijE0_EEvlNS_15PhiloxCudaStateET1_SK_
                                        ; -- End function
	.section	.AMDGPU.csdata,"",@progbits
; Kernel info:
; codeLenInByte = 4448
; NumSgprs: 72
; NumVgprs: 41
; NumAgprs: 0
; TotalNumVgprs: 41
; ScratchSize: 0
; MemoryBound: 0
; FloatMode: 240
; IeeeMode: 1
; LDSByteSize: 0 bytes/workgroup (compile time only)
; SGPRBlocks: 8
; VGPRBlocks: 5
; NumSGPRsForWavesPerEU: 72
; NumVGPRsForWavesPerEU: 41
; AccumOffset: 44
; Occupancy: 8
; WaveLimiterHint : 1
; COMPUTE_PGM_RSRC2:SCRATCH_EN: 0
; COMPUTE_PGM_RSRC2:USER_SGPR: 6
; COMPUTE_PGM_RSRC2:TRAP_HANDLER: 0
; COMPUTE_PGM_RSRC2:TGID_X_EN: 1
; COMPUTE_PGM_RSRC2:TGID_Y_EN: 0
; COMPUTE_PGM_RSRC2:TGID_Z_EN: 0
; COMPUTE_PGM_RSRC2:TIDIG_COMP_CNT: 0
; COMPUTE_PGM_RSRC3_GFX90A:ACCUM_OFFSET: 10
; COMPUTE_PGM_RSRC3_GFX90A:TG_SPLIT: 0
	.section	.text._ZN2at6native12_GLOBAL__N_143distribution_elementwise_grid_stride_kernelImLi2EZZZNS0_9templates4cuda13random_kernelIPNS_17CUDAGeneratorImplEEEvRNS_18TensorIteratorBaseET_ENKUlvE_clEvENKUlvE6_clEvEUlP25hiprandStatePhilox4_32_10E_ZNS1_27distribution_nullary_kernelIN3c104HalfEm15HIP_vector_typeIyLj2EES7_SF_ZZZNS5_IS7_EEvS9_SA_ENKSB_clEvENKSC_clEvEUlmE_EEvS9_T2_RKT3_T4_EUlimE_EEvlNS_15PhiloxCudaStateET1_SM_,"axG",@progbits,_ZN2at6native12_GLOBAL__N_143distribution_elementwise_grid_stride_kernelImLi2EZZZNS0_9templates4cuda13random_kernelIPNS_17CUDAGeneratorImplEEEvRNS_18TensorIteratorBaseET_ENKUlvE_clEvENKUlvE6_clEvEUlP25hiprandStatePhilox4_32_10E_ZNS1_27distribution_nullary_kernelIN3c104HalfEm15HIP_vector_typeIyLj2EES7_SF_ZZZNS5_IS7_EEvS9_SA_ENKSB_clEvENKSC_clEvEUlmE_EEvS9_T2_RKT3_T4_EUlimE_EEvlNS_15PhiloxCudaStateET1_SM_,comdat
	.globl	_ZN2at6native12_GLOBAL__N_143distribution_elementwise_grid_stride_kernelImLi2EZZZNS0_9templates4cuda13random_kernelIPNS_17CUDAGeneratorImplEEEvRNS_18TensorIteratorBaseET_ENKUlvE_clEvENKUlvE6_clEvEUlP25hiprandStatePhilox4_32_10E_ZNS1_27distribution_nullary_kernelIN3c104HalfEm15HIP_vector_typeIyLj2EES7_SF_ZZZNS5_IS7_EEvS9_SA_ENKSB_clEvENKSC_clEvEUlmE_EEvS9_T2_RKT3_T4_EUlimE_EEvlNS_15PhiloxCudaStateET1_SM_ ; -- Begin function _ZN2at6native12_GLOBAL__N_143distribution_elementwise_grid_stride_kernelImLi2EZZZNS0_9templates4cuda13random_kernelIPNS_17CUDAGeneratorImplEEEvRNS_18TensorIteratorBaseET_ENKUlvE_clEvENKUlvE6_clEvEUlP25hiprandStatePhilox4_32_10E_ZNS1_27distribution_nullary_kernelIN3c104HalfEm15HIP_vector_typeIyLj2EES7_SF_ZZZNS5_IS7_EEvS9_SA_ENKSB_clEvENKSC_clEvEUlmE_EEvS9_T2_RKT3_T4_EUlimE_EEvlNS_15PhiloxCudaStateET1_SM_
	.p2align	8
	.type	_ZN2at6native12_GLOBAL__N_143distribution_elementwise_grid_stride_kernelImLi2EZZZNS0_9templates4cuda13random_kernelIPNS_17CUDAGeneratorImplEEEvRNS_18TensorIteratorBaseET_ENKUlvE_clEvENKUlvE6_clEvEUlP25hiprandStatePhilox4_32_10E_ZNS1_27distribution_nullary_kernelIN3c104HalfEm15HIP_vector_typeIyLj2EES7_SF_ZZZNS5_IS7_EEvS9_SA_ENKSB_clEvENKSC_clEvEUlmE_EEvS9_T2_RKT3_T4_EUlimE_EEvlNS_15PhiloxCudaStateET1_SM_,@function
_ZN2at6native12_GLOBAL__N_143distribution_elementwise_grid_stride_kernelImLi2EZZZNS0_9templates4cuda13random_kernelIPNS_17CUDAGeneratorImplEEEvRNS_18TensorIteratorBaseET_ENKUlvE_clEvENKUlvE6_clEvEUlP25hiprandStatePhilox4_32_10E_ZNS1_27distribution_nullary_kernelIN3c104HalfEm15HIP_vector_typeIyLj2EES7_SF_ZZZNS5_IS7_EEvS9_SA_ENKSB_clEvENKSC_clEvEUlmE_EEvS9_T2_RKT3_T4_EUlimE_EEvlNS_15PhiloxCudaStateET1_SM_: ; @_ZN2at6native12_GLOBAL__N_143distribution_elementwise_grid_stride_kernelImLi2EZZZNS0_9templates4cuda13random_kernelIPNS_17CUDAGeneratorImplEEEvRNS_18TensorIteratorBaseET_ENKUlvE_clEvENKUlvE6_clEvEUlP25hiprandStatePhilox4_32_10E_ZNS1_27distribution_nullary_kernelIN3c104HalfEm15HIP_vector_typeIyLj2EES7_SF_ZZZNS5_IS7_EEvS9_SA_ENKSB_clEvENKSC_clEvEUlmE_EEvS9_T2_RKT3_T4_EUlimE_EEvlNS_15PhiloxCudaStateET1_SM_
; %bb.0:
	s_load_dword s2, s[4:5], 0x20
	s_load_dwordx2 s[0:1], s[4:5], 0x10
	s_load_dwordx4 s[8:11], s[4:5], 0x0
	s_waitcnt lgkmcnt(0)
	s_bitcmp0_b32 s2, 0
	s_mov_b32 s2, 0
	v_pk_mov_b32 v[2:3], s[0:1], s[0:1] op_sel:[0,1]
	v_pk_mov_b32 v[14:15], s[10:11], s[10:11] op_sel:[0,1]
	s_cbranch_scc1 .LBB96_2
; %bb.1:
	v_pk_mov_b32 v[2:3], s[0:1], s[0:1] op_sel:[0,1]
	flat_load_dwordx2 v[2:3], v[2:3]
	v_pk_mov_b32 v[4:5], s[10:11], s[10:11] op_sel:[0,1]
	flat_load_dwordx2 v[14:15], v[4:5]
	s_load_dwordx2 s[0:1], s[4:5], 0x18
	s_waitcnt lgkmcnt(0)
	v_mov_b32_e32 v1, s1
	s_waitcnt vmcnt(0)
	v_add_co_u32_e32 v2, vcc, s0, v2
	v_addc_co_u32_e32 v3, vcc, v3, v1, vcc
.LBB96_2:
	s_load_dword s0, s[4:5], 0x4c
	s_load_dword s18, s[4:5], 0x40
	s_waitcnt lgkmcnt(0)
	s_and_b32 s7, s0, 0xffff
	s_add_u32 s10, s8, -1
	s_mul_i32 s12, s18, s7
	s_addc_u32 s3, s9, -1
	s_lshl_b32 s13, s12, 1
	s_cmp_lg_u64 s[2:3], 0
	s_mov_b64 s[0:1], -1
	s_cbranch_scc0 .LBB96_23
; %bb.3:
	v_cvt_f32_u32_e32 v1, s13
	v_cvt_f32_ubyte0_e32 v4, 0
	s_sub_u32 s2, 0, s13
	s_subb_u32 s11, 0, 0
	v_madmk_f32 v1, v4, 0x4f800000, v1
	v_rcp_f32_e32 v1, v1
	v_mul_f32_e32 v1, 0x5f7ffffc, v1
	v_mul_f32_e32 v4, 0x2f800000, v1
	v_trunc_f32_e32 v4, v4
	v_madmk_f32 v1, v4, 0xcf800000, v1
	v_cvt_u32_f32_e32 v4, v4
	v_cvt_u32_f32_e32 v1, v1
	v_readfirstlane_b32 s14, v4
	v_readfirstlane_b32 s15, v1
	s_mul_i32 s16, s2, s14
	s_mul_hi_u32 s19, s2, s15
	s_mul_i32 s17, s11, s15
	s_add_i32 s16, s19, s16
	s_add_i32 s16, s16, s17
	s_mul_i32 s20, s2, s15
	s_mul_hi_u32 s17, s15, s16
	s_mul_i32 s19, s15, s16
	s_mul_hi_u32 s15, s15, s20
	s_add_u32 s15, s15, s19
	s_addc_u32 s17, 0, s17
	s_mul_hi_u32 s21, s14, s20
	s_mul_i32 s20, s14, s20
	s_add_u32 s15, s15, s20
	s_mul_hi_u32 s19, s14, s16
	s_addc_u32 s15, s17, s21
	s_addc_u32 s17, s19, 0
	s_mul_i32 s16, s14, s16
	s_add_u32 s15, s15, s16
	s_addc_u32 s16, 0, s17
	v_add_co_u32_e32 v1, vcc, s15, v1
	s_cmp_lg_u64 vcc, 0
	s_addc_u32 s14, s14, s16
	v_readfirstlane_b32 s16, v1
	s_mul_i32 s15, s2, s14
	s_mul_hi_u32 s17, s2, s16
	s_add_i32 s15, s17, s15
	s_mul_i32 s11, s11, s16
	s_add_i32 s15, s15, s11
	s_mul_i32 s2, s2, s16
	s_mul_hi_u32 s17, s14, s2
	s_mul_i32 s19, s14, s2
	s_mul_i32 s21, s16, s15
	s_mul_hi_u32 s2, s16, s2
	s_mul_hi_u32 s20, s16, s15
	s_add_u32 s2, s2, s21
	s_addc_u32 s16, 0, s20
	s_add_u32 s2, s2, s19
	s_mul_hi_u32 s11, s14, s15
	s_addc_u32 s2, s16, s17
	s_addc_u32 s11, s11, 0
	s_mul_i32 s15, s14, s15
	s_add_u32 s2, s2, s15
	s_addc_u32 s11, 0, s11
	v_add_co_u32_e32 v1, vcc, s2, v1
	s_cmp_lg_u64 vcc, 0
	s_addc_u32 s11, s14, s11
	s_ashr_i32 s14, s3, 31
	s_add_u32 s2, s10, s14
	s_mov_b32 s15, s14
	s_addc_u32 s3, s3, s14
	s_xor_b64 s[2:3], s[2:3], s[14:15]
	v_readfirstlane_b32 s19, v1
	s_mul_i32 s17, s2, s11
	s_mul_hi_u32 s20, s2, s19
	s_mul_hi_u32 s16, s2, s11
	s_add_u32 s17, s20, s17
	s_addc_u32 s16, 0, s16
	s_mul_hi_u32 s21, s3, s19
	s_mul_i32 s19, s3, s19
	s_add_u32 s17, s17, s19
	s_mul_hi_u32 s20, s3, s11
	s_addc_u32 s16, s16, s21
	s_addc_u32 s17, s20, 0
	s_mul_i32 s11, s3, s11
	s_add_u32 s11, s16, s11
	s_addc_u32 s16, 0, s17
	s_add_u32 s17, s11, 1
	s_addc_u32 s19, s16, 0
	s_add_u32 s20, s11, 2
	s_mul_i32 s22, s13, s16
	s_mul_hi_u32 s23, s13, s11
	s_addc_u32 s21, s16, 0
	s_add_i32 s23, s23, s22
	s_mul_i32 s22, s13, s11
	v_mov_b32_e32 v1, s22
	v_sub_co_u32_e32 v1, vcc, s2, v1
	s_cmp_lg_u64 vcc, 0
	s_subb_u32 s2, s3, s23
	v_subrev_co_u32_e32 v4, vcc, s13, v1
	s_cmp_lg_u64 vcc, 0
	s_subb_u32 s3, s2, 0
	v_readfirstlane_b32 s22, v4
	s_cmp_ge_u32 s22, s13
	s_cselect_b32 s22, -1, 0
	s_cmp_eq_u32 s3, 0
	s_cselect_b32 s3, s22, -1
	s_cmp_lg_u32 s3, 0
	s_cselect_b32 s3, s21, s19
	v_readfirstlane_b32 s19, v1
	s_cselect_b32 s17, s20, s17
	s_cmp_ge_u32 s19, s13
	s_cselect_b32 s19, -1, 0
	s_cmp_eq_u32 s2, 0
	s_cselect_b32 s2, s19, -1
	s_cmp_lg_u32 s2, 0
	s_cselect_b32 s3, s3, s16
	s_cselect_b32 s2, s17, s11
	s_xor_b64 s[2:3], s[2:3], s[14:15]
	s_sub_u32 s2, s2, s14
	s_subb_u32 s3, s3, s14
	s_cbranch_execnz .LBB96_5
.LBB96_4:
	v_cvt_f32_u32_e32 v1, s13
	s_sub_i32 s0, 0, s13
	s_mov_b32 s3, 0
	v_rcp_iflag_f32_e32 v1, v1
	v_mul_f32_e32 v1, 0x4f7ffffe, v1
	v_cvt_u32_f32_e32 v1, v1
	v_readfirstlane_b32 s1, v1
	s_mul_i32 s0, s0, s1
	s_mul_hi_u32 s0, s1, s0
	s_add_i32 s1, s1, s0
	s_mul_hi_u32 s0, s10, s1
	s_mul_i32 s2, s0, s13
	s_sub_i32 s2, s10, s2
	s_add_i32 s1, s0, 1
	s_sub_i32 s10, s2, s13
	s_cmp_ge_u32 s2, s13
	s_cselect_b32 s0, s1, s0
	s_cselect_b32 s2, s10, s2
	s_add_i32 s1, s0, 1
	s_cmp_ge_u32 s2, s13
	s_cselect_b32 s2, s1, s0
.LBB96_5:
	v_mov_b32_e32 v1, 0
	v_mov_b32_e32 v4, s6
	v_mad_u64_u32 v[16:17], s[0:1], s7, v4, v[0:1]
	s_add_u32 s0, s2, 1
	s_addc_u32 s1, s3, 0
	s_mul_hi_u32 s2, s18, s7
	s_mul_i32 s1, s12, s1
	s_mul_hi_u32 s3, s12, s0
	s_add_i32 s1, s3, s1
	s_mul_i32 s2, s2, s0
	s_add_i32 s1, s1, s2
	s_mul_i32 s0, s12, s0
	s_lshl_b64 s[2:3], s[0:1], 1
	v_cmp_gt_i64_e32 vcc, s[2:3], v[16:17]
	s_and_saveexec_b64 s[0:1], vcc
	s_cbranch_execz .LBB96_22
; %bb.6:
	s_mov_b32 s0, 0x5384540f
	v_mov_b32_e32 v4, v15
	v_add_co_u32_e32 v22, vcc, s0, v14
	s_mov_b32 s0, 0x646e171e
	v_add_co_u32_e32 v23, vcc, s0, v4
	s_mov_b32 s0, 0x1715609d
	v_add_co_u32_e32 v24, vcc, s0, v14
	s_mov_b32 s0, 0xed9eba14
	v_add_co_u32_e32 v25, vcc, s0, v4
	s_mov_b32 s0, 0xdaa66d2b
	v_add_co_u32_e32 v26, vcc, s0, v14
	s_mov_b32 s0, 0x76cf5d0a
	v_add_co_u32_e32 v27, vcc, s0, v4
	s_mov_b32 s0, 0x9e3779b9
	v_alignbit_b32 v29, v3, v2, 2
	s_mov_b32 s15, 0xd2511f53
	v_add_co_u32_e32 v28, vcc, s0, v14
	v_mad_u64_u32 v[6:7], s[0:1], v29, s15, 0
	v_xor_b32_e32 v1, v7, v15
	v_xor_b32_e32 v1, v1, v17
	s_mov_b32 s16, 0xcd9e8d57
	v_mad_u64_u32 v[8:9], s[0:1], v1, s16, 0
	v_xor_b32_e32 v1, v28, v9
	v_mad_u64_u32 v[10:11], s[0:1], v16, s16, 0
	v_and_b32_e32 v18, 3, v2
	v_xor_b32_e32 v1, v1, v10
	v_xor_b32_e32 v2, v14, v11
	v_lshrrev_b32_e32 v30, 2, v3
	v_mad_u64_u32 v[12:13], s[0:1], v1, s15, 0
	v_xor_b32_e32 v2, v2, v30
	v_xor_b32_e32 v1, v27, v13
	v_mad_u64_u32 v[2:3], s[0:1], v2, s15, 0
	v_xor_b32_e32 v1, v1, v2
	v_mad_u64_u32 v[10:11], s[0:1], v1, s16, 0
	s_mov_b32 s0, 0xbb67ae85
	v_add_co_u32_e32 v31, vcc, s0, v4
	v_xor_b32_e32 v2, v31, v3
	v_xor_b32_e32 v2, v2, v6
	v_xor_b32_e32 v1, v26, v11
	v_mad_u64_u32 v[2:3], s[0:1], v2, s16, 0
	v_xor_b32_e32 v1, v1, v2
	v_mad_u64_u32 v[6:7], s[0:1], v1, s15, 0
	s_mov_b32 s0, 0x3c6ef372
	v_add_co_u32_e32 v32, vcc, s0, v14
	v_xor_b32_e32 v2, v32, v3
	;; [unrolled: 8-line block ×6, first 2 shown]
	v_add_co_u32_e32 v21, vcc, 0xdb3d7428, v4
	v_xor_b32_e32 v2, v2, v8
	v_xor_b32_e32 v1, v21, v7
	v_mad_u64_u32 v[2:3], s[0:1], v2, s15, 0
	v_xor_b32_e32 v1, v1, v2
	v_mad_u64_u32 v[8:9], s[0:1], v1, s16, 0
	s_mov_b32 s0, 0x1fd5c5a3
	v_add_co_u32_e32 v37, vcc, s0, v4
	v_xor_b32_e32 v1, v37, v3
	v_xor_b32_e32 v1, v1, v12
	v_mad_u64_u32 v[2:3], s[0:1], v1, s16, 0
	s_mov_b32 s0, 0xf1bbcdc8
	s_load_dwordx2 s[10:11], s[4:5], 0x30
	s_load_dword s19, s[4:5], 0x38
	v_add_u32_e32 v19, 0x8ff34781, v14
	v_xor_b32_e32 v1, v9, v2
	v_add_co_u32_e32 v38, vcc, s0, v14
	v_xor_b32_e32 v2, v19, v1
	v_xor_b32_e32 v1, v38, v3
	;; [unrolled: 1-line block ×3, first 2 shown]
	v_mad_u64_u32 v[10:11], s[0:1], v1, s15, 0
	v_add_u32_e32 v20, 0x96a522ad, v15
	v_xor_b32_e32 v1, v11, v6
	s_mul_i32 s0, s6, s7
	v_xor_b32_e32 v4, v20, v1
	v_add_u32_e32 v1, s0, v0
	s_waitcnt lgkmcnt(0)
	s_mul_i32 s0, s18, s19
	s_mul_i32 s0, s0, s7
	s_lshl_b32 s17, s0, 1
	s_add_i32 s0, s6, s18
	s_mul_i32 s0, s0, s7
	s_mov_b32 s14, 0
	v_add_u32_e32 v0, s0, v0
	v_mov_b32_e32 v3, v8
	v_mov_b32_e32 v5, v10
	v_mul_lo_u32 v39, s19, v1
	v_mul_lo_u32 v40, s19, v0
	s_mov_b64 s[4:5], 0
	s_movk_i32 s18, 0x801
	s_movk_i32 s19, 0x800
	s_mov_b32 s20, s14
	v_mov_b32_e32 v41, v16
	v_mov_b32_e32 v42, v17
	s_branch .LBB96_8
.LBB96_7:                               ;   in Loop: Header=BB96_8 Depth=1
	s_or_b64 exec, exec, s[6:7]
	v_add_co_u32_e32 v16, vcc, s13, v16
	v_addc_co_u32_e32 v17, vcc, 0, v17, vcc
	v_mov_b32_e32 v9, v0
	s_add_i32 s20, s20, s17
	v_cmp_le_i64_e32 vcc, s[2:3], v[16:17]
	v_pk_mov_b32 v[2:3], v[6:7], v[6:7] op_sel:[0,1]
	s_or_b64 s[4:5], vcc, s[4:5]
	v_pk_mov_b32 v[4:5], v[8:9], v[8:9] op_sel:[0,1]
	s_barrier
	s_andn2_b64 exec, exec, s[4:5]
	s_cbranch_execz .LBB96_22
.LBB96_8:                               ; =>This Inner Loop Header: Depth=1
	v_add_co_u32_e32 v29, vcc, 1, v29
	v_cndmask_b32_e64 v0, 0, 1, vcc
	v_addc_co_u32_e32 v30, vcc, 0, v30, vcc
	v_cmp_eq_u32_e32 vcc, 0, v30
	v_cndmask_b32_e32 v0, 0, v0, vcc
	v_add_u32_e32 v41, v0, v41
	v_cmp_eq_u32_e32 vcc, 0, v41
	v_cndmask_b32_e32 v0, 0, v0, vcc
	v_add_u32_e32 v42, v0, v42
	v_mad_u64_u32 v[0:1], s[0:1], v29, s15, 0
	v_mad_u64_u32 v[6:7], s[0:1], v41, s16, 0
	v_xor_b32_e32 v1, v1, v15
	v_xor_b32_e32 v7, v7, v14
	v_xor_b32_e32 v1, v42, v1
	v_xor_b32_e32 v7, v30, v7
	v_mad_u64_u32 v[10:11], s[0:1], v1, s16, 0
	v_mad_u64_u32 v[8:9], s[0:1], v7, s15, 0
	v_xor_b32_e32 v1, v28, v11
	v_xor_b32_e32 v1, v1, v6
	v_xor_b32_e32 v6, v31, v9
	v_xor_b32_e32 v6, v6, v0
	;; [unrolled: 6-line block ×10, first 2 shown]
	v_mov_b32_e32 v7, v12
	v_mov_b32_e32 v8, v13
	v_cmp_lt_i32_e32 vcc, 1, v18
	s_and_saveexec_b64 s[0:1], vcc
	s_xor_b64 s[0:1], exec, s[0:1]
	s_cbranch_execnz .LBB96_14
; %bb.9:                                ;   in Loop: Header=BB96_8 Depth=1
	s_andn2_saveexec_b64 s[0:1], s[0:1]
	s_cbranch_execnz .LBB96_19
.LBB96_10:                              ;   in Loop: Header=BB96_8 Depth=1
	s_or_b64 exec, exec, s[0:1]
	v_cmp_gt_i64_e32 vcc, s[8:9], v[16:17]
	s_and_saveexec_b64 s[6:7], vcc
	s_cbranch_execz .LBB96_12
.LBB96_11:                              ;   in Loop: Header=BB96_8 Depth=1
	s_add_u32 s0, 0, 0x7ff00000
	s_addc_u32 s1, 0, 0
	s_add_i32 s1, s1, 0x1ffc00
	s_mul_hi_u32 s24, s0, 0xfffff7ff
	s_sub_i32 s24, s24, s0
	s_mul_i32 s25, s1, 0xfffff7ff
	s_mul_i32 s21, s0, 0xfffff7ff
	s_add_i32 s24, s24, s25
	s_mul_hi_u32 s22, s1, s21
	s_mul_i32 s23, s1, s21
	s_mul_i32 s26, s0, s24
	s_mul_hi_u32 s21, s0, s21
	s_mul_hi_u32 s25, s0, s24
	s_add_u32 s21, s21, s26
	s_addc_u32 s25, 0, s25
	s_add_u32 s21, s21, s23
	s_mul_hi_u32 s26, s1, s24
	s_addc_u32 s21, s25, s22
	s_addc_u32 s22, s26, 0
	s_mul_i32 s23, s1, s24
	s_add_u32 s21, s21, s23
	v_mov_b32_e32 v9, s21
	s_addc_u32 s22, 0, s22
	v_add_co_u32_e32 v9, vcc, s0, v9
	s_cmp_lg_u64 vcc, 0
	s_addc_u32 s21, s1, s22
	v_mad_u64_u32 v[10:11], s[0:1], v3, s21, 0
	v_mul_hi_u32 v12, v3, v9
	v_add_co_u32_e32 v43, vcc, v12, v10
	v_addc_co_u32_e32 v44, vcc, 0, v11, vcc
	v_mad_u64_u32 v[12:13], s[0:1], v2, v9, 0
	v_add_co_u32_e32 v9, vcc, v43, v12
	v_mad_u64_u32 v[10:11], s[0:1], v2, s21, 0
	v_addc_co_u32_e32 v9, vcc, v44, v13, vcc
	v_addc_co_u32_e32 v11, vcc, 0, v11, vcc
	v_add_co_u32_e32 v9, vcc, v9, v10
	v_addc_co_u32_e32 v13, vcc, 0, v11, vcc
	v_mad_u64_u32 v[10:11], s[0:1], v9, s18, 0
	v_mov_b32_e32 v12, v11
	v_mad_u64_u32 v[12:13], s[0:1], v13, s18, v[12:13]
	v_sub_co_u32_e32 v9, vcc, v3, v10
	v_subb_co_u32_e32 v2, vcc, v2, v12, vcc
	v_subrev_co_u32_e32 v10, vcc, s18, v9
	v_subbrev_co_u32_e32 v3, vcc, 0, v2, vcc
	v_subrev_co_u32_e32 v11, vcc, s18, v10
	v_subbrev_co_u32_e32 v12, vcc, 0, v3, vcc
	v_cmp_lt_u32_e32 vcc, s19, v10
	v_cndmask_b32_e64 v13, 0, -1, vcc
	v_cmp_eq_u32_e32 vcc, 0, v3
	v_cndmask_b32_e32 v13, -1, v13, vcc
	v_cmp_ne_u32_e32 vcc, 0, v13
	v_cmp_lt_u32_e64 s[0:1], s19, v9
	v_cndmask_b32_e32 v3, v3, v12, vcc
	v_cndmask_b32_e64 v12, 0, -1, s[0:1]
	v_cmp_eq_u32_e64 s[0:1], 0, v2
	v_cndmask_b32_e64 v12, -1, v12, s[0:1]
	v_cmp_ne_u32_e64 s[0:1], 0, v12
	v_cndmask_b32_e64 v3, v2, v3, s[0:1]
	v_cndmask_b32_e32 v2, v10, v11, vcc
	v_cndmask_b32_e64 v2, v9, v2, s[0:1]
	v_ffbh_u32_e32 v9, v3
	v_min_u32_e32 v9, 32, v9
	v_lshlrev_b64 v[2:3], v9, v[2:3]
	v_min_u32_e32 v2, 1, v2
	v_or_b32_e32 v2, v3, v2
	v_cvt_f32_u32_e32 v2, v2
	v_sub_u32_e32 v9, 32, v9
	v_add_u32_e32 v1, s20, v39
	v_ashrrev_i32_e32 v3, 31, v1
	v_ldexp_f32 v2, v2, v9
	v_cvt_f16_f32_e32 v9, v2
	v_mov_b32_e32 v10, s11
	v_add_co_u32_e32 v2, vcc, s10, v1
	v_addc_co_u32_e32 v3, vcc, v10, v3, vcc
	global_store_short v[2:3], v9, off
.LBB96_12:                              ;   in Loop: Header=BB96_8 Depth=1
	s_or_b64 exec, exec, s[6:7]
	v_mov_b32_e32 v1, s14
	v_add_co_u32_e32 v2, vcc, s12, v16
	v_addc_co_u32_e32 v3, vcc, v1, v17, vcc
	v_cmp_gt_i64_e32 vcc, s[8:9], v[2:3]
	s_and_saveexec_b64 s[6:7], vcc
	s_cbranch_execz .LBB96_7
; %bb.13:                               ;   in Loop: Header=BB96_8 Depth=1
	s_add_u32 s0, 0, 0x7ff00000
	s_addc_u32 s1, 0, 0
	s_add_i32 s1, s1, 0x1ffc00
	s_mul_hi_u32 s24, s0, 0xfffff7ff
	s_sub_i32 s24, s24, s0
	s_mul_i32 s25, s1, 0xfffff7ff
	s_mul_i32 s21, s0, 0xfffff7ff
	s_add_i32 s24, s24, s25
	s_mul_hi_u32 s22, s1, s21
	s_mul_i32 s23, s1, s21
	s_mul_i32 s26, s0, s24
	s_mul_hi_u32 s21, s0, s21
	s_mul_hi_u32 s25, s0, s24
	s_add_u32 s21, s21, s26
	s_addc_u32 s25, 0, s25
	s_add_u32 s21, s21, s23
	s_mul_hi_u32 s26, s1, s24
	s_addc_u32 s21, s25, s22
	s_addc_u32 s22, s26, 0
	s_mul_i32 s23, s1, s24
	s_add_u32 s21, s21, s23
	v_mov_b32_e32 v2, s21
	s_addc_u32 s22, 0, s22
	v_add_co_u32_e32 v9, vcc, s0, v2
	s_cmp_lg_u64 vcc, 0
	s_addc_u32 s21, s1, s22
	v_mad_u64_u32 v[2:3], s[0:1], v5, s21, 0
	v_mul_hi_u32 v10, v5, v9
	v_add_co_u32_e32 v12, vcc, v10, v2
	v_addc_co_u32_e32 v13, vcc, 0, v3, vcc
	v_mad_u64_u32 v[10:11], s[0:1], v4, v9, 0
	v_add_co_u32_e32 v9, vcc, v12, v10
	v_mad_u64_u32 v[2:3], s[0:1], v4, s21, 0
	v_addc_co_u32_e32 v9, vcc, v13, v11, vcc
	v_addc_co_u32_e32 v3, vcc, 0, v3, vcc
	v_add_co_u32_e32 v2, vcc, v9, v2
	v_addc_co_u32_e32 v9, vcc, 0, v3, vcc
	v_mad_u64_u32 v[2:3], s[0:1], v2, s18, 0
	v_mov_b32_e32 v10, v3
	v_mad_u64_u32 v[10:11], s[0:1], v9, s18, v[10:11]
	v_sub_co_u32_e32 v2, vcc, v5, v2
	v_subb_co_u32_e32 v3, vcc, v4, v10, vcc
	v_subrev_co_u32_e32 v4, vcc, s18, v2
	v_subbrev_co_u32_e32 v5, vcc, 0, v3, vcc
	v_subrev_co_u32_e32 v9, vcc, s18, v4
	v_subbrev_co_u32_e32 v10, vcc, 0, v5, vcc
	v_cmp_lt_u32_e32 vcc, s19, v4
	v_cndmask_b32_e64 v11, 0, -1, vcc
	v_cmp_eq_u32_e32 vcc, 0, v5
	v_cndmask_b32_e32 v11, -1, v11, vcc
	v_cmp_ne_u32_e32 vcc, 0, v11
	v_cmp_lt_u32_e64 s[0:1], s19, v2
	v_cndmask_b32_e32 v5, v5, v10, vcc
	v_cndmask_b32_e64 v10, 0, -1, s[0:1]
	v_cmp_eq_u32_e64 s[0:1], 0, v3
	v_cndmask_b32_e64 v10, -1, v10, s[0:1]
	v_cmp_ne_u32_e64 s[0:1], 0, v10
	v_cndmask_b32_e64 v3, v3, v5, s[0:1]
	v_cndmask_b32_e32 v4, v4, v9, vcc
	v_cndmask_b32_e64 v2, v2, v4, s[0:1]
	v_ffbh_u32_e32 v4, v3
	v_min_u32_e32 v4, 32, v4
	v_lshlrev_b64 v[2:3], v4, v[2:3]
	v_min_u32_e32 v2, 1, v2
	v_or_b32_e32 v2, v3, v2
	v_cvt_f32_u32_e32 v2, v2
	v_sub_u32_e32 v4, 32, v4
	v_add_u32_e32 v1, s20, v40
	v_ashrrev_i32_e32 v3, 31, v1
	v_ldexp_f32 v2, v2, v4
	v_cvt_f16_f32_e32 v4, v2
	v_mov_b32_e32 v5, s11
	v_add_co_u32_e32 v2, vcc, s10, v1
	v_addc_co_u32_e32 v3, vcc, v5, v3, vcc
	global_store_short v[2:3], v4, off
	s_branch .LBB96_7
.LBB96_14:                              ;   in Loop: Header=BB96_8 Depth=1
	v_cmp_lt_i32_e32 vcc, 2, v18
	s_and_saveexec_b64 s[6:7], vcc
	s_xor_b64 s[6:7], exec, s[6:7]
; %bb.15:                               ;   in Loop: Header=BB96_8 Depth=1
	v_mov_b32_e32 v10, v5
	v_mov_b32_e32 v11, v6
	v_pk_mov_b32 v[2:3], v[10:11], v[10:11] op_sel:[0,1]
	v_pk_mov_b32 v[4:5], v[12:13], v[12:13] op_sel:[0,1]
                                        ; implicit-def: $vgpr12_vgpr13
; %bb.16:                               ;   in Loop: Header=BB96_8 Depth=1
	s_andn2_saveexec_b64 s[6:7], s[6:7]
; %bb.17:                               ;   in Loop: Header=BB96_8 Depth=1
	v_mov_b32_e32 v2, v4
	v_mov_b32_e32 v3, v5
	;; [unrolled: 1-line block ×4, first 2 shown]
; %bb.18:                               ;   in Loop: Header=BB96_8 Depth=1
	s_or_b64 exec, exec, s[6:7]
	s_andn2_saveexec_b64 s[0:1], s[0:1]
	s_cbranch_execz .LBB96_10
.LBB96_19:                              ;   in Loop: Header=BB96_8 Depth=1
	v_cmp_eq_u32_e32 vcc, 1, v18
	s_and_saveexec_b64 s[6:7], vcc
; %bb.20:                               ;   in Loop: Header=BB96_8 Depth=1
	v_mov_b32_e32 v2, v3
	v_mov_b32_e32 v3, v4
	;; [unrolled: 1-line block ×4, first 2 shown]
; %bb.21:                               ;   in Loop: Header=BB96_8 Depth=1
	s_or_b64 exec, exec, s[6:7]
	s_or_b64 exec, exec, s[0:1]
	v_cmp_gt_i64_e32 vcc, s[8:9], v[16:17]
	s_and_saveexec_b64 s[6:7], vcc
	s_cbranch_execnz .LBB96_11
	s_branch .LBB96_12
.LBB96_22:
	s_endpgm
.LBB96_23:
                                        ; implicit-def: $sgpr2_sgpr3
	s_andn2_b64 vcc, exec, s[0:1]
	s_cbranch_vccz .LBB96_4
	s_branch .LBB96_5
	.section	.rodata,"a",@progbits
	.p2align	6, 0x0
	.amdhsa_kernel _ZN2at6native12_GLOBAL__N_143distribution_elementwise_grid_stride_kernelImLi2EZZZNS0_9templates4cuda13random_kernelIPNS_17CUDAGeneratorImplEEEvRNS_18TensorIteratorBaseET_ENKUlvE_clEvENKUlvE6_clEvEUlP25hiprandStatePhilox4_32_10E_ZNS1_27distribution_nullary_kernelIN3c104HalfEm15HIP_vector_typeIyLj2EES7_SF_ZZZNS5_IS7_EEvS9_SA_ENKSB_clEvENKSC_clEvEUlmE_EEvS9_T2_RKT3_T4_EUlimE_EEvlNS_15PhiloxCudaStateET1_SM_
		.amdhsa_group_segment_fixed_size 0
		.amdhsa_private_segment_fixed_size 0
		.amdhsa_kernarg_size 320
		.amdhsa_user_sgpr_count 6
		.amdhsa_user_sgpr_private_segment_buffer 1
		.amdhsa_user_sgpr_dispatch_ptr 0
		.amdhsa_user_sgpr_queue_ptr 0
		.amdhsa_user_sgpr_kernarg_segment_ptr 1
		.amdhsa_user_sgpr_dispatch_id 0
		.amdhsa_user_sgpr_flat_scratch_init 0
		.amdhsa_user_sgpr_kernarg_preload_length 0
		.amdhsa_user_sgpr_kernarg_preload_offset 0
		.amdhsa_user_sgpr_private_segment_size 0
		.amdhsa_uses_dynamic_stack 0
		.amdhsa_system_sgpr_private_segment_wavefront_offset 0
		.amdhsa_system_sgpr_workgroup_id_x 1
		.amdhsa_system_sgpr_workgroup_id_y 0
		.amdhsa_system_sgpr_workgroup_id_z 0
		.amdhsa_system_sgpr_workgroup_info 0
		.amdhsa_system_vgpr_workitem_id 0
		.amdhsa_next_free_vgpr 46
		.amdhsa_next_free_sgpr 27
		.amdhsa_accum_offset 48
		.amdhsa_reserve_vcc 1
		.amdhsa_reserve_flat_scratch 0
		.amdhsa_float_round_mode_32 0
		.amdhsa_float_round_mode_16_64 0
		.amdhsa_float_denorm_mode_32 3
		.amdhsa_float_denorm_mode_16_64 3
		.amdhsa_dx10_clamp 1
		.amdhsa_ieee_mode 1
		.amdhsa_fp16_overflow 0
		.amdhsa_tg_split 0
		.amdhsa_exception_fp_ieee_invalid_op 0
		.amdhsa_exception_fp_denorm_src 0
		.amdhsa_exception_fp_ieee_div_zero 0
		.amdhsa_exception_fp_ieee_overflow 0
		.amdhsa_exception_fp_ieee_underflow 0
		.amdhsa_exception_fp_ieee_inexact 0
		.amdhsa_exception_int_div_zero 0
	.end_amdhsa_kernel
	.section	.text._ZN2at6native12_GLOBAL__N_143distribution_elementwise_grid_stride_kernelImLi2EZZZNS0_9templates4cuda13random_kernelIPNS_17CUDAGeneratorImplEEEvRNS_18TensorIteratorBaseET_ENKUlvE_clEvENKUlvE6_clEvEUlP25hiprandStatePhilox4_32_10E_ZNS1_27distribution_nullary_kernelIN3c104HalfEm15HIP_vector_typeIyLj2EES7_SF_ZZZNS5_IS7_EEvS9_SA_ENKSB_clEvENKSC_clEvEUlmE_EEvS9_T2_RKT3_T4_EUlimE_EEvlNS_15PhiloxCudaStateET1_SM_,"axG",@progbits,_ZN2at6native12_GLOBAL__N_143distribution_elementwise_grid_stride_kernelImLi2EZZZNS0_9templates4cuda13random_kernelIPNS_17CUDAGeneratorImplEEEvRNS_18TensorIteratorBaseET_ENKUlvE_clEvENKUlvE6_clEvEUlP25hiprandStatePhilox4_32_10E_ZNS1_27distribution_nullary_kernelIN3c104HalfEm15HIP_vector_typeIyLj2EES7_SF_ZZZNS5_IS7_EEvS9_SA_ENKSB_clEvENKSC_clEvEUlmE_EEvS9_T2_RKT3_T4_EUlimE_EEvlNS_15PhiloxCudaStateET1_SM_,comdat
.Lfunc_end96:
	.size	_ZN2at6native12_GLOBAL__N_143distribution_elementwise_grid_stride_kernelImLi2EZZZNS0_9templates4cuda13random_kernelIPNS_17CUDAGeneratorImplEEEvRNS_18TensorIteratorBaseET_ENKUlvE_clEvENKUlvE6_clEvEUlP25hiprandStatePhilox4_32_10E_ZNS1_27distribution_nullary_kernelIN3c104HalfEm15HIP_vector_typeIyLj2EES7_SF_ZZZNS5_IS7_EEvS9_SA_ENKSB_clEvENKSC_clEvEUlmE_EEvS9_T2_RKT3_T4_EUlimE_EEvlNS_15PhiloxCudaStateET1_SM_, .Lfunc_end96-_ZN2at6native12_GLOBAL__N_143distribution_elementwise_grid_stride_kernelImLi2EZZZNS0_9templates4cuda13random_kernelIPNS_17CUDAGeneratorImplEEEvRNS_18TensorIteratorBaseET_ENKUlvE_clEvENKUlvE6_clEvEUlP25hiprandStatePhilox4_32_10E_ZNS1_27distribution_nullary_kernelIN3c104HalfEm15HIP_vector_typeIyLj2EES7_SF_ZZZNS5_IS7_EEvS9_SA_ENKSB_clEvENKSC_clEvEUlmE_EEvS9_T2_RKT3_T4_EUlimE_EEvlNS_15PhiloxCudaStateET1_SM_
                                        ; -- End function
	.section	.AMDGPU.csdata,"",@progbits
; Kernel info:
; codeLenInByte = 2888
; NumSgprs: 31
; NumVgprs: 46
; NumAgprs: 0
; TotalNumVgprs: 46
; ScratchSize: 0
; MemoryBound: 0
; FloatMode: 240
; IeeeMode: 1
; LDSByteSize: 0 bytes/workgroup (compile time only)
; SGPRBlocks: 3
; VGPRBlocks: 5
; NumSGPRsForWavesPerEU: 31
; NumVGPRsForWavesPerEU: 46
; AccumOffset: 48
; Occupancy: 8
; WaveLimiterHint : 0
; COMPUTE_PGM_RSRC2:SCRATCH_EN: 0
; COMPUTE_PGM_RSRC2:USER_SGPR: 6
; COMPUTE_PGM_RSRC2:TRAP_HANDLER: 0
; COMPUTE_PGM_RSRC2:TGID_X_EN: 1
; COMPUTE_PGM_RSRC2:TGID_Y_EN: 0
; COMPUTE_PGM_RSRC2:TGID_Z_EN: 0
; COMPUTE_PGM_RSRC2:TIDIG_COMP_CNT: 0
; COMPUTE_PGM_RSRC3_GFX90A:ACCUM_OFFSET: 11
; COMPUTE_PGM_RSRC3_GFX90A:TG_SPLIT: 0
	.section	.text._ZN2at6native12_GLOBAL__N_143distribution_elementwise_grid_stride_kernelImLi2EZZZNS0_9templates4cuda13random_kernelIPNS_17CUDAGeneratorImplEEEvRNS_18TensorIteratorBaseET_ENKUlvE_clEvENKUlvE6_clEvEUlP25hiprandStatePhilox4_32_10E_ZNS1_27distribution_nullary_kernelIN3c104HalfEm15HIP_vector_typeIyLj2EES7_SF_ZZZNS5_IS7_EEvS9_SA_ENKSB_clEvENKSC_clEvEUlmE_EEvS9_T2_RKT3_T4_EUlimE0_EEvlNS_15PhiloxCudaStateET1_SM_,"axG",@progbits,_ZN2at6native12_GLOBAL__N_143distribution_elementwise_grid_stride_kernelImLi2EZZZNS0_9templates4cuda13random_kernelIPNS_17CUDAGeneratorImplEEEvRNS_18TensorIteratorBaseET_ENKUlvE_clEvENKUlvE6_clEvEUlP25hiprandStatePhilox4_32_10E_ZNS1_27distribution_nullary_kernelIN3c104HalfEm15HIP_vector_typeIyLj2EES7_SF_ZZZNS5_IS7_EEvS9_SA_ENKSB_clEvENKSC_clEvEUlmE_EEvS9_T2_RKT3_T4_EUlimE0_EEvlNS_15PhiloxCudaStateET1_SM_,comdat
	.globl	_ZN2at6native12_GLOBAL__N_143distribution_elementwise_grid_stride_kernelImLi2EZZZNS0_9templates4cuda13random_kernelIPNS_17CUDAGeneratorImplEEEvRNS_18TensorIteratorBaseET_ENKUlvE_clEvENKUlvE6_clEvEUlP25hiprandStatePhilox4_32_10E_ZNS1_27distribution_nullary_kernelIN3c104HalfEm15HIP_vector_typeIyLj2EES7_SF_ZZZNS5_IS7_EEvS9_SA_ENKSB_clEvENKSC_clEvEUlmE_EEvS9_T2_RKT3_T4_EUlimE0_EEvlNS_15PhiloxCudaStateET1_SM_ ; -- Begin function _ZN2at6native12_GLOBAL__N_143distribution_elementwise_grid_stride_kernelImLi2EZZZNS0_9templates4cuda13random_kernelIPNS_17CUDAGeneratorImplEEEvRNS_18TensorIteratorBaseET_ENKUlvE_clEvENKUlvE6_clEvEUlP25hiprandStatePhilox4_32_10E_ZNS1_27distribution_nullary_kernelIN3c104HalfEm15HIP_vector_typeIyLj2EES7_SF_ZZZNS5_IS7_EEvS9_SA_ENKSB_clEvENKSC_clEvEUlmE_EEvS9_T2_RKT3_T4_EUlimE0_EEvlNS_15PhiloxCudaStateET1_SM_
	.p2align	8
	.type	_ZN2at6native12_GLOBAL__N_143distribution_elementwise_grid_stride_kernelImLi2EZZZNS0_9templates4cuda13random_kernelIPNS_17CUDAGeneratorImplEEEvRNS_18TensorIteratorBaseET_ENKUlvE_clEvENKUlvE6_clEvEUlP25hiprandStatePhilox4_32_10E_ZNS1_27distribution_nullary_kernelIN3c104HalfEm15HIP_vector_typeIyLj2EES7_SF_ZZZNS5_IS7_EEvS9_SA_ENKSB_clEvENKSC_clEvEUlmE_EEvS9_T2_RKT3_T4_EUlimE0_EEvlNS_15PhiloxCudaStateET1_SM_,@function
_ZN2at6native12_GLOBAL__N_143distribution_elementwise_grid_stride_kernelImLi2EZZZNS0_9templates4cuda13random_kernelIPNS_17CUDAGeneratorImplEEEvRNS_18TensorIteratorBaseET_ENKUlvE_clEvENKUlvE6_clEvEUlP25hiprandStatePhilox4_32_10E_ZNS1_27distribution_nullary_kernelIN3c104HalfEm15HIP_vector_typeIyLj2EES7_SF_ZZZNS5_IS7_EEvS9_SA_ENKSB_clEvENKSC_clEvEUlmE_EEvS9_T2_RKT3_T4_EUlimE0_EEvlNS_15PhiloxCudaStateET1_SM_: ; @_ZN2at6native12_GLOBAL__N_143distribution_elementwise_grid_stride_kernelImLi2EZZZNS0_9templates4cuda13random_kernelIPNS_17CUDAGeneratorImplEEEvRNS_18TensorIteratorBaseET_ENKUlvE_clEvENKUlvE6_clEvEUlP25hiprandStatePhilox4_32_10E_ZNS1_27distribution_nullary_kernelIN3c104HalfEm15HIP_vector_typeIyLj2EES7_SF_ZZZNS5_IS7_EEvS9_SA_ENKSB_clEvENKSC_clEvEUlmE_EEvS9_T2_RKT3_T4_EUlimE0_EEvlNS_15PhiloxCudaStateET1_SM_
; %bb.0:
	s_load_dword s2, s[4:5], 0x20
	s_load_dwordx2 s[0:1], s[4:5], 0x10
	s_load_dwordx4 s[24:27], s[4:5], 0x0
	s_waitcnt lgkmcnt(0)
	s_bitcmp0_b32 s2, 0
	s_mov_b32 s2, 0
	v_pk_mov_b32 v[2:3], s[0:1], s[0:1] op_sel:[0,1]
	v_pk_mov_b32 v[12:13], s[26:27], s[26:27] op_sel:[0,1]
	s_cbranch_scc1 .LBB97_2
; %bb.1:
	v_pk_mov_b32 v[2:3], s[0:1], s[0:1] op_sel:[0,1]
	flat_load_dwordx2 v[2:3], v[2:3]
	v_pk_mov_b32 v[4:5], s[26:27], s[26:27] op_sel:[0,1]
	flat_load_dwordx2 v[12:13], v[4:5]
	s_load_dwordx2 s[0:1], s[4:5], 0x18
	s_waitcnt lgkmcnt(0)
	v_mov_b32_e32 v1, s1
	s_waitcnt vmcnt(0)
	v_add_co_u32_e32 v2, vcc, s0, v2
	v_addc_co_u32_e32 v3, vcc, v3, v1, vcc
.LBB97_2:
	s_load_dword s0, s[4:5], 0x154
	s_load_dword s7, s[4:5], 0x148
	s_waitcnt lgkmcnt(0)
	s_and_b32 s8, s0, 0xffff
	s_add_u32 s9, s24, -1
	s_mul_i32 s33, s7, s8
	s_addc_u32 s3, s25, -1
	s_lshl_b32 s58, s33, 1
	s_cmp_lg_u64 s[2:3], 0
	s_mov_b64 s[0:1], -1
	s_cbranch_scc0 .LBB97_51
; %bb.3:
	v_cvt_f32_u32_e32 v1, s58
	v_cvt_f32_ubyte0_e32 v4, 0
	s_sub_u32 s2, 0, s58
	s_subb_u32 s10, 0, 0
	v_madmk_f32 v1, v4, 0x4f800000, v1
	v_rcp_f32_e32 v1, v1
	v_mul_f32_e32 v1, 0x5f7ffffc, v1
	v_mul_f32_e32 v4, 0x2f800000, v1
	v_trunc_f32_e32 v4, v4
	v_madmk_f32 v1, v4, 0xcf800000, v1
	v_cvt_u32_f32_e32 v4, v4
	v_cvt_u32_f32_e32 v1, v1
	v_readfirstlane_b32 s11, v4
	v_readfirstlane_b32 s12, v1
	s_mul_i32 s13, s2, s11
	s_mul_hi_u32 s15, s2, s12
	s_mul_i32 s14, s10, s12
	s_add_i32 s13, s15, s13
	s_add_i32 s13, s13, s14
	s_mul_i32 s16, s2, s12
	s_mul_hi_u32 s14, s12, s13
	s_mul_i32 s15, s12, s13
	s_mul_hi_u32 s12, s12, s16
	s_add_u32 s12, s12, s15
	s_addc_u32 s14, 0, s14
	s_mul_hi_u32 s17, s11, s16
	s_mul_i32 s16, s11, s16
	s_add_u32 s12, s12, s16
	s_mul_hi_u32 s15, s11, s13
	s_addc_u32 s12, s14, s17
	s_addc_u32 s14, s15, 0
	s_mul_i32 s13, s11, s13
	s_add_u32 s12, s12, s13
	s_addc_u32 s13, 0, s14
	v_add_co_u32_e32 v1, vcc, s12, v1
	s_cmp_lg_u64 vcc, 0
	s_addc_u32 s11, s11, s13
	v_readfirstlane_b32 s13, v1
	s_mul_i32 s12, s2, s11
	s_mul_hi_u32 s14, s2, s13
	s_add_i32 s12, s14, s12
	s_mul_i32 s10, s10, s13
	s_add_i32 s12, s12, s10
	s_mul_i32 s2, s2, s13
	s_mul_hi_u32 s14, s11, s2
	s_mul_i32 s15, s11, s2
	s_mul_i32 s17, s13, s12
	s_mul_hi_u32 s2, s13, s2
	s_mul_hi_u32 s16, s13, s12
	s_add_u32 s2, s2, s17
	s_addc_u32 s13, 0, s16
	s_add_u32 s2, s2, s15
	s_mul_hi_u32 s10, s11, s12
	s_addc_u32 s2, s13, s14
	s_addc_u32 s10, s10, 0
	s_mul_i32 s12, s11, s12
	s_add_u32 s2, s2, s12
	s_addc_u32 s10, 0, s10
	v_add_co_u32_e32 v1, vcc, s2, v1
	s_cmp_lg_u64 vcc, 0
	s_addc_u32 s12, s11, s10
	s_ashr_i32 s10, s3, 31
	s_add_u32 s2, s9, s10
	s_mov_b32 s11, s10
	s_addc_u32 s3, s3, s10
	s_xor_b64 s[2:3], s[2:3], s[10:11]
	v_readfirstlane_b32 s15, v1
	s_mul_i32 s14, s2, s12
	s_mul_hi_u32 s16, s2, s15
	s_mul_hi_u32 s13, s2, s12
	s_add_u32 s14, s16, s14
	s_addc_u32 s13, 0, s13
	s_mul_hi_u32 s17, s3, s15
	s_mul_i32 s15, s3, s15
	s_add_u32 s14, s14, s15
	s_mul_hi_u32 s16, s3, s12
	s_addc_u32 s13, s13, s17
	s_addc_u32 s14, s16, 0
	s_mul_i32 s12, s3, s12
	s_add_u32 s12, s13, s12
	s_addc_u32 s13, 0, s14
	s_add_u32 s14, s12, 1
	s_addc_u32 s15, s13, 0
	s_add_u32 s16, s12, 2
	s_mul_i32 s18, s58, s13
	s_mul_hi_u32 s19, s58, s12
	s_addc_u32 s17, s13, 0
	s_add_i32 s19, s19, s18
	s_mul_i32 s18, s58, s12
	v_mov_b32_e32 v1, s18
	v_sub_co_u32_e32 v1, vcc, s2, v1
	s_cmp_lg_u64 vcc, 0
	s_subb_u32 s2, s3, s19
	v_subrev_co_u32_e32 v4, vcc, s58, v1
	s_cmp_lg_u64 vcc, 0
	s_subb_u32 s3, s2, 0
	v_readfirstlane_b32 s18, v4
	s_cmp_ge_u32 s18, s58
	s_cselect_b32 s18, -1, 0
	s_cmp_eq_u32 s3, 0
	s_cselect_b32 s3, s18, -1
	s_cmp_lg_u32 s3, 0
	s_cselect_b32 s3, s17, s15
	v_readfirstlane_b32 s15, v1
	s_cselect_b32 s14, s16, s14
	s_cmp_ge_u32 s15, s58
	s_cselect_b32 s15, -1, 0
	s_cmp_eq_u32 s2, 0
	s_cselect_b32 s2, s15, -1
	s_cmp_lg_u32 s2, 0
	s_cselect_b32 s3, s3, s13
	s_cselect_b32 s2, s14, s12
	s_xor_b64 s[2:3], s[2:3], s[10:11]
	s_sub_u32 s2, s2, s10
	s_subb_u32 s3, s3, s10
	s_cbranch_execnz .LBB97_5
.LBB97_4:
	v_cvt_f32_u32_e32 v1, s58
	s_sub_i32 s0, 0, s58
	s_mov_b32 s3, 0
	v_rcp_iflag_f32_e32 v1, v1
	v_mul_f32_e32 v1, 0x4f7ffffe, v1
	v_cvt_u32_f32_e32 v1, v1
	v_readfirstlane_b32 s1, v1
	s_mul_i32 s0, s0, s1
	s_mul_hi_u32 s0, s1, s0
	s_add_i32 s1, s1, s0
	s_mul_hi_u32 s0, s9, s1
	s_mul_i32 s2, s0, s58
	s_sub_i32 s2, s9, s2
	s_add_i32 s1, s0, 1
	s_sub_i32 s9, s2, s58
	s_cmp_ge_u32 s2, s58
	s_cselect_b32 s0, s1, s0
	s_cselect_b32 s2, s9, s2
	s_add_i32 s1, s0, 1
	s_cmp_ge_u32 s2, s58
	s_cselect_b32 s2, s1, s0
.LBB97_5:
	v_mov_b32_e32 v1, 0
	v_mov_b32_e32 v4, s6
	v_mad_u64_u32 v[14:15], s[0:1], s8, v4, v[0:1]
	s_add_u32 s0, s2, 1
	s_addc_u32 s1, s3, 0
	s_mul_hi_u32 s2, s7, s8
	s_mul_i32 s1, s33, s1
	s_mul_hi_u32 s3, s33, s0
	s_add_i32 s1, s3, s1
	s_mul_i32 s2, s2, s0
	s_add_i32 s1, s1, s2
	s_mul_i32 s0, s33, s0
	s_lshl_b64 s[26:27], s[0:1], 1
	v_cmp_gt_i64_e32 vcc, s[26:27], v[14:15]
	s_and_saveexec_b64 s[0:1], vcc
	s_cbranch_execz .LBB97_50
; %bb.6:
	s_mov_b32 s0, 0x5384540f
	v_mov_b32_e32 v0, v13
	v_add_co_u32_e32 v22, vcc, s0, v12
	s_mov_b32 s0, 0x646e171e
	v_add_co_u32_e32 v23, vcc, s0, v0
	s_mov_b32 s0, 0x1715609d
	;; [unrolled: 2-line block ×6, first 2 shown]
	v_alignbit_b32 v29, v3, v2, 2
	s_mov_b32 s60, 0xd2511f53
	v_add_co_u32_e32 v28, vcc, s0, v12
	v_mad_u64_u32 v[4:5], s[0:1], v29, s60, 0
	v_xor_b32_e32 v1, v5, v13
	v_xor_b32_e32 v1, v1, v15
	s_mov_b32 s61, 0xcd9e8d57
	v_mad_u64_u32 v[6:7], s[0:1], v1, s61, 0
	v_xor_b32_e32 v1, v28, v7
	v_mad_u64_u32 v[8:9], s[0:1], v14, s61, 0
	v_and_b32_e32 v18, 3, v2
	v_xor_b32_e32 v1, v1, v8
	v_xor_b32_e32 v2, v12, v9
	v_lshrrev_b32_e32 v30, 2, v3
	v_mad_u64_u32 v[10:11], s[0:1], v1, s60, 0
	v_xor_b32_e32 v2, v2, v30
	v_xor_b32_e32 v1, v27, v11
	v_mad_u64_u32 v[2:3], s[0:1], v2, s60, 0
	v_xor_b32_e32 v1, v1, v2
	v_mad_u64_u32 v[8:9], s[0:1], v1, s61, 0
	s_mov_b32 s0, 0xbb67ae85
	v_add_co_u32_e32 v31, vcc, s0, v0
	v_xor_b32_e32 v2, v31, v3
	v_xor_b32_e32 v2, v2, v4
	v_xor_b32_e32 v1, v26, v9
	v_mad_u64_u32 v[2:3], s[0:1], v2, s61, 0
	v_xor_b32_e32 v1, v1, v2
	v_mad_u64_u32 v[4:5], s[0:1], v1, s60, 0
	s_mov_b32 s0, 0x3c6ef372
	v_add_co_u32_e32 v32, vcc, s0, v12
	v_xor_b32_e32 v2, v32, v3
	;; [unrolled: 8-line block ×6, first 2 shown]
	v_add_co_u32_e32 v21, vcc, 0xdb3d7428, v0
	v_xor_b32_e32 v2, v2, v6
	v_xor_b32_e32 v1, v21, v5
	v_mad_u64_u32 v[2:3], s[0:1], v2, s60, 0
	v_xor_b32_e32 v1, v1, v2
	v_mad_u64_u32 v[6:7], s[0:1], v1, s61, 0
	s_mov_b32 s0, 0x1fd5c5a3
	v_add_co_u32_e32 v37, vcc, s0, v0
	v_xor_b32_e32 v0, v37, v3
	v_xor_b32_e32 v0, v0, v10
	v_mad_u64_u32 v[0:1], s[0:1], v0, s61, 0
	s_mov_b32 s0, 0xf1bbcdc8
	s_load_dwordx8 s[8:15], s[4:5], 0x30
	v_add_co_u32_e32 v38, vcc, s0, v12
	v_xor_b32_e32 v1, v38, v1
	v_xor_b32_e32 v1, v1, v8
	s_add_u32 s34, s4, 48
	v_mad_u64_u32 v[8:9], s[0:1], v1, s60, 0
	s_addc_u32 s35, s5, 0
	s_waitcnt lgkmcnt(0)
	s_add_i32 s0, s8, -1
	s_cmp_gt_u32 s0, 1
	s_cselect_b64 s[36:37], -1, 0
	s_cmp_lg_u32 s8, 0
	s_cselect_b64 s[38:39], -1, 0
	s_add_u32 s40, s4, 0xf4
	s_addc_u32 s41, s5, 0
	s_min_u32 s1, s0, 15
	s_cmp_gt_u32 s8, 1
	s_cselect_b64 s[42:43], -1, 0
	s_add_i32 s1, s1, 1
	s_mov_b32 s8, s13
	s_load_dwordx2 s[44:45], s[4:5], 0xf4
	s_load_dwordx2 s[46:47], s[4:5], 0x138
	s_and_b32 s13, s1, 3
	s_cmp_lg_u32 s0, 2
	s_cselect_b64 s[48:49], -1, 0
	s_and_b32 s15, s1, 28
	v_add_u32_e32 v19, 0x8ff34781, v12
	v_add_u32_e32 v20, 0x96a522ad, v13
	v_xor_b32_e32 v0, v7, v0
	v_xor_b32_e32 v1, v9, v4
	s_cmp_lg_u32 s13, 0
	s_mov_b32 s59, 0
	v_xor_b32_e32 v0, v19, v0
	v_xor_b32_e32 v2, v20, v1
	v_mov_b32_e32 v1, v6
	v_mov_b32_e32 v3, v8
	s_mov_b64 s[50:51], 0
	s_cselect_b64 s[52:53], -1, 0
	s_movk_i32 s62, 0x801
	s_movk_i32 s63, 0x800
	v_mov_b32_e32 v39, v14
	v_mov_b32_e32 v40, v15
	s_branch .LBB97_9
.LBB97_7:                               ;   in Loop: Header=BB97_9 Depth=1
	s_add_u32 s0, 0, 0x7ff00000
	s_addc_u32 s1, 0, 0
	s_add_i32 s1, s1, 0x1ffc00
	s_mul_hi_u32 s5, s0, 0xfffff7ff
	s_sub_i32 s5, s5, s0
	s_mul_i32 s6, s1, 0xfffff7ff
	s_mul_i32 s2, s0, 0xfffff7ff
	s_add_i32 s5, s5, s6
	s_mul_hi_u32 s3, s1, s2
	s_mul_i32 s4, s1, s2
	s_mul_i32 s7, s0, s5
	s_mul_hi_u32 s2, s0, s2
	s_mul_hi_u32 s6, s0, s5
	s_add_u32 s2, s2, s7
	s_addc_u32 s6, 0, s6
	s_add_u32 s2, s2, s4
	s_mul_hi_u32 s7, s1, s5
	s_addc_u32 s2, s6, s3
	s_addc_u32 s3, s7, 0
	s_mul_i32 s4, s1, s5
	s_add_u32 s2, s2, s4
	v_mov_b32_e32 v1, s2
	s_addc_u32 s3, 0, s3
	v_add_co_u32_e32 v1, vcc, s0, v1
	s_cmp_lg_u64 vcc, 0
	s_addc_u32 s2, s1, s3
	v_mad_u64_u32 v[8:9], s[0:1], v3, s2, 0
	v_mul_hi_u32 v7, v3, v1
	v_add_co_u32_e32 v7, vcc, v7, v8
	v_addc_co_u32_e32 v17, vcc, 0, v9, vcc
	v_mad_u64_u32 v[10:11], s[0:1], v2, v1, 0
	v_add_co_u32_e32 v1, vcc, v7, v10
	v_mad_u64_u32 v[8:9], s[0:1], v2, s2, 0
	v_addc_co_u32_e32 v1, vcc, v17, v11, vcc
	v_addc_co_u32_e32 v7, vcc, 0, v9, vcc
	v_add_co_u32_e32 v1, vcc, v1, v8
	v_mad_u64_u32 v[8:9], s[0:1], v1, s62, 0
	v_addc_co_u32_e32 v7, vcc, 0, v7, vcc
	v_mov_b32_e32 v10, v9
	v_mad_u64_u32 v[10:11], s[0:1], v7, s62, v[10:11]
	v_sub_co_u32_e32 v1, vcc, v3, v8
	v_subb_co_u32_e32 v2, vcc, v2, v10, vcc
	v_subrev_co_u32_e32 v7, vcc, s62, v1
	v_subbrev_co_u32_e32 v3, vcc, 0, v2, vcc
	v_subrev_co_u32_e32 v8, vcc, s62, v7
	v_subbrev_co_u32_e32 v9, vcc, 0, v3, vcc
	v_cmp_lt_u32_e32 vcc, s63, v7
	v_cndmask_b32_e64 v10, 0, -1, vcc
	v_cmp_eq_u32_e32 vcc, 0, v3
	v_cndmask_b32_e32 v10, -1, v10, vcc
	v_cmp_ne_u32_e32 vcc, 0, v10
	v_cmp_lt_u32_e64 s[0:1], s63, v1
	v_cndmask_b32_e32 v3, v3, v9, vcc
	v_cndmask_b32_e64 v9, 0, -1, s[0:1]
	v_cmp_eq_u32_e64 s[0:1], 0, v2
	v_cndmask_b32_e64 v9, -1, v9, s[0:1]
	v_cmp_ne_u32_e64 s[0:1], 0, v9
	v_cndmask_b32_e64 v3, v2, v3, s[0:1]
	v_cndmask_b32_e32 v2, v7, v8, vcc
	v_cndmask_b32_e64 v2, v1, v2, s[0:1]
	v_ffbh_u32_e32 v1, v3
	v_min_u32_e32 v1, 32, v1
	v_lshlrev_b64 v[2:3], v1, v[2:3]
	v_min_u32_e32 v2, 1, v2
	v_or_b32_e32 v2, v3, v2
	v_cvt_f32_u32_e32 v2, v2
	v_sub_u32_e32 v1, 32, v1
	v_ldexp_f32 v1, v2, v1
	v_cvt_f16_f32_e32 v1, v1
	s_waitcnt lgkmcnt(0)
	global_store_short v0, v1, s[46:47]
.LBB97_8:                               ;   in Loop: Header=BB97_9 Depth=1
	s_or_b64 exec, exec, s[28:29]
	v_add_co_u32_e32 v14, vcc, s58, v14
	v_addc_co_u32_e32 v15, vcc, 0, v15, vcc
	v_mov_b32_e32 v7, v16
	v_cmp_le_i64_e32 vcc, s[26:27], v[14:15]
	v_pk_mov_b32 v[0:1], v[4:5], v[4:5] op_sel:[0,1]
	s_or_b64 s[50:51], vcc, s[50:51]
	v_pk_mov_b32 v[2:3], v[6:7], v[6:7] op_sel:[0,1]
	s_waitcnt lgkmcnt(0)
	s_barrier
	s_andn2_b64 exec, exec, s[50:51]
	s_cbranch_execz .LBB97_50
.LBB97_9:                               ; =>This Loop Header: Depth=1
                                        ;     Child Loop BB97_24 Depth 2
                                        ;     Child Loop BB97_30 Depth 2
	;; [unrolled: 1-line block ×4, first 2 shown]
	v_add_co_u32_e32 v29, vcc, 1, v29
	v_cndmask_b32_e64 v4, 0, 1, vcc
	v_addc_co_u32_e32 v30, vcc, 0, v30, vcc
	v_cmp_eq_u32_e32 vcc, 0, v30
	v_cndmask_b32_e32 v4, 0, v4, vcc
	v_add_u32_e32 v39, v4, v39
	v_cmp_eq_u32_e32 vcc, 0, v39
	v_cndmask_b32_e32 v4, 0, v4, vcc
	v_add_u32_e32 v40, v4, v40
	v_mad_u64_u32 v[4:5], s[0:1], v29, s60, 0
	v_mad_u64_u32 v[6:7], s[0:1], v39, s61, 0
	v_xor_b32_e32 v5, v5, v13
	v_xor_b32_e32 v7, v7, v12
	v_xor_b32_e32 v5, v40, v5
	v_xor_b32_e32 v7, v30, v7
	v_mad_u64_u32 v[10:11], s[0:1], v5, s61, 0
	v_mad_u64_u32 v[8:9], s[0:1], v7, s60, 0
	v_xor_b32_e32 v5, v28, v11
	v_xor_b32_e32 v5, v5, v6
	v_xor_b32_e32 v6, v31, v9
	v_xor_b32_e32 v6, v6, v4
	;; [unrolled: 6-line block ×10, first 2 shown]
	v_mov_b32_e32 v5, v10
	v_mov_b32_e32 v6, v11
	v_cmp_lt_i32_e32 vcc, 1, v18
	s_and_saveexec_b64 s[0:1], vcc
	s_xor_b64 s[0:1], exec, s[0:1]
	s_cbranch_execz .LBB97_15
; %bb.10:                               ;   in Loop: Header=BB97_9 Depth=1
	v_cmp_lt_i32_e32 vcc, 2, v18
	s_and_saveexec_b64 s[2:3], vcc
	s_xor_b64 s[2:3], exec, s[2:3]
; %bb.11:                               ;   in Loop: Header=BB97_9 Depth=1
	v_mov_b32_e32 v8, v3
	v_mov_b32_e32 v9, v4
	v_pk_mov_b32 v[0:1], v[8:9], v[8:9] op_sel:[0,1]
	v_pk_mov_b32 v[2:3], v[10:11], v[10:11] op_sel:[0,1]
                                        ; implicit-def: $vgpr10_vgpr11
; %bb.12:                               ;   in Loop: Header=BB97_9 Depth=1
	s_andn2_saveexec_b64 s[2:3], s[2:3]
; %bb.13:                               ;   in Loop: Header=BB97_9 Depth=1
	v_mov_b32_e32 v0, v2
	v_mov_b32_e32 v1, v3
	;; [unrolled: 1-line block ×4, first 2 shown]
; %bb.14:                               ;   in Loop: Header=BB97_9 Depth=1
	s_or_b64 exec, exec, s[2:3]
.LBB97_15:                              ;   in Loop: Header=BB97_9 Depth=1
	s_andn2_saveexec_b64 s[0:1], s[0:1]
	s_cbranch_execz .LBB97_19
; %bb.16:                               ;   in Loop: Header=BB97_9 Depth=1
	v_cmp_eq_u32_e32 vcc, 1, v18
	s_and_saveexec_b64 s[2:3], vcc
; %bb.17:                               ;   in Loop: Header=BB97_9 Depth=1
	v_mov_b32_e32 v0, v1
	v_mov_b32_e32 v1, v2
	v_mov_b32_e32 v2, v3
	v_mov_b32_e32 v3, v4
; %bb.18:                               ;   in Loop: Header=BB97_9 Depth=1
	s_or_b64 exec, exec, s[2:3]
.LBB97_19:                              ;   in Loop: Header=BB97_9 Depth=1
	s_or_b64 exec, exec, s[0:1]
	v_cndmask_b32_e64 v7, 0, 1, s[36:37]
	v_cmp_gt_i64_e32 vcc, s[24:25], v[14:15]
	v_cmp_ne_u32_e64 s[0:1], 1, v7
	s_and_saveexec_b64 s[54:55], vcc
	s_cbranch_execz .LBB97_35
; %bb.20:                               ;   in Loop: Header=BB97_9 Depth=1
	s_and_b64 vcc, exec, s[0:1]
	s_cbranch_vccnz .LBB97_26
; %bb.21:                               ;   in Loop: Header=BB97_9 Depth=1
	s_andn2_b64 vcc, exec, s[38:39]
	s_cbranch_vccnz .LBB97_27
; %bb.22:                               ;   in Loop: Header=BB97_9 Depth=1
	s_mov_b32 s4, 0
	s_andn2_b64 vcc, exec, s[48:49]
	v_mov_b32_e32 v8, 0
	s_cbranch_vccnz .LBB97_28
; %bb.23:                               ;   in Loop: Header=BB97_9 Depth=1
	s_mov_b32 s64, 0
	v_mov_b32_e32 v8, 0
	s_mov_b64 s[2:3], s[34:35]
	s_mov_b64 s[56:57], s[40:41]
	v_mov_b32_e32 v7, v14
.LBB97_24:                              ;   Parent Loop BB97_9 Depth=1
                                        ; =>  This Inner Loop Header: Depth=2
	s_load_dwordx8 s[16:23], s[2:3], 0x4
	s_load_dwordx4 s[4:7], s[2:3], 0x24
	s_load_dwordx4 s[28:31], s[56:57], 0x0
	s_add_u32 s2, s2, 48
	s_addc_u32 s3, s3, 0
	s_waitcnt lgkmcnt(0)
	v_mul_hi_u32 v9, s17, v7
	v_add_u32_e32 v9, v7, v9
	v_lshrrev_b32_e32 v9, s18, v9
	v_mul_lo_u32 v10, v9, s16
	v_mul_hi_u32 v11, s20, v9
	v_sub_u32_e32 v7, v7, v10
	v_add_u32_e32 v10, v9, v11
	v_lshrrev_b32_e32 v10, s21, v10
	v_mul_lo_u32 v11, v10, s19
	v_mul_hi_u32 v17, s23, v10
	v_sub_u32_e32 v9, v9, v11
	v_add_u32_e32 v11, v10, v17
	v_mul_lo_u32 v7, v7, s28
	v_mul_lo_u32 v9, v9, s29
	v_lshrrev_b32_e32 v11, s4, v11
	v_add3_u32 v8, v7, v8, v9
	v_mul_lo_u32 v7, v11, s22
	v_mul_hi_u32 v9, s6, v11
	v_sub_u32_e32 v7, v10, v7
	v_add_u32_e32 v9, v11, v9
	v_mul_lo_u32 v10, v7, s30
	v_lshrrev_b32_e32 v7, s7, v9
	s_add_i32 s64, s64, 4
	v_mul_lo_u32 v9, v7, s5
	s_add_u32 s56, s56, 16
	v_sub_u32_e32 v9, v11, v9
	s_addc_u32 s57, s57, 0
	v_mul_lo_u32 v9, v9, s31
	s_cmp_lg_u32 s15, s64
	v_add3_u32 v8, v10, v8, v9
	s_cbranch_scc1 .LBB97_24
; %bb.25:                               ;   in Loop: Header=BB97_9 Depth=1
	s_mov_b32 s4, s15
	s_andn2_b64 vcc, exec, s[52:53]
	s_cbranch_vccz .LBB97_29
	s_branch .LBB97_31
.LBB97_26:                              ;   in Loop: Header=BB97_9 Depth=1
                                        ; implicit-def: $vgpr8
	s_branch .LBB97_32
.LBB97_27:                              ;   in Loop: Header=BB97_9 Depth=1
	v_mov_b32_e32 v8, 0
	s_branch .LBB97_31
.LBB97_28:                              ;   in Loop: Header=BB97_9 Depth=1
	v_mov_b32_e32 v7, v14
	s_andn2_b64 vcc, exec, s[52:53]
	s_cbranch_vccnz .LBB97_31
.LBB97_29:                              ;   in Loop: Header=BB97_9 Depth=1
	s_lshl_b32 s2, s4, 2
	s_add_u32 s2, s40, s2
	s_addc_u32 s3, s41, 0
	s_mul_i32 s4, s4, 12
	s_add_u32 s4, s34, s4
	s_addc_u32 s5, s35, 0
	s_mov_b32 s6, s13
.LBB97_30:                              ;   Parent Loop BB97_9 Depth=1
                                        ; =>  This Inner Loop Header: Depth=2
	s_load_dwordx2 s[16:17], s[4:5], 0x4
	s_load_dword s7, s[4:5], 0xc
	s_load_dword s18, s[2:3], 0x0
	s_add_u32 s4, s4, 12
	s_addc_u32 s5, s5, 0
	s_waitcnt lgkmcnt(0)
	v_mul_hi_u32 v9, s17, v7
	v_add_u32_e32 v9, v7, v9
	v_lshrrev_b32_e32 v9, s7, v9
	s_add_u32 s2, s2, 4
	v_mul_lo_u32 v10, v9, s16
	s_addc_u32 s3, s3, 0
	s_add_i32 s6, s6, -1
	v_sub_u32_e32 v10, v7, v10
	s_cmp_lg_u32 s6, 0
	v_mov_b32_e32 v7, v9
	v_mad_u64_u32 v[8:9], s[16:17], v10, s18, v[8:9]
	s_cbranch_scc1 .LBB97_30
.LBB97_31:                              ;   in Loop: Header=BB97_9 Depth=1
	s_cbranch_execnz .LBB97_34
.LBB97_32:                              ;   in Loop: Header=BB97_9 Depth=1
	v_mul_hi_u32 v7, v14, s10
	v_add_u32_e32 v7, v7, v14
	v_lshrrev_b32_e32 v7, s11, v7
	v_mul_lo_u32 v8, v7, s9
	v_sub_u32_e32 v8, v14, v8
	s_andn2_b64 vcc, exec, s[42:43]
	s_waitcnt lgkmcnt(0)
	v_mul_lo_u32 v8, v8, s44
	s_cbranch_vccnz .LBB97_34
; %bb.33:                               ;   in Loop: Header=BB97_9 Depth=1
	v_mul_hi_u32 v9, s8, v7
	v_add_u32_e32 v9, v7, v9
	v_lshrrev_b32_e32 v9, s14, v9
	v_mul_lo_u32 v9, v9, s12
	v_sub_u32_e32 v7, v7, v9
	v_mad_u64_u32 v[8:9], s[2:3], v7, s45, v[8:9]
.LBB97_34:                              ;   in Loop: Header=BB97_9 Depth=1
	s_add_u32 s2, 0, 0x7ff00000
	s_addc_u32 s3, 0, 0
	s_add_i32 s3, s3, 0x1ffc00
	s_mul_hi_u32 s7, s2, 0xfffff7ff
	s_sub_i32 s7, s7, s2
	s_mul_i32 s16, s3, 0xfffff7ff
	s_mul_i32 s4, s2, 0xfffff7ff
	s_add_i32 s7, s7, s16
	s_mul_hi_u32 s5, s3, s4
	s_mul_i32 s6, s3, s4
	s_mul_i32 s17, s2, s7
	s_mul_hi_u32 s4, s2, s4
	s_mul_hi_u32 s16, s2, s7
	s_add_u32 s4, s4, s17
	s_addc_u32 s16, 0, s16
	s_add_u32 s4, s4, s6
	s_mul_hi_u32 s17, s3, s7
	s_addc_u32 s4, s16, s5
	s_addc_u32 s5, s17, 0
	s_mul_i32 s6, s3, s7
	s_add_u32 s4, s4, s6
	v_mov_b32_e32 v7, s4
	s_addc_u32 s5, 0, s5
	v_add_co_u32_e32 v7, vcc, s2, v7
	s_cmp_lg_u64 vcc, 0
	s_addc_u32 s4, s3, s5
	v_mad_u64_u32 v[10:11], s[2:3], v1, s4, 0
	v_mul_hi_u32 v9, v1, v7
	v_add_co_u32_e32 v9, vcc, v9, v10
	v_addc_co_u32_e32 v17, vcc, 0, v11, vcc
	v_mad_u64_u32 v[42:43], s[2:3], v0, v7, 0
	v_add_co_u32_e32 v7, vcc, v9, v42
	v_mad_u64_u32 v[10:11], s[2:3], v0, s4, 0
	v_addc_co_u32_e32 v7, vcc, v17, v43, vcc
	v_addc_co_u32_e32 v9, vcc, 0, v11, vcc
	v_add_co_u32_e32 v7, vcc, v7, v10
	v_mad_u64_u32 v[10:11], s[2:3], v7, s62, 0
	v_addc_co_u32_e32 v9, vcc, 0, v9, vcc
	v_mov_b32_e32 v42, v11
	v_mad_u64_u32 v[42:43], s[2:3], v9, s62, v[42:43]
	v_sub_co_u32_e32 v7, vcc, v1, v10
	v_subb_co_u32_e32 v0, vcc, v0, v42, vcc
	v_subrev_co_u32_e32 v9, vcc, s62, v7
	v_subbrev_co_u32_e32 v1, vcc, 0, v0, vcc
	v_subrev_co_u32_e32 v10, vcc, s62, v9
	v_subbrev_co_u32_e32 v11, vcc, 0, v1, vcc
	v_cmp_lt_u32_e32 vcc, s63, v9
	v_cndmask_b32_e64 v17, 0, -1, vcc
	v_cmp_eq_u32_e32 vcc, 0, v1
	v_cndmask_b32_e32 v17, -1, v17, vcc
	v_cmp_ne_u32_e32 vcc, 0, v17
	v_cmp_lt_u32_e64 s[2:3], s63, v7
	v_cndmask_b32_e32 v1, v1, v11, vcc
	v_cndmask_b32_e64 v11, 0, -1, s[2:3]
	v_cmp_eq_u32_e64 s[2:3], 0, v0
	v_cndmask_b32_e64 v11, -1, v11, s[2:3]
	v_cmp_ne_u32_e64 s[2:3], 0, v11
	v_cndmask_b32_e64 v1, v0, v1, s[2:3]
	v_cndmask_b32_e32 v0, v9, v10, vcc
	v_cndmask_b32_e64 v0, v7, v0, s[2:3]
	v_ffbh_u32_e32 v7, v1
	v_min_u32_e32 v7, 32, v7
	v_lshlrev_b64 v[0:1], v7, v[0:1]
	v_min_u32_e32 v0, 1, v0
	v_or_b32_e32 v0, v1, v0
	v_cvt_f32_u32_e32 v0, v0
	v_sub_u32_e32 v1, 32, v7
	v_ldexp_f32 v0, v0, v1
	v_cvt_f16_f32_e32 v0, v0
	s_waitcnt lgkmcnt(0)
	global_store_short v8, v0, s[46:47]
.LBB97_35:                              ;   in Loop: Header=BB97_9 Depth=1
	s_or_b64 exec, exec, s[54:55]
	v_mov_b32_e32 v0, s59
	v_add_co_u32_e32 v8, vcc, s33, v14
	v_addc_co_u32_e32 v9, vcc, v15, v0, vcc
	v_cmp_gt_i64_e32 vcc, s[24:25], v[8:9]
	s_and_saveexec_b64 s[28:29], vcc
	s_cbranch_execz .LBB97_8
; %bb.36:                               ;   in Loop: Header=BB97_9 Depth=1
	s_and_b64 vcc, exec, s[0:1]
	s_cbranch_vccnz .LBB97_42
; %bb.37:                               ;   in Loop: Header=BB97_9 Depth=1
	s_andn2_b64 vcc, exec, s[38:39]
	s_cbranch_vccnz .LBB97_43
; %bb.38:                               ;   in Loop: Header=BB97_9 Depth=1
	s_mov_b32 s2, 0
	s_andn2_b64 vcc, exec, s[48:49]
	v_mov_b32_e32 v0, 0
	s_cbranch_vccnz .LBB97_44
; %bb.39:                               ;   in Loop: Header=BB97_9 Depth=1
	s_mov_b32 s56, 0
	v_mov_b32_e32 v0, 0
	s_mov_b64 s[30:31], s[34:35]
	s_mov_b64 s[54:55], s[40:41]
	v_mov_b32_e32 v7, v8
.LBB97_40:                              ;   Parent Loop BB97_9 Depth=1
                                        ; =>  This Inner Loop Header: Depth=2
	s_load_dwordx8 s[0:7], s[30:31], 0x4
	s_load_dwordx4 s[16:19], s[30:31], 0x24
	s_load_dwordx4 s[20:23], s[54:55], 0x0
	s_add_u32 s30, s30, 48
	s_addc_u32 s31, s31, 0
	s_waitcnt lgkmcnt(0)
	v_mul_hi_u32 v1, s1, v7
	v_add_u32_e32 v1, v7, v1
	v_lshrrev_b32_e32 v1, s2, v1
	v_mul_lo_u32 v9, v1, s0
	v_mul_hi_u32 v10, s4, v1
	v_sub_u32_e32 v7, v7, v9
	v_add_u32_e32 v9, v1, v10
	v_lshrrev_b32_e32 v9, s5, v9
	v_mul_lo_u32 v10, v9, s3
	v_mul_hi_u32 v11, s7, v9
	v_sub_u32_e32 v1, v1, v10
	v_add_u32_e32 v10, v9, v11
	v_mul_lo_u32 v7, v7, s20
	v_mul_lo_u32 v1, v1, s21
	v_lshrrev_b32_e32 v10, s16, v10
	v_add3_u32 v0, v7, v0, v1
	v_mul_hi_u32 v7, s18, v10
	v_add_u32_e32 v7, v10, v7
	v_mul_lo_u32 v1, v10, s6
	v_lshrrev_b32_e32 v7, s19, v7
	s_add_i32 s56, s56, 4
	v_sub_u32_e32 v1, v9, v1
	v_mul_lo_u32 v9, v7, s17
	s_add_u32 s54, s54, 16
	v_sub_u32_e32 v9, v10, v9
	s_addc_u32 s55, s55, 0
	v_mul_lo_u32 v1, v1, s22
	v_mul_lo_u32 v9, v9, s23
	s_cmp_eq_u32 s15, s56
	v_add3_u32 v0, v1, v0, v9
	s_cbranch_scc0 .LBB97_40
; %bb.41:                               ;   in Loop: Header=BB97_9 Depth=1
	s_mov_b32 s2, s15
	s_andn2_b64 vcc, exec, s[52:53]
	s_cbranch_vccz .LBB97_45
	s_branch .LBB97_47
.LBB97_42:                              ;   in Loop: Header=BB97_9 Depth=1
                                        ; implicit-def: $vgpr0
	s_branch .LBB97_48
.LBB97_43:                              ;   in Loop: Header=BB97_9 Depth=1
	v_mov_b32_e32 v0, 0
	s_branch .LBB97_47
.LBB97_44:                              ;   in Loop: Header=BB97_9 Depth=1
	v_mov_b32_e32 v7, v8
	s_andn2_b64 vcc, exec, s[52:53]
	s_cbranch_vccnz .LBB97_47
.LBB97_45:                              ;   in Loop: Header=BB97_9 Depth=1
	s_lshl_b32 s0, s2, 2
	s_add_u32 s0, s40, s0
	s_addc_u32 s1, s41, 0
	s_mul_i32 s2, s2, 12
	s_add_u32 s2, s34, s2
	s_addc_u32 s3, s35, 0
	s_mov_b32 s4, s13
.LBB97_46:                              ;   Parent Loop BB97_9 Depth=1
                                        ; =>  This Inner Loop Header: Depth=2
	s_load_dwordx2 s[6:7], s[2:3], 0x4
	s_load_dword s5, s[2:3], 0xc
	s_load_dword s16, s[0:1], 0x0
	s_add_u32 s2, s2, 12
	s_addc_u32 s3, s3, 0
	s_waitcnt lgkmcnt(0)
	v_mul_hi_u32 v1, s7, v7
	v_add_u32_e32 v1, v7, v1
	v_lshrrev_b32_e32 v1, s5, v1
	s_add_u32 s0, s0, 4
	v_mul_lo_u32 v9, v1, s6
	s_addc_u32 s1, s1, 0
	s_add_i32 s4, s4, -1
	v_sub_u32_e32 v9, v7, v9
	s_cmp_lg_u32 s4, 0
	v_mov_b32_e32 v7, v1
	v_mad_u64_u32 v[0:1], s[6:7], v9, s16, v[0:1]
	s_cbranch_scc1 .LBB97_46
.LBB97_47:                              ;   in Loop: Header=BB97_9 Depth=1
	s_cbranch_execnz .LBB97_7
.LBB97_48:                              ;   in Loop: Header=BB97_9 Depth=1
	v_mul_hi_u32 v0, v8, s10
	v_add_u32_e32 v0, v0, v8
	v_lshrrev_b32_e32 v1, s11, v0
	v_mul_lo_u32 v0, v1, s9
	v_sub_u32_e32 v0, v8, v0
	s_andn2_b64 vcc, exec, s[42:43]
	s_waitcnt lgkmcnt(0)
	v_mul_lo_u32 v0, v0, s44
	s_cbranch_vccnz .LBB97_7
; %bb.49:                               ;   in Loop: Header=BB97_9 Depth=1
	v_mul_hi_u32 v7, s8, v1
	v_add_u32_e32 v7, v1, v7
	v_lshrrev_b32_e32 v7, s14, v7
	v_mul_lo_u32 v7, v7, s12
	v_sub_u32_e32 v1, v1, v7
	v_mad_u64_u32 v[0:1], s[0:1], v1, s45, v[0:1]
	s_branch .LBB97_7
.LBB97_50:
	s_endpgm
.LBB97_51:
                                        ; implicit-def: $sgpr2_sgpr3
	s_andn2_b64 vcc, exec, s[0:1]
	s_cbranch_vccz .LBB97_4
	s_branch .LBB97_5
	.section	.rodata,"a",@progbits
	.p2align	6, 0x0
	.amdhsa_kernel _ZN2at6native12_GLOBAL__N_143distribution_elementwise_grid_stride_kernelImLi2EZZZNS0_9templates4cuda13random_kernelIPNS_17CUDAGeneratorImplEEEvRNS_18TensorIteratorBaseET_ENKUlvE_clEvENKUlvE6_clEvEUlP25hiprandStatePhilox4_32_10E_ZNS1_27distribution_nullary_kernelIN3c104HalfEm15HIP_vector_typeIyLj2EES7_SF_ZZZNS5_IS7_EEvS9_SA_ENKSB_clEvENKSC_clEvEUlmE_EEvS9_T2_RKT3_T4_EUlimE0_EEvlNS_15PhiloxCudaStateET1_SM_
		.amdhsa_group_segment_fixed_size 0
		.amdhsa_private_segment_fixed_size 0
		.amdhsa_kernarg_size 584
		.amdhsa_user_sgpr_count 6
		.amdhsa_user_sgpr_private_segment_buffer 1
		.amdhsa_user_sgpr_dispatch_ptr 0
		.amdhsa_user_sgpr_queue_ptr 0
		.amdhsa_user_sgpr_kernarg_segment_ptr 1
		.amdhsa_user_sgpr_dispatch_id 0
		.amdhsa_user_sgpr_flat_scratch_init 0
		.amdhsa_user_sgpr_kernarg_preload_length 0
		.amdhsa_user_sgpr_kernarg_preload_offset 0
		.amdhsa_user_sgpr_private_segment_size 0
		.amdhsa_uses_dynamic_stack 0
		.amdhsa_system_sgpr_private_segment_wavefront_offset 0
		.amdhsa_system_sgpr_workgroup_id_x 1
		.amdhsa_system_sgpr_workgroup_id_y 0
		.amdhsa_system_sgpr_workgroup_id_z 0
		.amdhsa_system_sgpr_workgroup_info 0
		.amdhsa_system_vgpr_workitem_id 0
		.amdhsa_next_free_vgpr 44
		.amdhsa_next_free_sgpr 65
		.amdhsa_accum_offset 44
		.amdhsa_reserve_vcc 1
		.amdhsa_reserve_flat_scratch 0
		.amdhsa_float_round_mode_32 0
		.amdhsa_float_round_mode_16_64 0
		.amdhsa_float_denorm_mode_32 3
		.amdhsa_float_denorm_mode_16_64 3
		.amdhsa_dx10_clamp 1
		.amdhsa_ieee_mode 1
		.amdhsa_fp16_overflow 0
		.amdhsa_tg_split 0
		.amdhsa_exception_fp_ieee_invalid_op 0
		.amdhsa_exception_fp_denorm_src 0
		.amdhsa_exception_fp_ieee_div_zero 0
		.amdhsa_exception_fp_ieee_overflow 0
		.amdhsa_exception_fp_ieee_underflow 0
		.amdhsa_exception_fp_ieee_inexact 0
		.amdhsa_exception_int_div_zero 0
	.end_amdhsa_kernel
	.section	.text._ZN2at6native12_GLOBAL__N_143distribution_elementwise_grid_stride_kernelImLi2EZZZNS0_9templates4cuda13random_kernelIPNS_17CUDAGeneratorImplEEEvRNS_18TensorIteratorBaseET_ENKUlvE_clEvENKUlvE6_clEvEUlP25hiprandStatePhilox4_32_10E_ZNS1_27distribution_nullary_kernelIN3c104HalfEm15HIP_vector_typeIyLj2EES7_SF_ZZZNS5_IS7_EEvS9_SA_ENKSB_clEvENKSC_clEvEUlmE_EEvS9_T2_RKT3_T4_EUlimE0_EEvlNS_15PhiloxCudaStateET1_SM_,"axG",@progbits,_ZN2at6native12_GLOBAL__N_143distribution_elementwise_grid_stride_kernelImLi2EZZZNS0_9templates4cuda13random_kernelIPNS_17CUDAGeneratorImplEEEvRNS_18TensorIteratorBaseET_ENKUlvE_clEvENKUlvE6_clEvEUlP25hiprandStatePhilox4_32_10E_ZNS1_27distribution_nullary_kernelIN3c104HalfEm15HIP_vector_typeIyLj2EES7_SF_ZZZNS5_IS7_EEvS9_SA_ENKSB_clEvENKSC_clEvEUlmE_EEvS9_T2_RKT3_T4_EUlimE0_EEvlNS_15PhiloxCudaStateET1_SM_,comdat
.Lfunc_end97:
	.size	_ZN2at6native12_GLOBAL__N_143distribution_elementwise_grid_stride_kernelImLi2EZZZNS0_9templates4cuda13random_kernelIPNS_17CUDAGeneratorImplEEEvRNS_18TensorIteratorBaseET_ENKUlvE_clEvENKUlvE6_clEvEUlP25hiprandStatePhilox4_32_10E_ZNS1_27distribution_nullary_kernelIN3c104HalfEm15HIP_vector_typeIyLj2EES7_SF_ZZZNS5_IS7_EEvS9_SA_ENKSB_clEvENKSC_clEvEUlmE_EEvS9_T2_RKT3_T4_EUlimE0_EEvlNS_15PhiloxCudaStateET1_SM_, .Lfunc_end97-_ZN2at6native12_GLOBAL__N_143distribution_elementwise_grid_stride_kernelImLi2EZZZNS0_9templates4cuda13random_kernelIPNS_17CUDAGeneratorImplEEEvRNS_18TensorIteratorBaseET_ENKUlvE_clEvENKUlvE6_clEvEUlP25hiprandStatePhilox4_32_10E_ZNS1_27distribution_nullary_kernelIN3c104HalfEm15HIP_vector_typeIyLj2EES7_SF_ZZZNS5_IS7_EEvS9_SA_ENKSB_clEvENKSC_clEvEUlmE_EEvS9_T2_RKT3_T4_EUlimE0_EEvlNS_15PhiloxCudaStateET1_SM_
                                        ; -- End function
	.section	.AMDGPU.csdata,"",@progbits
; Kernel info:
; codeLenInByte = 3924
; NumSgprs: 69
; NumVgprs: 44
; NumAgprs: 0
; TotalNumVgprs: 44
; ScratchSize: 0
; MemoryBound: 0
; FloatMode: 240
; IeeeMode: 1
; LDSByteSize: 0 bytes/workgroup (compile time only)
; SGPRBlocks: 8
; VGPRBlocks: 5
; NumSGPRsForWavesPerEU: 69
; NumVGPRsForWavesPerEU: 44
; AccumOffset: 44
; Occupancy: 8
; WaveLimiterHint : 1
; COMPUTE_PGM_RSRC2:SCRATCH_EN: 0
; COMPUTE_PGM_RSRC2:USER_SGPR: 6
; COMPUTE_PGM_RSRC2:TRAP_HANDLER: 0
; COMPUTE_PGM_RSRC2:TGID_X_EN: 1
; COMPUTE_PGM_RSRC2:TGID_Y_EN: 0
; COMPUTE_PGM_RSRC2:TGID_Z_EN: 0
; COMPUTE_PGM_RSRC2:TIDIG_COMP_CNT: 0
; COMPUTE_PGM_RSRC3_GFX90A:ACCUM_OFFSET: 10
; COMPUTE_PGM_RSRC3_GFX90A:TG_SPLIT: 0
	.section	.text._ZN2at6native12_GLOBAL__N_143distribution_elementwise_grid_stride_kernelIjLi4EZZZNS0_9templates4cuda13random_kernelIPNS_17CUDAGeneratorImplEEEvRNS_18TensorIteratorBaseET_ENKUlvE_clEvENKUlvE6_clEvEUlP25hiprandStatePhilox4_32_10E0_ZNS1_27distribution_nullary_kernelIN3c104HalfEj15HIP_vector_typeIjLj4EES7_SF_ZZZNS5_IS7_EEvS9_SA_ENKSB_clEvENKSC_clEvEUljE_EEvS9_T2_RKT3_T4_EUlijE_EEvlNS_15PhiloxCudaStateET1_SM_,"axG",@progbits,_ZN2at6native12_GLOBAL__N_143distribution_elementwise_grid_stride_kernelIjLi4EZZZNS0_9templates4cuda13random_kernelIPNS_17CUDAGeneratorImplEEEvRNS_18TensorIteratorBaseET_ENKUlvE_clEvENKUlvE6_clEvEUlP25hiprandStatePhilox4_32_10E0_ZNS1_27distribution_nullary_kernelIN3c104HalfEj15HIP_vector_typeIjLj4EES7_SF_ZZZNS5_IS7_EEvS9_SA_ENKSB_clEvENKSC_clEvEUljE_EEvS9_T2_RKT3_T4_EUlijE_EEvlNS_15PhiloxCudaStateET1_SM_,comdat
	.globl	_ZN2at6native12_GLOBAL__N_143distribution_elementwise_grid_stride_kernelIjLi4EZZZNS0_9templates4cuda13random_kernelIPNS_17CUDAGeneratorImplEEEvRNS_18TensorIteratorBaseET_ENKUlvE_clEvENKUlvE6_clEvEUlP25hiprandStatePhilox4_32_10E0_ZNS1_27distribution_nullary_kernelIN3c104HalfEj15HIP_vector_typeIjLj4EES7_SF_ZZZNS5_IS7_EEvS9_SA_ENKSB_clEvENKSC_clEvEUljE_EEvS9_T2_RKT3_T4_EUlijE_EEvlNS_15PhiloxCudaStateET1_SM_ ; -- Begin function _ZN2at6native12_GLOBAL__N_143distribution_elementwise_grid_stride_kernelIjLi4EZZZNS0_9templates4cuda13random_kernelIPNS_17CUDAGeneratorImplEEEvRNS_18TensorIteratorBaseET_ENKUlvE_clEvENKUlvE6_clEvEUlP25hiprandStatePhilox4_32_10E0_ZNS1_27distribution_nullary_kernelIN3c104HalfEj15HIP_vector_typeIjLj4EES7_SF_ZZZNS5_IS7_EEvS9_SA_ENKSB_clEvENKSC_clEvEUljE_EEvS9_T2_RKT3_T4_EUlijE_EEvlNS_15PhiloxCudaStateET1_SM_
	.p2align	8
	.type	_ZN2at6native12_GLOBAL__N_143distribution_elementwise_grid_stride_kernelIjLi4EZZZNS0_9templates4cuda13random_kernelIPNS_17CUDAGeneratorImplEEEvRNS_18TensorIteratorBaseET_ENKUlvE_clEvENKUlvE6_clEvEUlP25hiprandStatePhilox4_32_10E0_ZNS1_27distribution_nullary_kernelIN3c104HalfEj15HIP_vector_typeIjLj4EES7_SF_ZZZNS5_IS7_EEvS9_SA_ENKSB_clEvENKSC_clEvEUljE_EEvS9_T2_RKT3_T4_EUlijE_EEvlNS_15PhiloxCudaStateET1_SM_,@function
_ZN2at6native12_GLOBAL__N_143distribution_elementwise_grid_stride_kernelIjLi4EZZZNS0_9templates4cuda13random_kernelIPNS_17CUDAGeneratorImplEEEvRNS_18TensorIteratorBaseET_ENKUlvE_clEvENKUlvE6_clEvEUlP25hiprandStatePhilox4_32_10E0_ZNS1_27distribution_nullary_kernelIN3c104HalfEj15HIP_vector_typeIjLj4EES7_SF_ZZZNS5_IS7_EEvS9_SA_ENKSB_clEvENKSC_clEvEUljE_EEvS9_T2_RKT3_T4_EUlijE_EEvlNS_15PhiloxCudaStateET1_SM_: ; @_ZN2at6native12_GLOBAL__N_143distribution_elementwise_grid_stride_kernelIjLi4EZZZNS0_9templates4cuda13random_kernelIPNS_17CUDAGeneratorImplEEEvRNS_18TensorIteratorBaseET_ENKUlvE_clEvENKUlvE6_clEvEUlP25hiprandStatePhilox4_32_10E0_ZNS1_27distribution_nullary_kernelIN3c104HalfEj15HIP_vector_typeIjLj4EES7_SF_ZZZNS5_IS7_EEvS9_SA_ENKSB_clEvENKSC_clEvEUljE_EEvS9_T2_RKT3_T4_EUlijE_EEvlNS_15PhiloxCudaStateET1_SM_
; %bb.0:
	s_load_dword s7, s[4:5], 0x20
	s_load_dwordx2 s[10:11], s[4:5], 0x10
	s_load_dwordx4 s[0:3], s[4:5], 0x0
	s_mov_b32 s8, 0
	s_waitcnt lgkmcnt(0)
	s_bitcmp0_b32 s7, 0
	v_pk_mov_b32 v[2:3], s[10:11], s[10:11] op_sel:[0,1]
	v_pk_mov_b32 v[14:15], s[2:3], s[2:3] op_sel:[0,1]
	s_cbranch_scc1 .LBB98_2
; %bb.1:
	v_pk_mov_b32 v[2:3], s[10:11], s[10:11] op_sel:[0,1]
	flat_load_dwordx2 v[2:3], v[2:3]
	v_pk_mov_b32 v[4:5], s[2:3], s[2:3] op_sel:[0,1]
	flat_load_dwordx2 v[14:15], v[4:5]
	s_load_dwordx2 s[2:3], s[4:5], 0x18
	s_waitcnt lgkmcnt(0)
	v_mov_b32_e32 v1, s3
	s_waitcnt vmcnt(0)
	v_add_co_u32_e32 v2, vcc, s2, v2
	v_addc_co_u32_e32 v3, vcc, v3, v1, vcc
.LBB98_2:
	s_load_dword s2, s[4:5], 0x4c
	s_load_dword s10, s[4:5], 0x40
	s_waitcnt lgkmcnt(0)
	s_and_b32 s7, s2, 0xffff
	s_add_u32 s11, s0, -1
	s_mul_i32 s12, s10, s7
	s_addc_u32 s9, s1, -1
	s_lshl_b32 s13, s12, 2
	s_cmp_lg_u64 s[8:9], 0
	s_mov_b64 s[2:3], -1
	s_cbranch_scc0 .LBB98_27
; %bb.3:
	v_cvt_f32_u32_e32 v1, s13
	v_cvt_f32_ubyte0_e32 v4, 0
	s_sub_u32 s8, 0, s13
	s_subb_u32 s14, 0, 0
	v_madmk_f32 v1, v4, 0x4f800000, v1
	v_rcp_f32_e32 v1, v1
	v_mul_f32_e32 v1, 0x5f7ffffc, v1
	v_mul_f32_e32 v4, 0x2f800000, v1
	v_trunc_f32_e32 v4, v4
	v_madmk_f32 v1, v4, 0xcf800000, v1
	v_cvt_u32_f32_e32 v4, v4
	v_cvt_u32_f32_e32 v1, v1
	v_readfirstlane_b32 s15, v4
	v_readfirstlane_b32 s16, v1
	s_mul_i32 s17, s8, s15
	s_mul_hi_u32 s19, s8, s16
	s_mul_i32 s18, s14, s16
	s_add_i32 s17, s19, s17
	s_add_i32 s17, s17, s18
	s_mul_i32 s20, s8, s16
	s_mul_hi_u32 s18, s16, s17
	s_mul_i32 s19, s16, s17
	s_mul_hi_u32 s16, s16, s20
	s_add_u32 s16, s16, s19
	s_addc_u32 s18, 0, s18
	s_mul_hi_u32 s21, s15, s20
	s_mul_i32 s20, s15, s20
	s_add_u32 s16, s16, s20
	s_mul_hi_u32 s19, s15, s17
	s_addc_u32 s16, s18, s21
	s_addc_u32 s18, s19, 0
	s_mul_i32 s17, s15, s17
	s_add_u32 s16, s16, s17
	s_addc_u32 s17, 0, s18
	v_add_co_u32_e32 v1, vcc, s16, v1
	s_cmp_lg_u64 vcc, 0
	s_addc_u32 s15, s15, s17
	v_readfirstlane_b32 s17, v1
	s_mul_i32 s16, s8, s15
	s_mul_hi_u32 s18, s8, s17
	s_add_i32 s16, s18, s16
	s_mul_i32 s14, s14, s17
	s_add_i32 s16, s16, s14
	s_mul_i32 s8, s8, s17
	s_mul_hi_u32 s18, s15, s8
	s_mul_i32 s19, s15, s8
	s_mul_i32 s21, s17, s16
	s_mul_hi_u32 s8, s17, s8
	s_mul_hi_u32 s20, s17, s16
	s_add_u32 s8, s8, s21
	s_addc_u32 s17, 0, s20
	s_add_u32 s8, s8, s19
	s_mul_hi_u32 s14, s15, s16
	s_addc_u32 s8, s17, s18
	s_addc_u32 s14, s14, 0
	s_mul_i32 s16, s15, s16
	s_add_u32 s8, s8, s16
	s_addc_u32 s14, 0, s14
	v_add_co_u32_e32 v1, vcc, s8, v1
	s_cmp_lg_u64 vcc, 0
	s_addc_u32 s16, s15, s14
	s_ashr_i32 s14, s9, 31
	s_add_u32 s8, s11, s14
	s_mov_b32 s15, s14
	s_addc_u32 s9, s9, s14
	s_xor_b64 s[8:9], s[8:9], s[14:15]
	v_readfirstlane_b32 s19, v1
	s_mul_i32 s18, s8, s16
	s_mul_hi_u32 s20, s8, s19
	s_mul_hi_u32 s17, s8, s16
	s_add_u32 s18, s20, s18
	s_addc_u32 s17, 0, s17
	s_mul_hi_u32 s21, s9, s19
	s_mul_i32 s19, s9, s19
	s_add_u32 s18, s18, s19
	s_mul_hi_u32 s20, s9, s16
	s_addc_u32 s17, s17, s21
	s_addc_u32 s18, s20, 0
	s_mul_i32 s16, s9, s16
	s_add_u32 s16, s17, s16
	s_addc_u32 s17, 0, s18
	s_add_u32 s18, s16, 1
	s_addc_u32 s19, s17, 0
	s_add_u32 s20, s16, 2
	s_mul_i32 s22, s13, s17
	s_mul_hi_u32 s23, s13, s16
	s_addc_u32 s21, s17, 0
	s_add_i32 s23, s23, s22
	s_mul_i32 s22, s13, s16
	v_mov_b32_e32 v1, s22
	v_sub_co_u32_e32 v1, vcc, s8, v1
	s_cmp_lg_u64 vcc, 0
	s_subb_u32 s8, s9, s23
	v_subrev_co_u32_e32 v4, vcc, s13, v1
	s_cmp_lg_u64 vcc, 0
	s_subb_u32 s9, s8, 0
	v_readfirstlane_b32 s22, v4
	s_cmp_ge_u32 s22, s13
	s_cselect_b32 s22, -1, 0
	s_cmp_eq_u32 s9, 0
	s_cselect_b32 s9, s22, -1
	s_cmp_lg_u32 s9, 0
	s_cselect_b32 s9, s21, s19
	v_readfirstlane_b32 s19, v1
	s_cselect_b32 s18, s20, s18
	s_cmp_ge_u32 s19, s13
	s_cselect_b32 s19, -1, 0
	s_cmp_eq_u32 s8, 0
	s_cselect_b32 s8, s19, -1
	s_cmp_lg_u32 s8, 0
	s_cselect_b32 s9, s9, s17
	s_cselect_b32 s8, s18, s16
	s_xor_b64 s[8:9], s[8:9], s[14:15]
	s_sub_u32 s8, s8, s14
	s_subb_u32 s9, s9, s14
	s_cbranch_execnz .LBB98_5
.LBB98_4:
	v_cvt_f32_u32_e32 v1, s13
	s_sub_i32 s2, 0, s13
	s_mov_b32 s9, 0
	v_rcp_iflag_f32_e32 v1, v1
	v_mul_f32_e32 v1, 0x4f7ffffe, v1
	v_cvt_u32_f32_e32 v1, v1
	v_readfirstlane_b32 s3, v1
	s_mul_i32 s2, s2, s3
	s_mul_hi_u32 s2, s3, s2
	s_add_i32 s3, s3, s2
	s_mul_hi_u32 s2, s11, s3
	s_mul_i32 s8, s2, s13
	s_sub_i32 s8, s11, s8
	s_add_i32 s3, s2, 1
	s_sub_i32 s11, s8, s13
	s_cmp_ge_u32 s8, s13
	s_cselect_b32 s2, s3, s2
	s_cselect_b32 s8, s11, s8
	s_add_i32 s3, s2, 1
	s_cmp_ge_u32 s8, s13
	s_cselect_b32 s8, s3, s2
.LBB98_5:
	v_mov_b32_e32 v1, 0
	v_mov_b32_e32 v4, s6
	v_mad_u64_u32 v[16:17], s[2:3], s7, v4, v[0:1]
	s_add_u32 s2, s8, 1
	s_addc_u32 s3, s9, 0
	s_mul_hi_u32 s8, s10, s7
	s_mul_i32 s3, s12, s3
	s_mul_hi_u32 s9, s12, s2
	s_add_i32 s3, s9, s3
	s_mul_i32 s8, s8, s2
	s_add_i32 s3, s3, s8
	s_mul_i32 s2, s12, s2
	s_lshl_b64 s[2:3], s[2:3], 2
	v_cmp_gt_i64_e32 vcc, s[2:3], v[16:17]
	s_and_saveexec_b64 s[8:9], vcc
	s_cbranch_execz .LBB98_26
; %bb.6:
	s_load_dwordx2 s[8:9], s[4:5], 0x30
	s_load_dword s11, s[4:5], 0x38
	s_mov_b32 s4, 0x5384540f
	v_mov_b32_e32 v4, v15
	v_add_co_u32_e32 v22, vcc, s4, v14
	s_mov_b32 s4, 0x646e171e
	v_add_co_u32_e32 v23, vcc, s4, v4
	s_mov_b32 s4, 0x1715609d
	v_add_co_u32_e32 v24, vcc, s4, v14
	s_mov_b32 s4, 0xed9eba14
	v_add_co_u32_e32 v25, vcc, s4, v4
	s_mov_b32 s4, 0xdaa66d2b
	v_add_co_u32_e32 v26, vcc, s4, v14
	s_mov_b32 s4, 0x76cf5d0a
	v_add_co_u32_e32 v27, vcc, s4, v4
	s_mov_b32 s4, 0x9e3779b9
	v_alignbit_b32 v29, v3, v2, 2
	s_mov_b32 s15, 0xd2511f53
	v_add_co_u32_e32 v28, vcc, s4, v14
	v_mad_u64_u32 v[6:7], s[4:5], v29, s15, 0
	v_xor_b32_e32 v1, v7, v15
	v_xor_b32_e32 v1, v1, v17
	s_mov_b32 s16, 0xcd9e8d57
	v_mad_u64_u32 v[8:9], s[4:5], v1, s16, 0
	v_xor_b32_e32 v1, v28, v9
	v_mad_u64_u32 v[10:11], s[4:5], v16, s16, 0
	v_and_b32_e32 v18, 3, v2
	v_xor_b32_e32 v1, v1, v10
	v_xor_b32_e32 v2, v14, v11
	v_lshrrev_b32_e32 v30, 2, v3
	v_mad_u64_u32 v[12:13], s[4:5], v1, s15, 0
	v_xor_b32_e32 v2, v2, v30
	v_xor_b32_e32 v1, v27, v13
	v_mad_u64_u32 v[2:3], s[4:5], v2, s15, 0
	v_xor_b32_e32 v1, v1, v2
	v_mad_u64_u32 v[10:11], s[4:5], v1, s16, 0
	s_mov_b32 s4, 0xbb67ae85
	v_add_co_u32_e32 v31, vcc, s4, v4
	v_xor_b32_e32 v2, v31, v3
	v_xor_b32_e32 v2, v2, v6
	v_xor_b32_e32 v1, v26, v11
	v_mad_u64_u32 v[2:3], s[4:5], v2, s16, 0
	v_xor_b32_e32 v1, v1, v2
	v_mad_u64_u32 v[6:7], s[4:5], v1, s15, 0
	s_mov_b32 s4, 0x3c6ef372
	v_add_co_u32_e32 v32, vcc, s4, v14
	v_xor_b32_e32 v2, v32, v3
	;; [unrolled: 8-line block ×6, first 2 shown]
	v_add_co_u32_e32 v21, vcc, 0xdb3d7428, v4
	v_xor_b32_e32 v2, v2, v8
	v_xor_b32_e32 v1, v21, v7
	v_mad_u64_u32 v[2:3], s[4:5], v2, s15, 0
	v_xor_b32_e32 v1, v1, v2
	v_mad_u64_u32 v[8:9], s[4:5], v1, s16, 0
	s_mov_b32 s4, 0x1fd5c5a3
	v_add_co_u32_e32 v37, vcc, s4, v4
	v_xor_b32_e32 v1, v37, v3
	v_xor_b32_e32 v1, v1, v12
	v_mad_u64_u32 v[2:3], s[4:5], v1, s16, 0
	s_mov_b32 s4, 0xf1bbcdc8
	v_add_u32_e32 v19, 0x8ff34781, v14
	v_xor_b32_e32 v1, v9, v2
	v_add_co_u32_e32 v38, vcc, s4, v14
	v_xor_b32_e32 v2, v19, v1
	v_xor_b32_e32 v1, v38, v3
	v_xor_b32_e32 v1, v1, v10
	v_mad_u64_u32 v[10:11], s[4:5], v1, s15, 0
	v_add_u32_e32 v20, 0x96a522ad, v15
	v_xor_b32_e32 v1, v11, v6
	s_mul_i32 s4, s6, s7
	v_xor_b32_e32 v4, v20, v1
	v_add_u32_e32 v1, s4, v0
	s_waitcnt lgkmcnt(0)
	s_mul_i32 s4, s10, s11
	s_mul_i32 s4, s4, s7
	s_lshl_b32 s21, s4, 2
	s_mul_i32 s4, s10, 3
	s_add_i32 s4, s6, s4
	s_mul_i32 s4, s4, s7
	v_mul_lo_u32 v39, s11, v1
	v_add_u32_e32 v1, s4, v0
	s_lshl_b32 s4, s10, 1
	s_add_i32 s4, s6, s4
	s_mul_i32 s4, s4, s7
	v_mul_lo_u32 v40, s11, v1
	v_add_u32_e32 v1, s4, v0
	s_add_i32 s4, s6, s10
	s_mul_i32 s4, s4, s7
	s_mov_b32 s14, 0
	v_add_u32_e32 v0, s4, v0
	v_mov_b32_e32 v3, v8
	v_mov_b32_e32 v5, v10
	s_lshl_b32 s17, s12, 1
	s_mov_b32 s18, s14
	s_mul_i32 s19, s12, 3
	s_mov_b32 s20, s14
	v_mul_lo_u32 v41, s11, v1
	v_mul_lo_u32 v42, s11, v0
	s_mov_b64 s[4:5], 0
	s_mov_b32 s22, 0x3ff801
	s_mov_b32 s23, s14
	v_mov_b32_e32 v43, v16
	v_mov_b32_e32 v44, v17
	s_branch .LBB98_8
.LBB98_7:                               ;   in Loop: Header=BB98_8 Depth=1
	s_or_b64 exec, exec, s[6:7]
	v_add_co_u32_e32 v16, vcc, s13, v16
	v_addc_co_u32_e32 v17, vcc, 0, v17, vcc
	v_mov_b32_e32 v9, v0
	s_add_i32 s23, s23, s21
	v_cmp_le_i64_e32 vcc, s[2:3], v[16:17]
	v_pk_mov_b32 v[2:3], v[6:7], v[6:7] op_sel:[0,1]
	s_or_b64 s[4:5], vcc, s[4:5]
	v_pk_mov_b32 v[4:5], v[8:9], v[8:9] op_sel:[0,1]
	s_barrier
	s_andn2_b64 exec, exec, s[4:5]
	s_cbranch_execz .LBB98_26
.LBB98_8:                               ; =>This Inner Loop Header: Depth=1
	v_add_co_u32_e32 v29, vcc, 1, v29
	v_cndmask_b32_e64 v0, 0, 1, vcc
	v_addc_co_u32_e32 v30, vcc, 0, v30, vcc
	v_cmp_eq_u32_e32 vcc, 0, v30
	v_cndmask_b32_e32 v0, 0, v0, vcc
	v_add_u32_e32 v43, v0, v43
	v_cmp_eq_u32_e32 vcc, 0, v43
	v_cndmask_b32_e32 v0, 0, v0, vcc
	v_add_u32_e32 v44, v0, v44
	v_mad_u64_u32 v[0:1], s[6:7], v29, s15, 0
	v_mad_u64_u32 v[6:7], s[6:7], v43, s16, 0
	v_xor_b32_e32 v1, v1, v15
	v_xor_b32_e32 v7, v7, v14
	v_xor_b32_e32 v1, v44, v1
	v_xor_b32_e32 v7, v30, v7
	v_mad_u64_u32 v[10:11], s[6:7], v1, s16, 0
	v_mad_u64_u32 v[8:9], s[6:7], v7, s15, 0
	v_xor_b32_e32 v1, v28, v11
	v_xor_b32_e32 v1, v1, v6
	v_xor_b32_e32 v6, v31, v9
	v_xor_b32_e32 v6, v6, v0
	;; [unrolled: 6-line block ×10, first 2 shown]
	v_mov_b32_e32 v7, v12
	v_mov_b32_e32 v8, v13
	v_cmp_lt_i32_e32 vcc, 1, v18
	s_and_saveexec_b64 s[6:7], vcc
	s_xor_b64 s[6:7], exec, s[6:7]
	s_cbranch_execnz .LBB98_18
; %bb.9:                                ;   in Loop: Header=BB98_8 Depth=1
	s_andn2_saveexec_b64 s[6:7], s[6:7]
	s_cbranch_execnz .LBB98_23
.LBB98_10:                              ;   in Loop: Header=BB98_8 Depth=1
	s_or_b64 exec, exec, s[6:7]
	v_cmp_gt_i64_e32 vcc, s[0:1], v[16:17]
	s_and_saveexec_b64 s[6:7], vcc
	s_cbranch_execz .LBB98_12
.LBB98_11:                              ;   in Loop: Header=BB98_8 Depth=1
	v_mul_hi_u32 v1, v2, s22
	v_lshrrev_b32_e32 v1, 1, v1
	v_mul_u32_u24_e32 v1, 0x801, v1
	v_sub_u32_e32 v1, v2, v1
	v_cvt_f32_u32_e32 v1, v1
	v_add_u32_e32 v2, s23, v39
	v_mov_b32_e32 v9, s9
	v_ashrrev_i32_e32 v11, 31, v2
	v_cvt_f16_f32_e32 v1, v1
	v_add_co_u32_e32 v10, vcc, s8, v2
	v_addc_co_u32_e32 v11, vcc, v9, v11, vcc
	global_store_short v[10:11], v1, off
.LBB98_12:                              ;   in Loop: Header=BB98_8 Depth=1
	s_or_b64 exec, exec, s[6:7]
	v_mov_b32_e32 v1, s14
	v_add_co_u32_e32 v10, vcc, s12, v16
	v_addc_co_u32_e32 v11, vcc, v1, v17, vcc
	v_cmp_gt_i64_e32 vcc, s[0:1], v[10:11]
	s_and_saveexec_b64 s[6:7], vcc
	s_cbranch_execz .LBB98_14
; %bb.13:                               ;   in Loop: Header=BB98_8 Depth=1
	v_mul_hi_u32 v1, v3, s22
	v_lshrrev_b32_e32 v1, 1, v1
	v_mul_u32_u24_e32 v1, 0x801, v1
	v_sub_u32_e32 v1, v3, v1
	v_cvt_f32_u32_e32 v1, v1
	v_add_u32_e32 v2, s23, v42
	v_mov_b32_e32 v3, s9
	v_ashrrev_i32_e32 v9, 31, v2
	v_cvt_f16_f32_e32 v1, v1
	v_add_co_u32_e32 v2, vcc, s8, v2
	v_addc_co_u32_e32 v3, vcc, v3, v9, vcc
	global_store_short v[2:3], v1, off
.LBB98_14:                              ;   in Loop: Header=BB98_8 Depth=1
	s_or_b64 exec, exec, s[6:7]
	v_mov_b32_e32 v1, s18
	v_add_co_u32_e32 v2, vcc, s17, v16
	v_addc_co_u32_e32 v3, vcc, v1, v17, vcc
	v_cmp_gt_i64_e32 vcc, s[0:1], v[2:3]
	s_and_saveexec_b64 s[6:7], vcc
	s_cbranch_execz .LBB98_16
; %bb.15:                               ;   in Loop: Header=BB98_8 Depth=1
	v_mul_hi_u32 v1, v4, s22
	v_lshrrev_b32_e32 v1, 1, v1
	v_mul_u32_u24_e32 v1, 0x801, v1
	v_sub_u32_e32 v1, v4, v1
	v_cvt_f32_u32_e32 v1, v1
	v_add_u32_e32 v2, s23, v41
	v_mov_b32_e32 v3, s9
	v_ashrrev_i32_e32 v4, 31, v2
	v_cvt_f16_f32_e32 v1, v1
	v_add_co_u32_e32 v2, vcc, s8, v2
	v_addc_co_u32_e32 v3, vcc, v3, v4, vcc
	global_store_short v[2:3], v1, off
.LBB98_16:                              ;   in Loop: Header=BB98_8 Depth=1
	s_or_b64 exec, exec, s[6:7]
	v_mov_b32_e32 v1, s20
	v_add_co_u32_e32 v2, vcc, s19, v16
	v_addc_co_u32_e32 v3, vcc, v1, v17, vcc
	v_cmp_gt_i64_e32 vcc, s[0:1], v[2:3]
	s_and_saveexec_b64 s[6:7], vcc
	s_cbranch_execz .LBB98_7
; %bb.17:                               ;   in Loop: Header=BB98_8 Depth=1
	v_mul_hi_u32 v1, v5, s22
	v_lshrrev_b32_e32 v1, 1, v1
	v_mul_u32_u24_e32 v1, 0x801, v1
	v_sub_u32_e32 v1, v5, v1
	v_cvt_f32_u32_e32 v1, v1
	v_add_u32_e32 v2, s23, v40
	v_mov_b32_e32 v3, s9
	v_ashrrev_i32_e32 v4, 31, v2
	v_cvt_f16_f32_e32 v1, v1
	v_add_co_u32_e32 v2, vcc, s8, v2
	v_addc_co_u32_e32 v3, vcc, v3, v4, vcc
	global_store_short v[2:3], v1, off
	s_branch .LBB98_7
.LBB98_18:                              ;   in Loop: Header=BB98_8 Depth=1
	v_cmp_lt_i32_e32 vcc, 2, v18
	s_and_saveexec_b64 s[10:11], vcc
	s_xor_b64 s[10:11], exec, s[10:11]
; %bb.19:                               ;   in Loop: Header=BB98_8 Depth=1
	v_mov_b32_e32 v10, v5
	v_mov_b32_e32 v11, v6
	v_pk_mov_b32 v[2:3], v[10:11], v[10:11] op_sel:[0,1]
	v_pk_mov_b32 v[4:5], v[12:13], v[12:13] op_sel:[0,1]
                                        ; implicit-def: $vgpr12_vgpr13
; %bb.20:                               ;   in Loop: Header=BB98_8 Depth=1
	s_andn2_saveexec_b64 s[10:11], s[10:11]
; %bb.21:                               ;   in Loop: Header=BB98_8 Depth=1
	v_mov_b32_e32 v2, v4
	v_mov_b32_e32 v3, v5
	;; [unrolled: 1-line block ×4, first 2 shown]
; %bb.22:                               ;   in Loop: Header=BB98_8 Depth=1
	s_or_b64 exec, exec, s[10:11]
	s_andn2_saveexec_b64 s[6:7], s[6:7]
	s_cbranch_execz .LBB98_10
.LBB98_23:                              ;   in Loop: Header=BB98_8 Depth=1
	v_cmp_eq_u32_e32 vcc, 1, v18
	s_and_saveexec_b64 s[10:11], vcc
; %bb.24:                               ;   in Loop: Header=BB98_8 Depth=1
	v_mov_b32_e32 v2, v3
	v_mov_b32_e32 v3, v4
	;; [unrolled: 1-line block ×4, first 2 shown]
; %bb.25:                               ;   in Loop: Header=BB98_8 Depth=1
	s_or_b64 exec, exec, s[10:11]
	s_or_b64 exec, exec, s[6:7]
	v_cmp_gt_i64_e32 vcc, s[0:1], v[16:17]
	s_and_saveexec_b64 s[6:7], vcc
	s_cbranch_execnz .LBB98_11
	s_branch .LBB98_12
.LBB98_26:
	s_endpgm
.LBB98_27:
                                        ; implicit-def: $sgpr8_sgpr9
	s_andn2_b64 vcc, exec, s[2:3]
	s_cbranch_vccz .LBB98_4
	s_branch .LBB98_5
	.section	.rodata,"a",@progbits
	.p2align	6, 0x0
	.amdhsa_kernel _ZN2at6native12_GLOBAL__N_143distribution_elementwise_grid_stride_kernelIjLi4EZZZNS0_9templates4cuda13random_kernelIPNS_17CUDAGeneratorImplEEEvRNS_18TensorIteratorBaseET_ENKUlvE_clEvENKUlvE6_clEvEUlP25hiprandStatePhilox4_32_10E0_ZNS1_27distribution_nullary_kernelIN3c104HalfEj15HIP_vector_typeIjLj4EES7_SF_ZZZNS5_IS7_EEvS9_SA_ENKSB_clEvENKSC_clEvEUljE_EEvS9_T2_RKT3_T4_EUlijE_EEvlNS_15PhiloxCudaStateET1_SM_
		.amdhsa_group_segment_fixed_size 0
		.amdhsa_private_segment_fixed_size 0
		.amdhsa_kernarg_size 320
		.amdhsa_user_sgpr_count 6
		.amdhsa_user_sgpr_private_segment_buffer 1
		.amdhsa_user_sgpr_dispatch_ptr 0
		.amdhsa_user_sgpr_queue_ptr 0
		.amdhsa_user_sgpr_kernarg_segment_ptr 1
		.amdhsa_user_sgpr_dispatch_id 0
		.amdhsa_user_sgpr_flat_scratch_init 0
		.amdhsa_user_sgpr_kernarg_preload_length 0
		.amdhsa_user_sgpr_kernarg_preload_offset 0
		.amdhsa_user_sgpr_private_segment_size 0
		.amdhsa_uses_dynamic_stack 0
		.amdhsa_system_sgpr_private_segment_wavefront_offset 0
		.amdhsa_system_sgpr_workgroup_id_x 1
		.amdhsa_system_sgpr_workgroup_id_y 0
		.amdhsa_system_sgpr_workgroup_id_z 0
		.amdhsa_system_sgpr_workgroup_info 0
		.amdhsa_system_vgpr_workitem_id 0
		.amdhsa_next_free_vgpr 48
		.amdhsa_next_free_sgpr 24
		.amdhsa_accum_offset 48
		.amdhsa_reserve_vcc 1
		.amdhsa_reserve_flat_scratch 0
		.amdhsa_float_round_mode_32 0
		.amdhsa_float_round_mode_16_64 0
		.amdhsa_float_denorm_mode_32 3
		.amdhsa_float_denorm_mode_16_64 3
		.amdhsa_dx10_clamp 1
		.amdhsa_ieee_mode 1
		.amdhsa_fp16_overflow 0
		.amdhsa_tg_split 0
		.amdhsa_exception_fp_ieee_invalid_op 0
		.amdhsa_exception_fp_denorm_src 0
		.amdhsa_exception_fp_ieee_div_zero 0
		.amdhsa_exception_fp_ieee_overflow 0
		.amdhsa_exception_fp_ieee_underflow 0
		.amdhsa_exception_fp_ieee_inexact 0
		.amdhsa_exception_int_div_zero 0
	.end_amdhsa_kernel
	.section	.text._ZN2at6native12_GLOBAL__N_143distribution_elementwise_grid_stride_kernelIjLi4EZZZNS0_9templates4cuda13random_kernelIPNS_17CUDAGeneratorImplEEEvRNS_18TensorIteratorBaseET_ENKUlvE_clEvENKUlvE6_clEvEUlP25hiprandStatePhilox4_32_10E0_ZNS1_27distribution_nullary_kernelIN3c104HalfEj15HIP_vector_typeIjLj4EES7_SF_ZZZNS5_IS7_EEvS9_SA_ENKSB_clEvENKSC_clEvEUljE_EEvS9_T2_RKT3_T4_EUlijE_EEvlNS_15PhiloxCudaStateET1_SM_,"axG",@progbits,_ZN2at6native12_GLOBAL__N_143distribution_elementwise_grid_stride_kernelIjLi4EZZZNS0_9templates4cuda13random_kernelIPNS_17CUDAGeneratorImplEEEvRNS_18TensorIteratorBaseET_ENKUlvE_clEvENKUlvE6_clEvEUlP25hiprandStatePhilox4_32_10E0_ZNS1_27distribution_nullary_kernelIN3c104HalfEj15HIP_vector_typeIjLj4EES7_SF_ZZZNS5_IS7_EEvS9_SA_ENKSB_clEvENKSC_clEvEUljE_EEvS9_T2_RKT3_T4_EUlijE_EEvlNS_15PhiloxCudaStateET1_SM_,comdat
.Lfunc_end98:
	.size	_ZN2at6native12_GLOBAL__N_143distribution_elementwise_grid_stride_kernelIjLi4EZZZNS0_9templates4cuda13random_kernelIPNS_17CUDAGeneratorImplEEEvRNS_18TensorIteratorBaseET_ENKUlvE_clEvENKUlvE6_clEvEUlP25hiprandStatePhilox4_32_10E0_ZNS1_27distribution_nullary_kernelIN3c104HalfEj15HIP_vector_typeIjLj4EES7_SF_ZZZNS5_IS7_EEvS9_SA_ENKSB_clEvENKSC_clEvEUljE_EEvS9_T2_RKT3_T4_EUlijE_EEvlNS_15PhiloxCudaStateET1_SM_, .Lfunc_end98-_ZN2at6native12_GLOBAL__N_143distribution_elementwise_grid_stride_kernelIjLi4EZZZNS0_9templates4cuda13random_kernelIPNS_17CUDAGeneratorImplEEEvRNS_18TensorIteratorBaseET_ENKUlvE_clEvENKUlvE6_clEvEUlP25hiprandStatePhilox4_32_10E0_ZNS1_27distribution_nullary_kernelIN3c104HalfEj15HIP_vector_typeIjLj4EES7_SF_ZZZNS5_IS7_EEvS9_SA_ENKSB_clEvENKSC_clEvEUljE_EEvS9_T2_RKT3_T4_EUlijE_EEvlNS_15PhiloxCudaStateET1_SM_
                                        ; -- End function
	.section	.AMDGPU.csdata,"",@progbits
; Kernel info:
; codeLenInByte = 2472
; NumSgprs: 28
; NumVgprs: 48
; NumAgprs: 0
; TotalNumVgprs: 48
; ScratchSize: 0
; MemoryBound: 0
; FloatMode: 240
; IeeeMode: 1
; LDSByteSize: 0 bytes/workgroup (compile time only)
; SGPRBlocks: 3
; VGPRBlocks: 5
; NumSGPRsForWavesPerEU: 28
; NumVGPRsForWavesPerEU: 48
; AccumOffset: 48
; Occupancy: 8
; WaveLimiterHint : 0
; COMPUTE_PGM_RSRC2:SCRATCH_EN: 0
; COMPUTE_PGM_RSRC2:USER_SGPR: 6
; COMPUTE_PGM_RSRC2:TRAP_HANDLER: 0
; COMPUTE_PGM_RSRC2:TGID_X_EN: 1
; COMPUTE_PGM_RSRC2:TGID_Y_EN: 0
; COMPUTE_PGM_RSRC2:TGID_Z_EN: 0
; COMPUTE_PGM_RSRC2:TIDIG_COMP_CNT: 0
; COMPUTE_PGM_RSRC3_GFX90A:ACCUM_OFFSET: 11
; COMPUTE_PGM_RSRC3_GFX90A:TG_SPLIT: 0
	.section	.text._ZN2at6native12_GLOBAL__N_143distribution_elementwise_grid_stride_kernelIjLi4EZZZNS0_9templates4cuda13random_kernelIPNS_17CUDAGeneratorImplEEEvRNS_18TensorIteratorBaseET_ENKUlvE_clEvENKUlvE6_clEvEUlP25hiprandStatePhilox4_32_10E0_ZNS1_27distribution_nullary_kernelIN3c104HalfEj15HIP_vector_typeIjLj4EES7_SF_ZZZNS5_IS7_EEvS9_SA_ENKSB_clEvENKSC_clEvEUljE_EEvS9_T2_RKT3_T4_EUlijE0_EEvlNS_15PhiloxCudaStateET1_SM_,"axG",@progbits,_ZN2at6native12_GLOBAL__N_143distribution_elementwise_grid_stride_kernelIjLi4EZZZNS0_9templates4cuda13random_kernelIPNS_17CUDAGeneratorImplEEEvRNS_18TensorIteratorBaseET_ENKUlvE_clEvENKUlvE6_clEvEUlP25hiprandStatePhilox4_32_10E0_ZNS1_27distribution_nullary_kernelIN3c104HalfEj15HIP_vector_typeIjLj4EES7_SF_ZZZNS5_IS7_EEvS9_SA_ENKSB_clEvENKSC_clEvEUljE_EEvS9_T2_RKT3_T4_EUlijE0_EEvlNS_15PhiloxCudaStateET1_SM_,comdat
	.globl	_ZN2at6native12_GLOBAL__N_143distribution_elementwise_grid_stride_kernelIjLi4EZZZNS0_9templates4cuda13random_kernelIPNS_17CUDAGeneratorImplEEEvRNS_18TensorIteratorBaseET_ENKUlvE_clEvENKUlvE6_clEvEUlP25hiprandStatePhilox4_32_10E0_ZNS1_27distribution_nullary_kernelIN3c104HalfEj15HIP_vector_typeIjLj4EES7_SF_ZZZNS5_IS7_EEvS9_SA_ENKSB_clEvENKSC_clEvEUljE_EEvS9_T2_RKT3_T4_EUlijE0_EEvlNS_15PhiloxCudaStateET1_SM_ ; -- Begin function _ZN2at6native12_GLOBAL__N_143distribution_elementwise_grid_stride_kernelIjLi4EZZZNS0_9templates4cuda13random_kernelIPNS_17CUDAGeneratorImplEEEvRNS_18TensorIteratorBaseET_ENKUlvE_clEvENKUlvE6_clEvEUlP25hiprandStatePhilox4_32_10E0_ZNS1_27distribution_nullary_kernelIN3c104HalfEj15HIP_vector_typeIjLj4EES7_SF_ZZZNS5_IS7_EEvS9_SA_ENKSB_clEvENKSC_clEvEUljE_EEvS9_T2_RKT3_T4_EUlijE0_EEvlNS_15PhiloxCudaStateET1_SM_
	.p2align	8
	.type	_ZN2at6native12_GLOBAL__N_143distribution_elementwise_grid_stride_kernelIjLi4EZZZNS0_9templates4cuda13random_kernelIPNS_17CUDAGeneratorImplEEEvRNS_18TensorIteratorBaseET_ENKUlvE_clEvENKUlvE6_clEvEUlP25hiprandStatePhilox4_32_10E0_ZNS1_27distribution_nullary_kernelIN3c104HalfEj15HIP_vector_typeIjLj4EES7_SF_ZZZNS5_IS7_EEvS9_SA_ENKSB_clEvENKSC_clEvEUljE_EEvS9_T2_RKT3_T4_EUlijE0_EEvlNS_15PhiloxCudaStateET1_SM_,@function
_ZN2at6native12_GLOBAL__N_143distribution_elementwise_grid_stride_kernelIjLi4EZZZNS0_9templates4cuda13random_kernelIPNS_17CUDAGeneratorImplEEEvRNS_18TensorIteratorBaseET_ENKUlvE_clEvENKUlvE6_clEvEUlP25hiprandStatePhilox4_32_10E0_ZNS1_27distribution_nullary_kernelIN3c104HalfEj15HIP_vector_typeIjLj4EES7_SF_ZZZNS5_IS7_EEvS9_SA_ENKSB_clEvENKSC_clEvEUljE_EEvS9_T2_RKT3_T4_EUlijE0_EEvlNS_15PhiloxCudaStateET1_SM_: ; @_ZN2at6native12_GLOBAL__N_143distribution_elementwise_grid_stride_kernelIjLi4EZZZNS0_9templates4cuda13random_kernelIPNS_17CUDAGeneratorImplEEEvRNS_18TensorIteratorBaseET_ENKUlvE_clEvENKUlvE6_clEvEUlP25hiprandStatePhilox4_32_10E0_ZNS1_27distribution_nullary_kernelIN3c104HalfEj15HIP_vector_typeIjLj4EES7_SF_ZZZNS5_IS7_EEvS9_SA_ENKSB_clEvENKSC_clEvEUljE_EEvS9_T2_RKT3_T4_EUlijE0_EEvlNS_15PhiloxCudaStateET1_SM_
; %bb.0:
	s_load_dword s2, s[4:5], 0x20
	s_load_dwordx2 s[0:1], s[4:5], 0x10
	s_load_dwordx4 s[24:27], s[4:5], 0x0
	s_waitcnt lgkmcnt(0)
	s_bitcmp0_b32 s2, 0
	s_mov_b32 s2, 0
	v_pk_mov_b32 v[2:3], s[0:1], s[0:1] op_sel:[0,1]
	v_pk_mov_b32 v[12:13], s[26:27], s[26:27] op_sel:[0,1]
	s_cbranch_scc1 .LBB99_2
; %bb.1:
	v_pk_mov_b32 v[2:3], s[0:1], s[0:1] op_sel:[0,1]
	flat_load_dwordx2 v[2:3], v[2:3]
	v_pk_mov_b32 v[4:5], s[26:27], s[26:27] op_sel:[0,1]
	flat_load_dwordx2 v[12:13], v[4:5]
	s_load_dwordx2 s[0:1], s[4:5], 0x18
	s_waitcnt lgkmcnt(0)
	v_mov_b32_e32 v1, s1
	s_waitcnt vmcnt(0)
	v_add_co_u32_e32 v2, vcc, s0, v2
	v_addc_co_u32_e32 v3, vcc, v3, v1, vcc
.LBB99_2:
	s_load_dword s0, s[4:5], 0x154
	s_load_dword s7, s[4:5], 0x148
	s_waitcnt lgkmcnt(0)
	s_and_b32 s8, s0, 0xffff
	s_add_u32 s9, s24, -1
	s_mul_i32 s33, s7, s8
	s_addc_u32 s3, s25, -1
	s_lshl_b32 s58, s33, 2
	s_cmp_lg_u64 s[2:3], 0
	s_mov_b64 s[0:1], -1
	s_cbranch_scc0 .LBB99_83
; %bb.3:
	v_cvt_f32_u32_e32 v1, s58
	v_cvt_f32_ubyte0_e32 v4, 0
	s_sub_u32 s2, 0, s58
	s_subb_u32 s10, 0, 0
	v_madmk_f32 v1, v4, 0x4f800000, v1
	v_rcp_f32_e32 v1, v1
	v_mul_f32_e32 v1, 0x5f7ffffc, v1
	v_mul_f32_e32 v4, 0x2f800000, v1
	v_trunc_f32_e32 v4, v4
	v_madmk_f32 v1, v4, 0xcf800000, v1
	v_cvt_u32_f32_e32 v4, v4
	v_cvt_u32_f32_e32 v1, v1
	v_readfirstlane_b32 s11, v4
	v_readfirstlane_b32 s12, v1
	s_mul_i32 s13, s2, s11
	s_mul_hi_u32 s15, s2, s12
	s_mul_i32 s14, s10, s12
	s_add_i32 s13, s15, s13
	s_add_i32 s13, s13, s14
	s_mul_i32 s16, s2, s12
	s_mul_hi_u32 s14, s12, s13
	s_mul_i32 s15, s12, s13
	s_mul_hi_u32 s12, s12, s16
	s_add_u32 s12, s12, s15
	s_addc_u32 s14, 0, s14
	s_mul_hi_u32 s17, s11, s16
	s_mul_i32 s16, s11, s16
	s_add_u32 s12, s12, s16
	s_mul_hi_u32 s15, s11, s13
	s_addc_u32 s12, s14, s17
	s_addc_u32 s14, s15, 0
	s_mul_i32 s13, s11, s13
	s_add_u32 s12, s12, s13
	s_addc_u32 s13, 0, s14
	v_add_co_u32_e32 v1, vcc, s12, v1
	s_cmp_lg_u64 vcc, 0
	s_addc_u32 s11, s11, s13
	v_readfirstlane_b32 s13, v1
	s_mul_i32 s12, s2, s11
	s_mul_hi_u32 s14, s2, s13
	s_add_i32 s12, s14, s12
	s_mul_i32 s10, s10, s13
	s_add_i32 s12, s12, s10
	s_mul_i32 s2, s2, s13
	s_mul_hi_u32 s14, s11, s2
	s_mul_i32 s15, s11, s2
	s_mul_i32 s17, s13, s12
	s_mul_hi_u32 s2, s13, s2
	s_mul_hi_u32 s16, s13, s12
	s_add_u32 s2, s2, s17
	s_addc_u32 s13, 0, s16
	s_add_u32 s2, s2, s15
	s_mul_hi_u32 s10, s11, s12
	s_addc_u32 s2, s13, s14
	s_addc_u32 s10, s10, 0
	s_mul_i32 s12, s11, s12
	s_add_u32 s2, s2, s12
	s_addc_u32 s10, 0, s10
	v_add_co_u32_e32 v1, vcc, s2, v1
	s_cmp_lg_u64 vcc, 0
	s_addc_u32 s12, s11, s10
	s_ashr_i32 s10, s3, 31
	s_add_u32 s2, s9, s10
	s_mov_b32 s11, s10
	s_addc_u32 s3, s3, s10
	s_xor_b64 s[2:3], s[2:3], s[10:11]
	v_readfirstlane_b32 s15, v1
	s_mul_i32 s14, s2, s12
	s_mul_hi_u32 s16, s2, s15
	s_mul_hi_u32 s13, s2, s12
	s_add_u32 s14, s16, s14
	s_addc_u32 s13, 0, s13
	s_mul_hi_u32 s17, s3, s15
	s_mul_i32 s15, s3, s15
	s_add_u32 s14, s14, s15
	s_mul_hi_u32 s16, s3, s12
	s_addc_u32 s13, s13, s17
	s_addc_u32 s14, s16, 0
	s_mul_i32 s12, s3, s12
	s_add_u32 s12, s13, s12
	s_addc_u32 s13, 0, s14
	s_add_u32 s14, s12, 1
	s_addc_u32 s15, s13, 0
	s_add_u32 s16, s12, 2
	s_mul_i32 s18, s58, s13
	s_mul_hi_u32 s19, s58, s12
	s_addc_u32 s17, s13, 0
	s_add_i32 s19, s19, s18
	s_mul_i32 s18, s58, s12
	v_mov_b32_e32 v1, s18
	v_sub_co_u32_e32 v1, vcc, s2, v1
	s_cmp_lg_u64 vcc, 0
	s_subb_u32 s2, s3, s19
	v_subrev_co_u32_e32 v4, vcc, s58, v1
	s_cmp_lg_u64 vcc, 0
	s_subb_u32 s3, s2, 0
	v_readfirstlane_b32 s18, v4
	s_cmp_ge_u32 s18, s58
	s_cselect_b32 s18, -1, 0
	s_cmp_eq_u32 s3, 0
	s_cselect_b32 s3, s18, -1
	s_cmp_lg_u32 s3, 0
	s_cselect_b32 s3, s17, s15
	v_readfirstlane_b32 s15, v1
	s_cselect_b32 s14, s16, s14
	s_cmp_ge_u32 s15, s58
	s_cselect_b32 s15, -1, 0
	s_cmp_eq_u32 s2, 0
	s_cselect_b32 s2, s15, -1
	s_cmp_lg_u32 s2, 0
	s_cselect_b32 s3, s3, s13
	s_cselect_b32 s2, s14, s12
	s_xor_b64 s[2:3], s[2:3], s[10:11]
	s_sub_u32 s2, s2, s10
	s_subb_u32 s3, s3, s10
	s_cbranch_execnz .LBB99_5
.LBB99_4:
	v_cvt_f32_u32_e32 v1, s58
	s_sub_i32 s0, 0, s58
	s_mov_b32 s3, 0
	v_rcp_iflag_f32_e32 v1, v1
	v_mul_f32_e32 v1, 0x4f7ffffe, v1
	v_cvt_u32_f32_e32 v1, v1
	v_readfirstlane_b32 s1, v1
	s_mul_i32 s0, s0, s1
	s_mul_hi_u32 s0, s1, s0
	s_add_i32 s1, s1, s0
	s_mul_hi_u32 s0, s9, s1
	s_mul_i32 s2, s0, s58
	s_sub_i32 s2, s9, s2
	s_add_i32 s1, s0, 1
	s_sub_i32 s9, s2, s58
	s_cmp_ge_u32 s2, s58
	s_cselect_b32 s0, s1, s0
	s_cselect_b32 s2, s9, s2
	s_add_i32 s1, s0, 1
	s_cmp_ge_u32 s2, s58
	s_cselect_b32 s2, s1, s0
.LBB99_5:
	v_mov_b32_e32 v1, 0
	v_mov_b32_e32 v4, s6
	v_mad_u64_u32 v[14:15], s[0:1], s8, v4, v[0:1]
	s_add_u32 s0, s2, 1
	s_addc_u32 s1, s3, 0
	s_mul_hi_u32 s2, s7, s8
	s_mul_i32 s1, s33, s1
	s_mul_hi_u32 s3, s33, s0
	s_add_i32 s1, s3, s1
	s_mul_i32 s2, s2, s0
	s_add_i32 s1, s1, s2
	s_mul_i32 s0, s33, s0
	s_lshl_b64 s[26:27], s[0:1], 2
	v_cmp_gt_i64_e32 vcc, s[26:27], v[14:15]
	s_and_saveexec_b64 s[0:1], vcc
	s_cbranch_execz .LBB99_82
; %bb.6:
	s_mov_b32 s0, 0x5384540f
	v_mov_b32_e32 v0, v13
	v_add_co_u32_e32 v22, vcc, s0, v12
	s_mov_b32 s0, 0x646e171e
	v_add_co_u32_e32 v23, vcc, s0, v0
	s_mov_b32 s0, 0x1715609d
	;; [unrolled: 2-line block ×6, first 2 shown]
	v_alignbit_b32 v29, v3, v2, 2
	s_mov_b32 s60, 0xd2511f53
	v_add_co_u32_e32 v28, vcc, s0, v12
	v_mad_u64_u32 v[4:5], s[0:1], v29, s60, 0
	v_xor_b32_e32 v1, v5, v13
	v_xor_b32_e32 v1, v1, v15
	s_mov_b32 s61, 0xcd9e8d57
	v_mad_u64_u32 v[6:7], s[0:1], v1, s61, 0
	v_xor_b32_e32 v1, v28, v7
	v_mad_u64_u32 v[8:9], s[0:1], v14, s61, 0
	v_and_b32_e32 v18, 3, v2
	v_xor_b32_e32 v1, v1, v8
	v_xor_b32_e32 v2, v12, v9
	v_lshrrev_b32_e32 v30, 2, v3
	v_mad_u64_u32 v[10:11], s[0:1], v1, s60, 0
	v_xor_b32_e32 v2, v2, v30
	v_xor_b32_e32 v1, v27, v11
	v_mad_u64_u32 v[2:3], s[0:1], v2, s60, 0
	v_xor_b32_e32 v1, v1, v2
	v_mad_u64_u32 v[8:9], s[0:1], v1, s61, 0
	s_mov_b32 s0, 0xbb67ae85
	v_add_co_u32_e32 v31, vcc, s0, v0
	v_xor_b32_e32 v2, v31, v3
	v_xor_b32_e32 v2, v2, v4
	v_xor_b32_e32 v1, v26, v9
	v_mad_u64_u32 v[2:3], s[0:1], v2, s61, 0
	v_xor_b32_e32 v1, v1, v2
	v_mad_u64_u32 v[4:5], s[0:1], v1, s60, 0
	s_mov_b32 s0, 0x3c6ef372
	v_add_co_u32_e32 v32, vcc, s0, v12
	v_xor_b32_e32 v2, v32, v3
	;; [unrolled: 8-line block ×6, first 2 shown]
	v_add_co_u32_e32 v21, vcc, 0xdb3d7428, v0
	v_xor_b32_e32 v2, v2, v6
	v_xor_b32_e32 v1, v21, v5
	v_mad_u64_u32 v[2:3], s[0:1], v2, s60, 0
	v_xor_b32_e32 v1, v1, v2
	v_mad_u64_u32 v[6:7], s[0:1], v1, s61, 0
	s_mov_b32 s0, 0x1fd5c5a3
	v_add_co_u32_e32 v37, vcc, s0, v0
	v_xor_b32_e32 v0, v37, v3
	v_xor_b32_e32 v0, v0, v10
	v_mad_u64_u32 v[0:1], s[0:1], v0, s61, 0
	s_mov_b32 s0, 0xf1bbcdc8
	s_load_dwordx8 s[8:15], s[4:5], 0x30
	v_add_co_u32_e32 v38, vcc, s0, v12
	v_xor_b32_e32 v1, v38, v1
	v_xor_b32_e32 v1, v1, v8
	s_add_u32 s34, s4, 48
	v_mad_u64_u32 v[8:9], s[0:1], v1, s60, 0
	s_addc_u32 s35, s5, 0
	s_waitcnt lgkmcnt(0)
	s_add_i32 s0, s8, -1
	s_cmp_gt_u32 s0, 1
	s_cselect_b64 s[36:37], -1, 0
	s_cmp_lg_u32 s8, 0
	s_cselect_b64 s[38:39], -1, 0
	s_add_u32 s40, s4, 0xf4
	s_addc_u32 s41, s5, 0
	s_min_u32 s1, s0, 15
	s_cmp_gt_u32 s8, 1
	s_cselect_b64 s[42:43], -1, 0
	s_add_i32 s1, s1, 1
	s_mov_b32 s8, s13
	s_load_dwordx2 s[44:45], s[4:5], 0xf4
	s_load_dwordx2 s[46:47], s[4:5], 0x138
	s_lshl_b32 s13, s33, 1
	s_and_b32 s64, s1, 3
	s_cmp_lg_u32 s0, 2
	s_cselect_b64 s[48:49], -1, 0
	s_and_b32 s65, s1, 28
	s_mov_b32 s59, 0
	v_add_u32_e32 v19, 0x8ff34781, v12
	v_add_u32_e32 v20, 0x96a522ad, v13
	v_xor_b32_e32 v0, v7, v0
	v_xor_b32_e32 v1, v9, v4
	s_cmp_lg_u32 s64, 0
	v_xor_b32_e32 v0, v19, v0
	v_xor_b32_e32 v2, v20, v1
	v_mov_b32_e32 v1, v6
	v_mov_b32_e32 v3, v8
	s_mov_b32 s15, s59
	s_mul_i32 s62, s33, 3
	s_mov_b32 s63, s59
	s_mov_b64 s[50:51], 0
	s_cselect_b64 s[52:53], -1, 0
	s_mov_b32 s66, 0x3ff801
	v_mov_b32_e32 v39, v14
	v_mov_b32_e32 v40, v15
	s_branch .LBB99_9
.LBB99_7:                               ;   in Loop: Header=BB99_9 Depth=1
	v_mul_hi_u32 v0, v3, s66
	v_lshrrev_b32_e32 v0, 1, v0
	v_mul_u32_u24_e32 v0, 0x801, v0
	v_sub_u32_e32 v0, v3, v0
	v_cvt_f32_u32_e32 v0, v0
	v_cvt_f16_f32_e32 v0, v0
	s_waitcnt lgkmcnt(0)
	global_store_short v8, v0, s[46:47]
.LBB99_8:                               ;   in Loop: Header=BB99_9 Depth=1
	s_or_b64 exec, exec, s[28:29]
	v_add_co_u32_e32 v14, vcc, s58, v14
	v_addc_co_u32_e32 v15, vcc, 0, v15, vcc
	v_mov_b32_e32 v7, v16
	v_cmp_le_i64_e32 vcc, s[26:27], v[14:15]
	v_pk_mov_b32 v[0:1], v[4:5], v[4:5] op_sel:[0,1]
	s_or_b64 s[50:51], vcc, s[50:51]
	v_pk_mov_b32 v[2:3], v[6:7], v[6:7] op_sel:[0,1]
	s_waitcnt lgkmcnt(0)
	s_barrier
	s_andn2_b64 exec, exec, s[50:51]
	s_cbranch_execz .LBB99_82
.LBB99_9:                               ; =>This Loop Header: Depth=1
                                        ;     Child Loop BB99_24 Depth 2
                                        ;     Child Loop BB99_30 Depth 2
	;; [unrolled: 1-line block ×8, first 2 shown]
	v_add_co_u32_e32 v29, vcc, 1, v29
	v_cndmask_b32_e64 v4, 0, 1, vcc
	v_addc_co_u32_e32 v30, vcc, 0, v30, vcc
	v_cmp_eq_u32_e32 vcc, 0, v30
	v_cndmask_b32_e32 v4, 0, v4, vcc
	v_add_u32_e32 v39, v4, v39
	v_cmp_eq_u32_e32 vcc, 0, v39
	v_cndmask_b32_e32 v4, 0, v4, vcc
	v_add_u32_e32 v40, v4, v40
	v_mad_u64_u32 v[4:5], s[0:1], v29, s60, 0
	v_mad_u64_u32 v[6:7], s[0:1], v39, s61, 0
	v_xor_b32_e32 v5, v5, v13
	v_xor_b32_e32 v7, v7, v12
	v_xor_b32_e32 v5, v40, v5
	v_xor_b32_e32 v7, v30, v7
	v_mad_u64_u32 v[10:11], s[0:1], v5, s61, 0
	v_mad_u64_u32 v[8:9], s[0:1], v7, s60, 0
	v_xor_b32_e32 v5, v28, v11
	v_xor_b32_e32 v5, v5, v6
	v_xor_b32_e32 v6, v31, v9
	v_xor_b32_e32 v6, v6, v4
	;; [unrolled: 6-line block ×10, first 2 shown]
	v_mov_b32_e32 v5, v10
	v_mov_b32_e32 v6, v11
	v_cmp_lt_i32_e32 vcc, 1, v18
	s_and_saveexec_b64 s[0:1], vcc
	s_xor_b64 s[0:1], exec, s[0:1]
	s_cbranch_execz .LBB99_15
; %bb.10:                               ;   in Loop: Header=BB99_9 Depth=1
	v_cmp_lt_i32_e32 vcc, 2, v18
	s_and_saveexec_b64 s[2:3], vcc
	s_xor_b64 s[2:3], exec, s[2:3]
; %bb.11:                               ;   in Loop: Header=BB99_9 Depth=1
	v_mov_b32_e32 v8, v3
	v_mov_b32_e32 v9, v4
	v_pk_mov_b32 v[0:1], v[8:9], v[8:9] op_sel:[0,1]
	v_pk_mov_b32 v[2:3], v[10:11], v[10:11] op_sel:[0,1]
                                        ; implicit-def: $vgpr10_vgpr11
; %bb.12:                               ;   in Loop: Header=BB99_9 Depth=1
	s_andn2_saveexec_b64 s[2:3], s[2:3]
; %bb.13:                               ;   in Loop: Header=BB99_9 Depth=1
	v_mov_b32_e32 v0, v2
	v_mov_b32_e32 v1, v3
	;; [unrolled: 1-line block ×4, first 2 shown]
; %bb.14:                               ;   in Loop: Header=BB99_9 Depth=1
	s_or_b64 exec, exec, s[2:3]
.LBB99_15:                              ;   in Loop: Header=BB99_9 Depth=1
	s_andn2_saveexec_b64 s[0:1], s[0:1]
	s_cbranch_execz .LBB99_19
; %bb.16:                               ;   in Loop: Header=BB99_9 Depth=1
	v_cmp_eq_u32_e32 vcc, 1, v18
	s_and_saveexec_b64 s[2:3], vcc
; %bb.17:                               ;   in Loop: Header=BB99_9 Depth=1
	v_mov_b32_e32 v0, v1
	v_mov_b32_e32 v1, v2
	;; [unrolled: 1-line block ×4, first 2 shown]
; %bb.18:                               ;   in Loop: Header=BB99_9 Depth=1
	s_or_b64 exec, exec, s[2:3]
.LBB99_19:                              ;   in Loop: Header=BB99_9 Depth=1
	s_or_b64 exec, exec, s[0:1]
	v_cndmask_b32_e64 v7, 0, 1, s[36:37]
	v_cmp_gt_i64_e32 vcc, s[24:25], v[14:15]
	v_cmp_ne_u32_e64 s[0:1], 1, v7
	s_and_saveexec_b64 s[2:3], vcc
	s_cbranch_execz .LBB99_35
; %bb.20:                               ;   in Loop: Header=BB99_9 Depth=1
	s_and_b64 vcc, exec, s[0:1]
	s_cbranch_vccnz .LBB99_26
; %bb.21:                               ;   in Loop: Header=BB99_9 Depth=1
	s_andn2_b64 vcc, exec, s[38:39]
	s_cbranch_vccnz .LBB99_27
; %bb.22:                               ;   in Loop: Header=BB99_9 Depth=1
	s_mov_b32 s6, 0
	s_andn2_b64 vcc, exec, s[48:49]
	v_mov_b32_e32 v8, 0
	s_cbranch_vccnz .LBB99_28
; %bb.23:                               ;   in Loop: Header=BB99_9 Depth=1
	s_mov_b32 s67, 0
	v_mov_b32_e32 v8, 0
	s_mov_b64 s[54:55], s[34:35]
	s_mov_b64 s[56:57], s[40:41]
	v_mov_b32_e32 v7, v14
.LBB99_24:                              ;   Parent Loop BB99_9 Depth=1
                                        ; =>  This Inner Loop Header: Depth=2
	s_load_dwordx8 s[16:23], s[54:55], 0x4
	s_load_dwordx4 s[4:7], s[54:55], 0x24
	s_load_dwordx4 s[28:31], s[56:57], 0x0
	s_add_u32 s54, s54, 48
	s_addc_u32 s55, s55, 0
	s_waitcnt lgkmcnt(0)
	v_mul_hi_u32 v9, s17, v7
	v_add_u32_e32 v9, v7, v9
	v_lshrrev_b32_e32 v9, s18, v9
	v_mul_lo_u32 v10, v9, s16
	v_mul_hi_u32 v11, s20, v9
	v_sub_u32_e32 v7, v7, v10
	v_add_u32_e32 v10, v9, v11
	v_lshrrev_b32_e32 v10, s21, v10
	v_mul_lo_u32 v11, v10, s19
	v_mul_hi_u32 v17, s23, v10
	v_sub_u32_e32 v9, v9, v11
	v_add_u32_e32 v11, v10, v17
	v_mul_lo_u32 v7, v7, s28
	v_mul_lo_u32 v9, v9, s29
	v_lshrrev_b32_e32 v11, s4, v11
	v_add3_u32 v8, v7, v8, v9
	v_mul_lo_u32 v7, v11, s22
	v_mul_hi_u32 v9, s6, v11
	v_sub_u32_e32 v7, v10, v7
	v_add_u32_e32 v9, v11, v9
	v_mul_lo_u32 v10, v7, s30
	v_lshrrev_b32_e32 v7, s7, v9
	s_add_i32 s67, s67, 4
	v_mul_lo_u32 v9, v7, s5
	s_add_u32 s56, s56, 16
	v_sub_u32_e32 v9, v11, v9
	s_addc_u32 s57, s57, 0
	v_mul_lo_u32 v9, v9, s31
	s_cmp_lg_u32 s65, s67
	v_add3_u32 v8, v10, v8, v9
	s_cbranch_scc1 .LBB99_24
; %bb.25:                               ;   in Loop: Header=BB99_9 Depth=1
	s_mov_b32 s6, s65
	s_andn2_b64 vcc, exec, s[52:53]
	s_cbranch_vccz .LBB99_29
	s_branch .LBB99_31
.LBB99_26:                              ;   in Loop: Header=BB99_9 Depth=1
                                        ; implicit-def: $vgpr8
	s_branch .LBB99_32
.LBB99_27:                              ;   in Loop: Header=BB99_9 Depth=1
	v_mov_b32_e32 v8, 0
	s_branch .LBB99_31
.LBB99_28:                              ;   in Loop: Header=BB99_9 Depth=1
	v_mov_b32_e32 v7, v14
	s_andn2_b64 vcc, exec, s[52:53]
	s_cbranch_vccnz .LBB99_31
.LBB99_29:                              ;   in Loop: Header=BB99_9 Depth=1
	s_lshl_b32 s4, s6, 2
	s_add_u32 s4, s40, s4
	s_addc_u32 s5, s41, 0
	s_mul_i32 s6, s6, 12
	s_add_u32 s6, s34, s6
	s_addc_u32 s7, s35, 0
	s_mov_b32 s16, s64
.LBB99_30:                              ;   Parent Loop BB99_9 Depth=1
                                        ; =>  This Inner Loop Header: Depth=2
	s_load_dwordx2 s[18:19], s[6:7], 0x4
	s_load_dword s17, s[6:7], 0xc
	s_load_dword s20, s[4:5], 0x0
	s_add_u32 s6, s6, 12
	s_addc_u32 s7, s7, 0
	s_waitcnt lgkmcnt(0)
	v_mul_hi_u32 v9, s19, v7
	v_add_u32_e32 v9, v7, v9
	v_lshrrev_b32_e32 v9, s17, v9
	s_add_u32 s4, s4, 4
	v_mul_lo_u32 v10, v9, s18
	s_addc_u32 s5, s5, 0
	s_add_i32 s16, s16, -1
	v_sub_u32_e32 v10, v7, v10
	s_cmp_lg_u32 s16, 0
	v_mov_b32_e32 v7, v9
	v_mad_u64_u32 v[8:9], s[18:19], v10, s20, v[8:9]
	s_cbranch_scc1 .LBB99_30
.LBB99_31:                              ;   in Loop: Header=BB99_9 Depth=1
	s_cbranch_execnz .LBB99_34
.LBB99_32:                              ;   in Loop: Header=BB99_9 Depth=1
	v_mul_hi_u32 v7, v14, s10
	v_add_u32_e32 v7, v7, v14
	v_lshrrev_b32_e32 v7, s11, v7
	v_mul_lo_u32 v8, v7, s9
	v_sub_u32_e32 v8, v14, v8
	s_andn2_b64 vcc, exec, s[42:43]
	s_waitcnt lgkmcnt(0)
	v_mul_lo_u32 v8, v8, s44
	s_cbranch_vccnz .LBB99_34
; %bb.33:                               ;   in Loop: Header=BB99_9 Depth=1
	v_mul_hi_u32 v9, s8, v7
	v_add_u32_e32 v9, v7, v9
	v_lshrrev_b32_e32 v9, s14, v9
	v_mul_lo_u32 v9, v9, s12
	v_sub_u32_e32 v7, v7, v9
	v_mad_u64_u32 v[8:9], s[4:5], v7, s45, v[8:9]
.LBB99_34:                              ;   in Loop: Header=BB99_9 Depth=1
	v_mul_hi_u32 v7, v0, s66
	v_lshrrev_b32_e32 v7, 1, v7
	v_mul_u32_u24_e32 v7, 0x801, v7
	v_sub_u32_e32 v0, v0, v7
	v_cvt_f32_u32_e32 v0, v0
	v_cvt_f16_f32_e32 v0, v0
	s_waitcnt lgkmcnt(0)
	global_store_short v8, v0, s[46:47]
.LBB99_35:                              ;   in Loop: Header=BB99_9 Depth=1
	s_or_b64 exec, exec, s[2:3]
	v_mov_b32_e32 v0, s59
	v_add_co_u32_e32 v8, vcc, s33, v14
	v_addc_co_u32_e32 v9, vcc, v15, v0, vcc
	v_cmp_gt_i64_e32 vcc, s[24:25], v[8:9]
	s_and_saveexec_b64 s[2:3], vcc
	s_cbranch_execz .LBB99_51
; %bb.36:                               ;   in Loop: Header=BB99_9 Depth=1
	s_and_b64 vcc, exec, s[0:1]
	s_cbranch_vccnz .LBB99_42
; %bb.37:                               ;   in Loop: Header=BB99_9 Depth=1
	s_andn2_b64 vcc, exec, s[38:39]
	s_cbranch_vccnz .LBB99_43
; %bb.38:                               ;   in Loop: Header=BB99_9 Depth=1
	s_mov_b32 s6, 0
	s_andn2_b64 vcc, exec, s[48:49]
	v_mov_b32_e32 v10, 0
	s_cbranch_vccnz .LBB99_44
; %bb.39:                               ;   in Loop: Header=BB99_9 Depth=1
	s_mov_b32 s67, 0
	v_mov_b32_e32 v10, 0
	s_mov_b64 s[54:55], s[34:35]
	s_mov_b64 s[56:57], s[40:41]
	v_mov_b32_e32 v0, v8
.LBB99_40:                              ;   Parent Loop BB99_9 Depth=1
                                        ; =>  This Inner Loop Header: Depth=2
	s_load_dwordx8 s[16:23], s[54:55], 0x4
	s_load_dwordx4 s[4:7], s[54:55], 0x24
	s_load_dwordx4 s[28:31], s[56:57], 0x0
	s_add_u32 s54, s54, 48
	s_addc_u32 s55, s55, 0
	s_waitcnt lgkmcnt(0)
	v_mul_hi_u32 v7, s17, v0
	v_add_u32_e32 v7, v0, v7
	v_lshrrev_b32_e32 v7, s18, v7
	v_mul_lo_u32 v9, v7, s16
	v_mul_hi_u32 v11, s20, v7
	v_sub_u32_e32 v0, v0, v9
	v_add_u32_e32 v9, v7, v11
	v_lshrrev_b32_e32 v9, s21, v9
	v_mul_lo_u32 v11, v9, s19
	v_mul_hi_u32 v17, s23, v9
	v_sub_u32_e32 v7, v7, v11
	v_add_u32_e32 v11, v9, v17
	v_mul_lo_u32 v0, v0, s28
	v_mul_lo_u32 v7, v7, s29
	v_lshrrev_b32_e32 v11, s4, v11
	v_add3_u32 v7, v0, v10, v7
	v_mul_lo_u32 v0, v11, s22
	v_mul_hi_u32 v10, s6, v11
	v_sub_u32_e32 v0, v9, v0
	v_add_u32_e32 v9, v11, v10
	v_mul_lo_u32 v10, v0, s30
	v_lshrrev_b32_e32 v0, s7, v9
	s_add_i32 s67, s67, 4
	v_mul_lo_u32 v9, v0, s5
	s_add_u32 s56, s56, 16
	v_sub_u32_e32 v9, v11, v9
	s_addc_u32 s57, s57, 0
	v_mul_lo_u32 v9, v9, s31
	s_cmp_eq_u32 s65, s67
	v_add3_u32 v10, v10, v7, v9
	s_cbranch_scc0 .LBB99_40
; %bb.41:                               ;   in Loop: Header=BB99_9 Depth=1
	s_mov_b32 s6, s65
	s_andn2_b64 vcc, exec, s[52:53]
	s_cbranch_vccz .LBB99_45
	s_branch .LBB99_47
.LBB99_42:                              ;   in Loop: Header=BB99_9 Depth=1
                                        ; implicit-def: $vgpr10
	s_branch .LBB99_48
.LBB99_43:                              ;   in Loop: Header=BB99_9 Depth=1
	v_mov_b32_e32 v10, 0
	s_branch .LBB99_47
.LBB99_44:                              ;   in Loop: Header=BB99_9 Depth=1
	v_mov_b32_e32 v0, v8
	s_andn2_b64 vcc, exec, s[52:53]
	s_cbranch_vccnz .LBB99_47
.LBB99_45:                              ;   in Loop: Header=BB99_9 Depth=1
	s_lshl_b32 s4, s6, 2
	s_add_u32 s4, s40, s4
	s_addc_u32 s5, s41, 0
	s_mul_i32 s6, s6, 12
	s_add_u32 s6, s34, s6
	s_addc_u32 s7, s35, 0
	s_mov_b32 s16, s64
.LBB99_46:                              ;   Parent Loop BB99_9 Depth=1
                                        ; =>  This Inner Loop Header: Depth=2
	s_load_dwordx2 s[18:19], s[6:7], 0x4
	s_load_dword s17, s[6:7], 0xc
	s_load_dword s20, s[4:5], 0x0
	s_add_u32 s6, s6, 12
	s_addc_u32 s7, s7, 0
	s_waitcnt lgkmcnt(0)
	v_mul_hi_u32 v7, s19, v0
	v_add_u32_e32 v7, v0, v7
	v_lshrrev_b32_e32 v7, s17, v7
	s_add_u32 s4, s4, 4
	v_mul_lo_u32 v9, v7, s18
	s_addc_u32 s5, s5, 0
	s_add_i32 s16, s16, -1
	v_sub_u32_e32 v9, v0, v9
	s_cmp_lg_u32 s16, 0
	v_mov_b32_e32 v0, v7
	v_mad_u64_u32 v[10:11], s[18:19], v9, s20, v[10:11]
	s_cbranch_scc1 .LBB99_46
.LBB99_47:                              ;   in Loop: Header=BB99_9 Depth=1
	s_cbranch_execnz .LBB99_50
.LBB99_48:                              ;   in Loop: Header=BB99_9 Depth=1
	v_mul_hi_u32 v0, v8, s10
	v_add_u32_e32 v0, v0, v8
	v_lshrrev_b32_e32 v0, s11, v0
	v_mul_lo_u32 v7, v0, s9
	v_sub_u32_e32 v7, v8, v7
	s_andn2_b64 vcc, exec, s[42:43]
	s_waitcnt lgkmcnt(0)
	v_mul_lo_u32 v10, v7, s44
	s_cbranch_vccnz .LBB99_50
; %bb.49:                               ;   in Loop: Header=BB99_9 Depth=1
	v_mul_hi_u32 v7, s8, v0
	v_add_u32_e32 v7, v0, v7
	v_lshrrev_b32_e32 v7, s14, v7
	v_mul_lo_u32 v7, v7, s12
	v_sub_u32_e32 v0, v0, v7
	v_mad_u64_u32 v[10:11], s[4:5], v0, s45, v[10:11]
.LBB99_50:                              ;   in Loop: Header=BB99_9 Depth=1
	v_mul_hi_u32 v0, v1, s66
	v_lshrrev_b32_e32 v0, 1, v0
	v_mul_u32_u24_e32 v0, 0x801, v0
	v_sub_u32_e32 v0, v1, v0
	v_cvt_f32_u32_e32 v0, v0
	v_cvt_f16_f32_e32 v0, v0
	s_waitcnt lgkmcnt(0)
	global_store_short v10, v0, s[46:47]
.LBB99_51:                              ;   in Loop: Header=BB99_9 Depth=1
	s_or_b64 exec, exec, s[2:3]
	v_mov_b32_e32 v1, s15
	v_add_co_u32_e32 v0, vcc, s13, v14
	v_addc_co_u32_e32 v1, vcc, v15, v1, vcc
	v_cmp_gt_i64_e32 vcc, s[24:25], v[0:1]
	s_and_saveexec_b64 s[2:3], vcc
	s_cbranch_execz .LBB99_67
; %bb.52:                               ;   in Loop: Header=BB99_9 Depth=1
	s_and_b64 vcc, exec, s[0:1]
	s_cbranch_vccnz .LBB99_58
; %bb.53:                               ;   in Loop: Header=BB99_9 Depth=1
	s_andn2_b64 vcc, exec, s[38:39]
	s_cbranch_vccnz .LBB99_59
; %bb.54:                               ;   in Loop: Header=BB99_9 Depth=1
	s_mov_b32 s6, 0
	s_andn2_b64 vcc, exec, s[48:49]
	v_mov_b32_e32 v8, 0
	s_cbranch_vccnz .LBB99_60
; %bb.55:                               ;   in Loop: Header=BB99_9 Depth=1
	s_mov_b32 s67, 0
	v_mov_b32_e32 v8, 0
	s_mov_b64 s[54:55], s[34:35]
	s_mov_b64 s[56:57], s[40:41]
	v_mov_b32_e32 v1, v0
.LBB99_56:                              ;   Parent Loop BB99_9 Depth=1
                                        ; =>  This Inner Loop Header: Depth=2
	s_load_dwordx8 s[16:23], s[54:55], 0x4
	s_load_dwordx4 s[4:7], s[54:55], 0x24
	s_load_dwordx4 s[28:31], s[56:57], 0x0
	s_add_u32 s54, s54, 48
	s_addc_u32 s55, s55, 0
	s_waitcnt lgkmcnt(0)
	v_mul_hi_u32 v7, s17, v1
	v_add_u32_e32 v7, v1, v7
	v_lshrrev_b32_e32 v7, s18, v7
	v_mul_lo_u32 v9, v7, s16
	v_mul_hi_u32 v10, s20, v7
	v_sub_u32_e32 v1, v1, v9
	v_add_u32_e32 v9, v7, v10
	v_lshrrev_b32_e32 v9, s21, v9
	v_mul_lo_u32 v10, v9, s19
	v_mul_hi_u32 v11, s23, v9
	v_sub_u32_e32 v7, v7, v10
	v_add_u32_e32 v10, v9, v11
	v_mul_lo_u32 v1, v1, s28
	v_mul_lo_u32 v7, v7, s29
	v_lshrrev_b32_e32 v10, s4, v10
	v_add3_u32 v7, v1, v8, v7
	v_mul_lo_u32 v1, v10, s22
	v_mul_hi_u32 v8, s6, v10
	v_sub_u32_e32 v1, v9, v1
	v_add_u32_e32 v8, v10, v8
	v_mul_lo_u32 v9, v1, s30
	v_lshrrev_b32_e32 v1, s7, v8
	s_add_i32 s67, s67, 4
	v_mul_lo_u32 v8, v1, s5
	s_add_u32 s56, s56, 16
	v_sub_u32_e32 v8, v10, v8
	s_addc_u32 s57, s57, 0
	v_mul_lo_u32 v8, v8, s31
	s_cmp_eq_u32 s65, s67
	v_add3_u32 v8, v9, v7, v8
	s_cbranch_scc0 .LBB99_56
; %bb.57:                               ;   in Loop: Header=BB99_9 Depth=1
	s_mov_b32 s6, s65
	s_andn2_b64 vcc, exec, s[52:53]
	s_cbranch_vccz .LBB99_61
	s_branch .LBB99_63
.LBB99_58:                              ;   in Loop: Header=BB99_9 Depth=1
                                        ; implicit-def: $vgpr8
	s_branch .LBB99_64
.LBB99_59:                              ;   in Loop: Header=BB99_9 Depth=1
	v_mov_b32_e32 v8, 0
	s_branch .LBB99_63
.LBB99_60:                              ;   in Loop: Header=BB99_9 Depth=1
	v_mov_b32_e32 v1, v0
	s_andn2_b64 vcc, exec, s[52:53]
	s_cbranch_vccnz .LBB99_63
.LBB99_61:                              ;   in Loop: Header=BB99_9 Depth=1
	s_lshl_b32 s4, s6, 2
	s_add_u32 s4, s40, s4
	s_addc_u32 s5, s41, 0
	s_mul_i32 s6, s6, 12
	s_add_u32 s6, s34, s6
	s_addc_u32 s7, s35, 0
	s_mov_b32 s16, s64
.LBB99_62:                              ;   Parent Loop BB99_9 Depth=1
                                        ; =>  This Inner Loop Header: Depth=2
	s_load_dwordx2 s[18:19], s[6:7], 0x4
	s_load_dword s17, s[6:7], 0xc
	s_load_dword s20, s[4:5], 0x0
	s_add_u32 s6, s6, 12
	s_addc_u32 s7, s7, 0
	s_waitcnt lgkmcnt(0)
	v_mul_hi_u32 v7, s19, v1
	v_add_u32_e32 v7, v1, v7
	v_lshrrev_b32_e32 v7, s17, v7
	s_add_u32 s4, s4, 4
	v_mul_lo_u32 v9, v7, s18
	s_addc_u32 s5, s5, 0
	s_add_i32 s16, s16, -1
	v_sub_u32_e32 v9, v1, v9
	s_cmp_lg_u32 s16, 0
	v_mov_b32_e32 v1, v7
	v_mad_u64_u32 v[8:9], s[18:19], v9, s20, v[8:9]
	s_cbranch_scc1 .LBB99_62
.LBB99_63:                              ;   in Loop: Header=BB99_9 Depth=1
	s_cbranch_execnz .LBB99_66
.LBB99_64:                              ;   in Loop: Header=BB99_9 Depth=1
	v_mul_hi_u32 v1, v0, s10
	v_add_u32_e32 v1, v1, v0
	v_lshrrev_b32_e32 v1, s11, v1
	v_mul_lo_u32 v7, v1, s9
	v_sub_u32_e32 v0, v0, v7
	s_andn2_b64 vcc, exec, s[42:43]
	s_waitcnt lgkmcnt(0)
	v_mul_lo_u32 v8, v0, s44
	s_cbranch_vccnz .LBB99_66
; %bb.65:                               ;   in Loop: Header=BB99_9 Depth=1
	v_mul_hi_u32 v0, s8, v1
	v_add_u32_e32 v0, v1, v0
	v_lshrrev_b32_e32 v0, s14, v0
	v_mul_lo_u32 v0, v0, s12
	v_sub_u32_e32 v0, v1, v0
	v_mad_u64_u32 v[8:9], s[4:5], v0, s45, v[8:9]
.LBB99_66:                              ;   in Loop: Header=BB99_9 Depth=1
	v_mul_hi_u32 v0, v2, s66
	v_lshrrev_b32_e32 v0, 1, v0
	v_mul_u32_u24_e32 v0, 0x801, v0
	v_sub_u32_e32 v0, v2, v0
	v_cvt_f32_u32_e32 v0, v0
	v_cvt_f16_f32_e32 v0, v0
	s_waitcnt lgkmcnt(0)
	global_store_short v8, v0, s[46:47]
.LBB99_67:                              ;   in Loop: Header=BB99_9 Depth=1
	s_or_b64 exec, exec, s[2:3]
	v_mov_b32_e32 v1, s63
	v_add_co_u32_e32 v0, vcc, s62, v14
	v_addc_co_u32_e32 v1, vcc, v15, v1, vcc
	v_cmp_gt_i64_e32 vcc, s[24:25], v[0:1]
	s_and_saveexec_b64 s[28:29], vcc
	s_cbranch_execz .LBB99_8
; %bb.68:                               ;   in Loop: Header=BB99_9 Depth=1
	s_and_b64 vcc, exec, s[0:1]
	s_cbranch_vccnz .LBB99_74
; %bb.69:                               ;   in Loop: Header=BB99_9 Depth=1
	s_andn2_b64 vcc, exec, s[38:39]
	s_cbranch_vccnz .LBB99_75
; %bb.70:                               ;   in Loop: Header=BB99_9 Depth=1
	s_mov_b32 s2, 0
	s_andn2_b64 vcc, exec, s[48:49]
	v_mov_b32_e32 v8, 0
	s_cbranch_vccnz .LBB99_76
; %bb.71:                               ;   in Loop: Header=BB99_9 Depth=1
	s_mov_b32 s56, 0
	v_mov_b32_e32 v8, 0
	s_mov_b64 s[30:31], s[34:35]
	s_mov_b64 s[54:55], s[40:41]
	v_mov_b32_e32 v1, v0
.LBB99_72:                              ;   Parent Loop BB99_9 Depth=1
                                        ; =>  This Inner Loop Header: Depth=2
	s_load_dwordx8 s[0:7], s[30:31], 0x4
	s_load_dwordx4 s[16:19], s[30:31], 0x24
	s_load_dwordx4 s[20:23], s[54:55], 0x0
	s_add_u32 s30, s30, 48
	s_addc_u32 s31, s31, 0
	s_waitcnt lgkmcnt(0)
	v_mul_hi_u32 v2, s1, v1
	v_add_u32_e32 v2, v1, v2
	v_lshrrev_b32_e32 v2, s2, v2
	v_mul_lo_u32 v7, v2, s0
	v_mul_hi_u32 v9, s4, v2
	v_sub_u32_e32 v1, v1, v7
	v_add_u32_e32 v7, v2, v9
	v_lshrrev_b32_e32 v7, s5, v7
	v_mul_lo_u32 v9, v7, s3
	v_mul_hi_u32 v10, s7, v7
	v_sub_u32_e32 v2, v2, v9
	v_add_u32_e32 v9, v7, v10
	v_mul_lo_u32 v1, v1, s20
	v_mul_lo_u32 v2, v2, s21
	v_lshrrev_b32_e32 v9, s16, v9
	v_add3_u32 v2, v1, v8, v2
	v_mul_lo_u32 v1, v9, s6
	v_mul_hi_u32 v8, s18, v9
	v_sub_u32_e32 v1, v7, v1
	v_add_u32_e32 v7, v9, v8
	v_mul_lo_u32 v8, v1, s22
	v_lshrrev_b32_e32 v1, s19, v7
	s_add_i32 s56, s56, 4
	v_mul_lo_u32 v7, v1, s17
	s_add_u32 s54, s54, 16
	v_sub_u32_e32 v7, v9, v7
	s_addc_u32 s55, s55, 0
	v_mul_lo_u32 v7, v7, s23
	s_cmp_eq_u32 s65, s56
	v_add3_u32 v8, v8, v2, v7
	s_cbranch_scc0 .LBB99_72
; %bb.73:                               ;   in Loop: Header=BB99_9 Depth=1
	s_mov_b32 s2, s65
	s_andn2_b64 vcc, exec, s[52:53]
	s_cbranch_vccz .LBB99_77
	s_branch .LBB99_79
.LBB99_74:                              ;   in Loop: Header=BB99_9 Depth=1
                                        ; implicit-def: $vgpr8
	s_branch .LBB99_80
.LBB99_75:                              ;   in Loop: Header=BB99_9 Depth=1
	v_mov_b32_e32 v8, 0
	s_branch .LBB99_79
.LBB99_76:                              ;   in Loop: Header=BB99_9 Depth=1
	v_mov_b32_e32 v1, v0
	s_andn2_b64 vcc, exec, s[52:53]
	s_cbranch_vccnz .LBB99_79
.LBB99_77:                              ;   in Loop: Header=BB99_9 Depth=1
	s_lshl_b32 s0, s2, 2
	s_add_u32 s0, s40, s0
	s_addc_u32 s1, s41, 0
	s_mul_i32 s2, s2, 12
	s_add_u32 s2, s34, s2
	s_addc_u32 s3, s35, 0
	s_mov_b32 s4, s64
.LBB99_78:                              ;   Parent Loop BB99_9 Depth=1
                                        ; =>  This Inner Loop Header: Depth=2
	s_load_dwordx2 s[6:7], s[2:3], 0x4
	s_load_dword s5, s[2:3], 0xc
	s_load_dword s16, s[0:1], 0x0
	s_add_u32 s2, s2, 12
	s_addc_u32 s3, s3, 0
	s_waitcnt lgkmcnt(0)
	v_mul_hi_u32 v2, s7, v1
	v_add_u32_e32 v2, v1, v2
	v_lshrrev_b32_e32 v2, s5, v2
	s_add_u32 s0, s0, 4
	v_mul_lo_u32 v7, v2, s6
	s_addc_u32 s1, s1, 0
	s_add_i32 s4, s4, -1
	v_sub_u32_e32 v7, v1, v7
	s_cmp_lg_u32 s4, 0
	v_mov_b32_e32 v1, v2
	v_mad_u64_u32 v[8:9], s[6:7], v7, s16, v[8:9]
	s_cbranch_scc1 .LBB99_78
.LBB99_79:                              ;   in Loop: Header=BB99_9 Depth=1
	s_cbranch_execnz .LBB99_7
.LBB99_80:                              ;   in Loop: Header=BB99_9 Depth=1
	v_mul_hi_u32 v1, v0, s10
	v_add_u32_e32 v1, v1, v0
	v_lshrrev_b32_e32 v1, s11, v1
	v_mul_lo_u32 v2, v1, s9
	v_sub_u32_e32 v0, v0, v2
	s_andn2_b64 vcc, exec, s[42:43]
	s_waitcnt lgkmcnt(0)
	v_mul_lo_u32 v8, v0, s44
	s_cbranch_vccnz .LBB99_7
; %bb.81:                               ;   in Loop: Header=BB99_9 Depth=1
	v_mul_hi_u32 v0, s8, v1
	v_add_u32_e32 v0, v1, v0
	v_lshrrev_b32_e32 v0, s14, v0
	v_mul_lo_u32 v0, v0, s12
	v_sub_u32_e32 v0, v1, v0
	v_mad_u64_u32 v[8:9], s[0:1], v0, s45, v[8:9]
	s_branch .LBB99_7
.LBB99_82:
	s_endpgm
.LBB99_83:
                                        ; implicit-def: $sgpr2_sgpr3
	s_andn2_b64 vcc, exec, s[0:1]
	s_cbranch_vccz .LBB99_4
	s_branch .LBB99_5
	.section	.rodata,"a",@progbits
	.p2align	6, 0x0
	.amdhsa_kernel _ZN2at6native12_GLOBAL__N_143distribution_elementwise_grid_stride_kernelIjLi4EZZZNS0_9templates4cuda13random_kernelIPNS_17CUDAGeneratorImplEEEvRNS_18TensorIteratorBaseET_ENKUlvE_clEvENKUlvE6_clEvEUlP25hiprandStatePhilox4_32_10E0_ZNS1_27distribution_nullary_kernelIN3c104HalfEj15HIP_vector_typeIjLj4EES7_SF_ZZZNS5_IS7_EEvS9_SA_ENKSB_clEvENKSC_clEvEUljE_EEvS9_T2_RKT3_T4_EUlijE0_EEvlNS_15PhiloxCudaStateET1_SM_
		.amdhsa_group_segment_fixed_size 0
		.amdhsa_private_segment_fixed_size 0
		.amdhsa_kernarg_size 584
		.amdhsa_user_sgpr_count 6
		.amdhsa_user_sgpr_private_segment_buffer 1
		.amdhsa_user_sgpr_dispatch_ptr 0
		.amdhsa_user_sgpr_queue_ptr 0
		.amdhsa_user_sgpr_kernarg_segment_ptr 1
		.amdhsa_user_sgpr_dispatch_id 0
		.amdhsa_user_sgpr_flat_scratch_init 0
		.amdhsa_user_sgpr_kernarg_preload_length 0
		.amdhsa_user_sgpr_kernarg_preload_offset 0
		.amdhsa_user_sgpr_private_segment_size 0
		.amdhsa_uses_dynamic_stack 0
		.amdhsa_system_sgpr_private_segment_wavefront_offset 0
		.amdhsa_system_sgpr_workgroup_id_x 1
		.amdhsa_system_sgpr_workgroup_id_y 0
		.amdhsa_system_sgpr_workgroup_id_z 0
		.amdhsa_system_sgpr_workgroup_info 0
		.amdhsa_system_vgpr_workitem_id 0
		.amdhsa_next_free_vgpr 41
		.amdhsa_next_free_sgpr 68
		.amdhsa_accum_offset 44
		.amdhsa_reserve_vcc 1
		.amdhsa_reserve_flat_scratch 0
		.amdhsa_float_round_mode_32 0
		.amdhsa_float_round_mode_16_64 0
		.amdhsa_float_denorm_mode_32 3
		.amdhsa_float_denorm_mode_16_64 3
		.amdhsa_dx10_clamp 1
		.amdhsa_ieee_mode 1
		.amdhsa_fp16_overflow 0
		.amdhsa_tg_split 0
		.amdhsa_exception_fp_ieee_invalid_op 0
		.amdhsa_exception_fp_denorm_src 0
		.amdhsa_exception_fp_ieee_div_zero 0
		.amdhsa_exception_fp_ieee_overflow 0
		.amdhsa_exception_fp_ieee_underflow 0
		.amdhsa_exception_fp_ieee_inexact 0
		.amdhsa_exception_int_div_zero 0
	.end_amdhsa_kernel
	.section	.text._ZN2at6native12_GLOBAL__N_143distribution_elementwise_grid_stride_kernelIjLi4EZZZNS0_9templates4cuda13random_kernelIPNS_17CUDAGeneratorImplEEEvRNS_18TensorIteratorBaseET_ENKUlvE_clEvENKUlvE6_clEvEUlP25hiprandStatePhilox4_32_10E0_ZNS1_27distribution_nullary_kernelIN3c104HalfEj15HIP_vector_typeIjLj4EES7_SF_ZZZNS5_IS7_EEvS9_SA_ENKSB_clEvENKSC_clEvEUljE_EEvS9_T2_RKT3_T4_EUlijE0_EEvlNS_15PhiloxCudaStateET1_SM_,"axG",@progbits,_ZN2at6native12_GLOBAL__N_143distribution_elementwise_grid_stride_kernelIjLi4EZZZNS0_9templates4cuda13random_kernelIPNS_17CUDAGeneratorImplEEEvRNS_18TensorIteratorBaseET_ENKUlvE_clEvENKUlvE6_clEvEUlP25hiprandStatePhilox4_32_10E0_ZNS1_27distribution_nullary_kernelIN3c104HalfEj15HIP_vector_typeIjLj4EES7_SF_ZZZNS5_IS7_EEvS9_SA_ENKSB_clEvENKSC_clEvEUljE_EEvS9_T2_RKT3_T4_EUlijE0_EEvlNS_15PhiloxCudaStateET1_SM_,comdat
.Lfunc_end99:
	.size	_ZN2at6native12_GLOBAL__N_143distribution_elementwise_grid_stride_kernelIjLi4EZZZNS0_9templates4cuda13random_kernelIPNS_17CUDAGeneratorImplEEEvRNS_18TensorIteratorBaseET_ENKUlvE_clEvENKUlvE6_clEvEUlP25hiprandStatePhilox4_32_10E0_ZNS1_27distribution_nullary_kernelIN3c104HalfEj15HIP_vector_typeIjLj4EES7_SF_ZZZNS5_IS7_EEvS9_SA_ENKSB_clEvENKSC_clEvEUljE_EEvS9_T2_RKT3_T4_EUlijE0_EEvlNS_15PhiloxCudaStateET1_SM_, .Lfunc_end99-_ZN2at6native12_GLOBAL__N_143distribution_elementwise_grid_stride_kernelIjLi4EZZZNS0_9templates4cuda13random_kernelIPNS_17CUDAGeneratorImplEEEvRNS_18TensorIteratorBaseET_ENKUlvE_clEvENKUlvE6_clEvEUlP25hiprandStatePhilox4_32_10E0_ZNS1_27distribution_nullary_kernelIN3c104HalfEj15HIP_vector_typeIjLj4EES7_SF_ZZZNS5_IS7_EEvS9_SA_ENKSB_clEvENKSC_clEvEUljE_EEvS9_T2_RKT3_T4_EUlijE0_EEvlNS_15PhiloxCudaStateET1_SM_
                                        ; -- End function
	.section	.AMDGPU.csdata,"",@progbits
; Kernel info:
; codeLenInByte = 4468
; NumSgprs: 72
; NumVgprs: 41
; NumAgprs: 0
; TotalNumVgprs: 41
; ScratchSize: 0
; MemoryBound: 0
; FloatMode: 240
; IeeeMode: 1
; LDSByteSize: 0 bytes/workgroup (compile time only)
; SGPRBlocks: 8
; VGPRBlocks: 5
; NumSGPRsForWavesPerEU: 72
; NumVGPRsForWavesPerEU: 41
; AccumOffset: 44
; Occupancy: 8
; WaveLimiterHint : 1
; COMPUTE_PGM_RSRC2:SCRATCH_EN: 0
; COMPUTE_PGM_RSRC2:USER_SGPR: 6
; COMPUTE_PGM_RSRC2:TRAP_HANDLER: 0
; COMPUTE_PGM_RSRC2:TGID_X_EN: 1
; COMPUTE_PGM_RSRC2:TGID_Y_EN: 0
; COMPUTE_PGM_RSRC2:TGID_Z_EN: 0
; COMPUTE_PGM_RSRC2:TIDIG_COMP_CNT: 0
; COMPUTE_PGM_RSRC3_GFX90A:ACCUM_OFFSET: 10
; COMPUTE_PGM_RSRC3_GFX90A:TG_SPLIT: 0
	.section	.text._ZN2at6native12_GLOBAL__N_143distribution_elementwise_grid_stride_kernelImLi2EZZZNS0_9templates4cuda13random_kernelIPNS_17CUDAGeneratorImplEEEvRNS_18TensorIteratorBaseET_ENKUlvE_clEvENKUlvE7_clEvEUlP25hiprandStatePhilox4_32_10E_ZNS1_27distribution_nullary_kernelIN3c108BFloat16Em15HIP_vector_typeIyLj2EES7_SF_ZZZNS5_IS7_EEvS9_SA_ENKSB_clEvENKSC_clEvEUlmE_EEvS9_T2_RKT3_T4_EUlimE_EEvlNS_15PhiloxCudaStateET1_SM_,"axG",@progbits,_ZN2at6native12_GLOBAL__N_143distribution_elementwise_grid_stride_kernelImLi2EZZZNS0_9templates4cuda13random_kernelIPNS_17CUDAGeneratorImplEEEvRNS_18TensorIteratorBaseET_ENKUlvE_clEvENKUlvE7_clEvEUlP25hiprandStatePhilox4_32_10E_ZNS1_27distribution_nullary_kernelIN3c108BFloat16Em15HIP_vector_typeIyLj2EES7_SF_ZZZNS5_IS7_EEvS9_SA_ENKSB_clEvENKSC_clEvEUlmE_EEvS9_T2_RKT3_T4_EUlimE_EEvlNS_15PhiloxCudaStateET1_SM_,comdat
	.globl	_ZN2at6native12_GLOBAL__N_143distribution_elementwise_grid_stride_kernelImLi2EZZZNS0_9templates4cuda13random_kernelIPNS_17CUDAGeneratorImplEEEvRNS_18TensorIteratorBaseET_ENKUlvE_clEvENKUlvE7_clEvEUlP25hiprandStatePhilox4_32_10E_ZNS1_27distribution_nullary_kernelIN3c108BFloat16Em15HIP_vector_typeIyLj2EES7_SF_ZZZNS5_IS7_EEvS9_SA_ENKSB_clEvENKSC_clEvEUlmE_EEvS9_T2_RKT3_T4_EUlimE_EEvlNS_15PhiloxCudaStateET1_SM_ ; -- Begin function _ZN2at6native12_GLOBAL__N_143distribution_elementwise_grid_stride_kernelImLi2EZZZNS0_9templates4cuda13random_kernelIPNS_17CUDAGeneratorImplEEEvRNS_18TensorIteratorBaseET_ENKUlvE_clEvENKUlvE7_clEvEUlP25hiprandStatePhilox4_32_10E_ZNS1_27distribution_nullary_kernelIN3c108BFloat16Em15HIP_vector_typeIyLj2EES7_SF_ZZZNS5_IS7_EEvS9_SA_ENKSB_clEvENKSC_clEvEUlmE_EEvS9_T2_RKT3_T4_EUlimE_EEvlNS_15PhiloxCudaStateET1_SM_
	.p2align	8
	.type	_ZN2at6native12_GLOBAL__N_143distribution_elementwise_grid_stride_kernelImLi2EZZZNS0_9templates4cuda13random_kernelIPNS_17CUDAGeneratorImplEEEvRNS_18TensorIteratorBaseET_ENKUlvE_clEvENKUlvE7_clEvEUlP25hiprandStatePhilox4_32_10E_ZNS1_27distribution_nullary_kernelIN3c108BFloat16Em15HIP_vector_typeIyLj2EES7_SF_ZZZNS5_IS7_EEvS9_SA_ENKSB_clEvENKSC_clEvEUlmE_EEvS9_T2_RKT3_T4_EUlimE_EEvlNS_15PhiloxCudaStateET1_SM_,@function
_ZN2at6native12_GLOBAL__N_143distribution_elementwise_grid_stride_kernelImLi2EZZZNS0_9templates4cuda13random_kernelIPNS_17CUDAGeneratorImplEEEvRNS_18TensorIteratorBaseET_ENKUlvE_clEvENKUlvE7_clEvEUlP25hiprandStatePhilox4_32_10E_ZNS1_27distribution_nullary_kernelIN3c108BFloat16Em15HIP_vector_typeIyLj2EES7_SF_ZZZNS5_IS7_EEvS9_SA_ENKSB_clEvENKSC_clEvEUlmE_EEvS9_T2_RKT3_T4_EUlimE_EEvlNS_15PhiloxCudaStateET1_SM_: ; @_ZN2at6native12_GLOBAL__N_143distribution_elementwise_grid_stride_kernelImLi2EZZZNS0_9templates4cuda13random_kernelIPNS_17CUDAGeneratorImplEEEvRNS_18TensorIteratorBaseET_ENKUlvE_clEvENKUlvE7_clEvEUlP25hiprandStatePhilox4_32_10E_ZNS1_27distribution_nullary_kernelIN3c108BFloat16Em15HIP_vector_typeIyLj2EES7_SF_ZZZNS5_IS7_EEvS9_SA_ENKSB_clEvENKSC_clEvEUlmE_EEvS9_T2_RKT3_T4_EUlimE_EEvlNS_15PhiloxCudaStateET1_SM_
; %bb.0:
	s_load_dword s2, s[4:5], 0x20
	s_load_dwordx2 s[0:1], s[4:5], 0x10
	s_load_dwordx4 s[8:11], s[4:5], 0x0
	s_waitcnt lgkmcnt(0)
	s_bitcmp0_b32 s2, 0
	s_mov_b32 s2, 0
	v_pk_mov_b32 v[2:3], s[0:1], s[0:1] op_sel:[0,1]
	v_pk_mov_b32 v[14:15], s[10:11], s[10:11] op_sel:[0,1]
	s_cbranch_scc1 .LBB100_2
; %bb.1:
	v_pk_mov_b32 v[2:3], s[0:1], s[0:1] op_sel:[0,1]
	flat_load_dwordx2 v[2:3], v[2:3]
	v_pk_mov_b32 v[4:5], s[10:11], s[10:11] op_sel:[0,1]
	flat_load_dwordx2 v[14:15], v[4:5]
	s_load_dwordx2 s[0:1], s[4:5], 0x18
	s_waitcnt lgkmcnt(0)
	v_mov_b32_e32 v1, s1
	s_waitcnt vmcnt(0)
	v_add_co_u32_e32 v2, vcc, s0, v2
	v_addc_co_u32_e32 v3, vcc, v3, v1, vcc
.LBB100_2:
	s_load_dword s0, s[4:5], 0x4c
	s_load_dword s18, s[4:5], 0x40
	s_waitcnt lgkmcnt(0)
	s_and_b32 s7, s0, 0xffff
	s_add_u32 s10, s8, -1
	s_mul_i32 s12, s18, s7
	s_addc_u32 s3, s9, -1
	s_lshl_b32 s13, s12, 1
	s_cmp_lg_u64 s[2:3], 0
	s_mov_b64 s[0:1], -1
	s_cbranch_scc0 .LBB100_23
; %bb.3:
	v_cvt_f32_u32_e32 v1, s13
	v_cvt_f32_ubyte0_e32 v4, 0
	s_sub_u32 s2, 0, s13
	s_subb_u32 s11, 0, 0
	v_madmk_f32 v1, v4, 0x4f800000, v1
	v_rcp_f32_e32 v1, v1
	v_mul_f32_e32 v1, 0x5f7ffffc, v1
	v_mul_f32_e32 v4, 0x2f800000, v1
	v_trunc_f32_e32 v4, v4
	v_madmk_f32 v1, v4, 0xcf800000, v1
	v_cvt_u32_f32_e32 v4, v4
	v_cvt_u32_f32_e32 v1, v1
	v_readfirstlane_b32 s14, v4
	v_readfirstlane_b32 s15, v1
	s_mul_i32 s16, s2, s14
	s_mul_hi_u32 s19, s2, s15
	s_mul_i32 s17, s11, s15
	s_add_i32 s16, s19, s16
	s_add_i32 s16, s16, s17
	s_mul_i32 s20, s2, s15
	s_mul_hi_u32 s17, s15, s16
	s_mul_i32 s19, s15, s16
	s_mul_hi_u32 s15, s15, s20
	s_add_u32 s15, s15, s19
	s_addc_u32 s17, 0, s17
	s_mul_hi_u32 s21, s14, s20
	s_mul_i32 s20, s14, s20
	s_add_u32 s15, s15, s20
	s_mul_hi_u32 s19, s14, s16
	s_addc_u32 s15, s17, s21
	s_addc_u32 s17, s19, 0
	s_mul_i32 s16, s14, s16
	s_add_u32 s15, s15, s16
	s_addc_u32 s16, 0, s17
	v_add_co_u32_e32 v1, vcc, s15, v1
	s_cmp_lg_u64 vcc, 0
	s_addc_u32 s14, s14, s16
	v_readfirstlane_b32 s16, v1
	s_mul_i32 s15, s2, s14
	s_mul_hi_u32 s17, s2, s16
	s_add_i32 s15, s17, s15
	s_mul_i32 s11, s11, s16
	s_add_i32 s15, s15, s11
	s_mul_i32 s2, s2, s16
	s_mul_hi_u32 s17, s14, s2
	s_mul_i32 s19, s14, s2
	s_mul_i32 s21, s16, s15
	s_mul_hi_u32 s2, s16, s2
	s_mul_hi_u32 s20, s16, s15
	s_add_u32 s2, s2, s21
	s_addc_u32 s16, 0, s20
	s_add_u32 s2, s2, s19
	s_mul_hi_u32 s11, s14, s15
	s_addc_u32 s2, s16, s17
	s_addc_u32 s11, s11, 0
	s_mul_i32 s15, s14, s15
	s_add_u32 s2, s2, s15
	s_addc_u32 s11, 0, s11
	v_add_co_u32_e32 v1, vcc, s2, v1
	s_cmp_lg_u64 vcc, 0
	s_addc_u32 s11, s14, s11
	s_ashr_i32 s14, s3, 31
	s_add_u32 s2, s10, s14
	s_mov_b32 s15, s14
	s_addc_u32 s3, s3, s14
	s_xor_b64 s[2:3], s[2:3], s[14:15]
	v_readfirstlane_b32 s19, v1
	s_mul_i32 s17, s2, s11
	s_mul_hi_u32 s20, s2, s19
	s_mul_hi_u32 s16, s2, s11
	s_add_u32 s17, s20, s17
	s_addc_u32 s16, 0, s16
	s_mul_hi_u32 s21, s3, s19
	s_mul_i32 s19, s3, s19
	s_add_u32 s17, s17, s19
	s_mul_hi_u32 s20, s3, s11
	s_addc_u32 s16, s16, s21
	s_addc_u32 s17, s20, 0
	s_mul_i32 s11, s3, s11
	s_add_u32 s11, s16, s11
	s_addc_u32 s16, 0, s17
	s_add_u32 s17, s11, 1
	s_addc_u32 s19, s16, 0
	s_add_u32 s20, s11, 2
	s_mul_i32 s22, s13, s16
	s_mul_hi_u32 s23, s13, s11
	s_addc_u32 s21, s16, 0
	s_add_i32 s23, s23, s22
	s_mul_i32 s22, s13, s11
	v_mov_b32_e32 v1, s22
	v_sub_co_u32_e32 v1, vcc, s2, v1
	s_cmp_lg_u64 vcc, 0
	s_subb_u32 s2, s3, s23
	v_subrev_co_u32_e32 v4, vcc, s13, v1
	s_cmp_lg_u64 vcc, 0
	s_subb_u32 s3, s2, 0
	v_readfirstlane_b32 s22, v4
	s_cmp_ge_u32 s22, s13
	s_cselect_b32 s22, -1, 0
	s_cmp_eq_u32 s3, 0
	s_cselect_b32 s3, s22, -1
	s_cmp_lg_u32 s3, 0
	s_cselect_b32 s3, s21, s19
	v_readfirstlane_b32 s19, v1
	s_cselect_b32 s17, s20, s17
	s_cmp_ge_u32 s19, s13
	s_cselect_b32 s19, -1, 0
	s_cmp_eq_u32 s2, 0
	s_cselect_b32 s2, s19, -1
	s_cmp_lg_u32 s2, 0
	s_cselect_b32 s3, s3, s16
	s_cselect_b32 s2, s17, s11
	s_xor_b64 s[2:3], s[2:3], s[14:15]
	s_sub_u32 s2, s2, s14
	s_subb_u32 s3, s3, s14
	s_cbranch_execnz .LBB100_5
.LBB100_4:
	v_cvt_f32_u32_e32 v1, s13
	s_sub_i32 s0, 0, s13
	s_mov_b32 s3, 0
	v_rcp_iflag_f32_e32 v1, v1
	v_mul_f32_e32 v1, 0x4f7ffffe, v1
	v_cvt_u32_f32_e32 v1, v1
	v_readfirstlane_b32 s1, v1
	s_mul_i32 s0, s0, s1
	s_mul_hi_u32 s0, s1, s0
	s_add_i32 s1, s1, s0
	s_mul_hi_u32 s0, s10, s1
	s_mul_i32 s2, s0, s13
	s_sub_i32 s2, s10, s2
	s_add_i32 s1, s0, 1
	s_sub_i32 s10, s2, s13
	s_cmp_ge_u32 s2, s13
	s_cselect_b32 s0, s1, s0
	s_cselect_b32 s2, s10, s2
	s_add_i32 s1, s0, 1
	s_cmp_ge_u32 s2, s13
	s_cselect_b32 s2, s1, s0
.LBB100_5:
	v_mov_b32_e32 v1, 0
	v_mov_b32_e32 v4, s6
	v_mad_u64_u32 v[16:17], s[0:1], s7, v4, v[0:1]
	s_add_u32 s0, s2, 1
	s_addc_u32 s1, s3, 0
	s_mul_hi_u32 s2, s18, s7
	s_mul_i32 s1, s12, s1
	s_mul_hi_u32 s3, s12, s0
	s_add_i32 s1, s3, s1
	s_mul_i32 s2, s2, s0
	s_add_i32 s1, s1, s2
	s_mul_i32 s0, s12, s0
	s_lshl_b64 s[2:3], s[0:1], 1
	v_cmp_gt_i64_e32 vcc, s[2:3], v[16:17]
	s_and_saveexec_b64 s[0:1], vcc
	s_cbranch_execz .LBB100_22
; %bb.6:
	s_mov_b32 s0, 0x5384540f
	v_mov_b32_e32 v4, v15
	v_add_co_u32_e32 v22, vcc, s0, v14
	s_mov_b32 s0, 0x646e171e
	v_add_co_u32_e32 v23, vcc, s0, v4
	s_mov_b32 s0, 0x1715609d
	;; [unrolled: 2-line block ×6, first 2 shown]
	v_alignbit_b32 v29, v3, v2, 2
	s_mov_b32 s15, 0xd2511f53
	v_add_co_u32_e32 v28, vcc, s0, v14
	v_mad_u64_u32 v[6:7], s[0:1], v29, s15, 0
	v_xor_b32_e32 v1, v7, v15
	v_xor_b32_e32 v1, v1, v17
	s_mov_b32 s16, 0xcd9e8d57
	v_mad_u64_u32 v[8:9], s[0:1], v1, s16, 0
	v_xor_b32_e32 v1, v28, v9
	v_mad_u64_u32 v[10:11], s[0:1], v16, s16, 0
	v_and_b32_e32 v18, 3, v2
	v_xor_b32_e32 v1, v1, v10
	v_xor_b32_e32 v2, v14, v11
	v_lshrrev_b32_e32 v30, 2, v3
	v_mad_u64_u32 v[12:13], s[0:1], v1, s15, 0
	v_xor_b32_e32 v2, v2, v30
	v_xor_b32_e32 v1, v27, v13
	v_mad_u64_u32 v[2:3], s[0:1], v2, s15, 0
	v_xor_b32_e32 v1, v1, v2
	v_mad_u64_u32 v[10:11], s[0:1], v1, s16, 0
	s_mov_b32 s0, 0xbb67ae85
	v_add_co_u32_e32 v31, vcc, s0, v4
	v_xor_b32_e32 v2, v31, v3
	v_xor_b32_e32 v2, v2, v6
	v_xor_b32_e32 v1, v26, v11
	v_mad_u64_u32 v[2:3], s[0:1], v2, s16, 0
	v_xor_b32_e32 v1, v1, v2
	v_mad_u64_u32 v[6:7], s[0:1], v1, s15, 0
	s_mov_b32 s0, 0x3c6ef372
	v_add_co_u32_e32 v32, vcc, s0, v14
	v_xor_b32_e32 v2, v32, v3
	;; [unrolled: 8-line block ×6, first 2 shown]
	v_add_co_u32_e32 v21, vcc, 0xdb3d7428, v4
	v_xor_b32_e32 v2, v2, v8
	v_xor_b32_e32 v1, v21, v7
	v_mad_u64_u32 v[2:3], s[0:1], v2, s15, 0
	v_xor_b32_e32 v1, v1, v2
	v_mad_u64_u32 v[8:9], s[0:1], v1, s16, 0
	s_mov_b32 s0, 0x1fd5c5a3
	v_add_co_u32_e32 v37, vcc, s0, v4
	v_xor_b32_e32 v1, v37, v3
	v_xor_b32_e32 v1, v1, v12
	v_mad_u64_u32 v[2:3], s[0:1], v1, s16, 0
	s_mov_b32 s0, 0xf1bbcdc8
	s_load_dwordx2 s[10:11], s[4:5], 0x30
	s_load_dword s19, s[4:5], 0x38
	v_add_u32_e32 v19, 0x8ff34781, v14
	v_xor_b32_e32 v1, v9, v2
	v_add_co_u32_e32 v38, vcc, s0, v14
	v_xor_b32_e32 v2, v19, v1
	v_xor_b32_e32 v1, v38, v3
	v_xor_b32_e32 v1, v1, v10
	v_mad_u64_u32 v[10:11], s[0:1], v1, s15, 0
	v_add_u32_e32 v20, 0x96a522ad, v15
	v_xor_b32_e32 v1, v11, v6
	s_mul_i32 s0, s6, s7
	v_xor_b32_e32 v4, v20, v1
	v_add_u32_e32 v1, s0, v0
	s_waitcnt lgkmcnt(0)
	s_mul_i32 s0, s18, s19
	s_mul_i32 s0, s0, s7
	s_lshl_b32 s17, s0, 1
	s_add_i32 s0, s6, s18
	s_mul_i32 s0, s0, s7
	s_mov_b32 s14, 0
	v_add_u32_e32 v0, s0, v0
	v_mov_b32_e32 v3, v8
	v_mov_b32_e32 v5, v10
	v_mul_lo_u32 v39, s19, v1
	v_mul_lo_u32 v40, s19, v0
	s_mov_b64 s[4:5], 0
	s_movk_i32 s18, 0x101
	s_movk_i32 s19, 0x100
	;; [unrolled: 1-line block ×3, first 2 shown]
	s_mov_b32 s21, s14
	v_mov_b32_e32 v41, v16
	v_mov_b32_e32 v42, v17
	s_branch .LBB100_8
.LBB100_7:                              ;   in Loop: Header=BB100_8 Depth=1
	s_or_b64 exec, exec, s[6:7]
	v_add_co_u32_e32 v16, vcc, s13, v16
	v_addc_co_u32_e32 v17, vcc, 0, v17, vcc
	v_mov_b32_e32 v9, v0
	s_add_i32 s21, s21, s17
	v_cmp_le_i64_e32 vcc, s[2:3], v[16:17]
	v_pk_mov_b32 v[2:3], v[6:7], v[6:7] op_sel:[0,1]
	s_or_b64 s[4:5], vcc, s[4:5]
	v_pk_mov_b32 v[4:5], v[8:9], v[8:9] op_sel:[0,1]
	s_barrier
	s_andn2_b64 exec, exec, s[4:5]
	s_cbranch_execz .LBB100_22
.LBB100_8:                              ; =>This Inner Loop Header: Depth=1
	v_add_co_u32_e32 v29, vcc, 1, v29
	v_cndmask_b32_e64 v0, 0, 1, vcc
	v_addc_co_u32_e32 v30, vcc, 0, v30, vcc
	v_cmp_eq_u32_e32 vcc, 0, v30
	v_cndmask_b32_e32 v0, 0, v0, vcc
	v_add_u32_e32 v41, v0, v41
	v_cmp_eq_u32_e32 vcc, 0, v41
	v_cndmask_b32_e32 v0, 0, v0, vcc
	v_add_u32_e32 v42, v0, v42
	v_mad_u64_u32 v[0:1], s[0:1], v29, s15, 0
	v_mad_u64_u32 v[6:7], s[0:1], v41, s16, 0
	v_xor_b32_e32 v1, v1, v15
	v_xor_b32_e32 v7, v7, v14
	v_xor_b32_e32 v1, v42, v1
	v_xor_b32_e32 v7, v30, v7
	v_mad_u64_u32 v[10:11], s[0:1], v1, s16, 0
	v_mad_u64_u32 v[8:9], s[0:1], v7, s15, 0
	v_xor_b32_e32 v1, v28, v11
	v_xor_b32_e32 v1, v1, v6
	v_xor_b32_e32 v6, v31, v9
	v_xor_b32_e32 v6, v6, v0
	;; [unrolled: 6-line block ×10, first 2 shown]
	v_mov_b32_e32 v7, v12
	v_mov_b32_e32 v8, v13
	v_cmp_lt_i32_e32 vcc, 1, v18
	s_and_saveexec_b64 s[0:1], vcc
	s_xor_b64 s[0:1], exec, s[0:1]
	s_cbranch_execnz .LBB100_14
; %bb.9:                                ;   in Loop: Header=BB100_8 Depth=1
	s_andn2_saveexec_b64 s[0:1], s[0:1]
	s_cbranch_execnz .LBB100_19
.LBB100_10:                             ;   in Loop: Header=BB100_8 Depth=1
	s_or_b64 exec, exec, s[0:1]
	v_cmp_gt_i64_e32 vcc, s[8:9], v[16:17]
	s_and_saveexec_b64 s[6:7], vcc
	s_cbranch_execz .LBB100_12
.LBB100_11:                             ;   in Loop: Header=BB100_8 Depth=1
	s_add_u32 s0, 0, 0xfef0e7
	s_addc_u32 s1, 0, 4
	s_add_i32 s1, s1, 0xff00fb
	s_mul_hi_u32 s25, s0, 0xfffffeff
	s_sub_i32 s25, s25, s0
	s_mul_i32 s26, s1, 0xfffffeff
	s_mul_i32 s22, s0, 0xfffffeff
	s_add_i32 s25, s25, s26
	s_mul_hi_u32 s23, s1, s22
	s_mul_i32 s24, s1, s22
	s_mul_i32 s27, s0, s25
	s_mul_hi_u32 s22, s0, s22
	s_mul_hi_u32 s26, s0, s25
	s_add_u32 s22, s22, s27
	s_addc_u32 s26, 0, s26
	s_add_u32 s22, s22, s24
	s_mul_hi_u32 s27, s1, s25
	s_addc_u32 s22, s26, s23
	s_addc_u32 s23, s27, 0
	s_mul_i32 s24, s1, s25
	s_add_u32 s22, s22, s24
	v_mov_b32_e32 v10, s22
	s_addc_u32 s23, 0, s23
	v_add_co_u32_e32 v12, vcc, s0, v10
	s_cmp_lg_u64 vcc, 0
	s_addc_u32 s22, s1, s23
	v_mad_u64_u32 v[10:11], s[0:1], v3, s22, 0
	v_mul_hi_u32 v13, v3, v12
	v_add_co_u32_e32 v44, vcc, v13, v10
	v_addc_co_u32_e32 v45, vcc, 0, v11, vcc
	v_mad_u64_u32 v[12:13], s[0:1], v2, v12, 0
	v_add_co_u32_e32 v12, vcc, v44, v12
	v_mad_u64_u32 v[10:11], s[0:1], v2, s22, 0
	v_addc_co_u32_e32 v12, vcc, v45, v13, vcc
	v_addc_co_u32_e32 v11, vcc, 0, v11, vcc
	v_add_co_u32_e32 v10, vcc, v12, v10
	v_addc_co_u32_e32 v13, vcc, 0, v11, vcc
	v_mad_u64_u32 v[10:11], s[0:1], v10, s18, 0
	v_mov_b32_e32 v12, v11
	v_mad_u64_u32 v[12:13], s[0:1], v13, s18, v[12:13]
	v_sub_co_u32_e32 v10, vcc, v3, v10
	v_subb_co_u32_e32 v2, vcc, v2, v12, vcc
	v_subrev_co_u32_e32 v11, vcc, s18, v10
	v_subbrev_co_u32_e32 v3, vcc, 0, v2, vcc
	v_subrev_co_u32_e32 v12, vcc, s18, v11
	v_subbrev_co_u32_e32 v13, vcc, 0, v3, vcc
	v_cmp_lt_u32_e32 vcc, s19, v11
	v_cndmask_b32_e64 v44, 0, -1, vcc
	v_cmp_eq_u32_e32 vcc, 0, v3
	v_cndmask_b32_e32 v44, -1, v44, vcc
	v_cmp_ne_u32_e32 vcc, 0, v44
	v_cmp_lt_u32_e64 s[0:1], s19, v10
	v_cndmask_b32_e32 v3, v3, v13, vcc
	v_cndmask_b32_e64 v13, 0, -1, s[0:1]
	v_cmp_eq_u32_e64 s[0:1], 0, v2
	v_cndmask_b32_e64 v13, -1, v13, s[0:1]
	v_cmp_ne_u32_e64 s[0:1], 0, v13
	v_cndmask_b32_e64 v3, v2, v3, s[0:1]
	v_cndmask_b32_e32 v2, v11, v12, vcc
	v_cndmask_b32_e64 v2, v10, v2, s[0:1]
	v_ffbh_u32_e32 v10, v3
	v_min_u32_e32 v10, 32, v10
	v_lshlrev_b64 v[2:3], v10, v[2:3]
	v_min_u32_e32 v2, 1, v2
	v_or_b32_e32 v2, v3, v2
	v_cvt_f32_u32_e32 v11, v2
	v_add_u32_e32 v1, s21, v39
	v_ashrrev_i32_e32 v9, 31, v1
	v_add_co_u32_e32 v2, vcc, s10, v1
	v_sub_u32_e32 v1, 32, v10
	v_mov_b32_e32 v43, s11
	v_ldexp_f32 v1, v11, v1
	v_addc_co_u32_e32 v3, vcc, v43, v9, vcc
	v_bfe_u32 v9, v1, 16, 1
	v_add3_u32 v1, v1, v9, s20
	global_store_short_d16_hi v[2:3], v1, off
.LBB100_12:                             ;   in Loop: Header=BB100_8 Depth=1
	s_or_b64 exec, exec, s[6:7]
	v_mov_b32_e32 v1, s14
	v_add_co_u32_e32 v2, vcc, s12, v16
	v_addc_co_u32_e32 v3, vcc, v1, v17, vcc
	v_cmp_gt_i64_e32 vcc, s[8:9], v[2:3]
	s_and_saveexec_b64 s[6:7], vcc
	s_cbranch_execz .LBB100_7
; %bb.13:                               ;   in Loop: Header=BB100_8 Depth=1
	s_add_u32 s0, 0, 0xfef0e7
	s_addc_u32 s1, 0, 4
	s_add_i32 s1, s1, 0xff00fb
	s_mul_hi_u32 s25, s0, 0xfffffeff
	s_sub_i32 s25, s25, s0
	s_mul_i32 s26, s1, 0xfffffeff
	s_mul_i32 s22, s0, 0xfffffeff
	s_add_i32 s25, s25, s26
	s_mul_hi_u32 s23, s1, s22
	s_mul_i32 s24, s1, s22
	s_mul_i32 s27, s0, s25
	s_mul_hi_u32 s22, s0, s22
	s_mul_hi_u32 s26, s0, s25
	s_add_u32 s22, s22, s27
	s_addc_u32 s26, 0, s26
	s_add_u32 s22, s22, s24
	s_mul_hi_u32 s27, s1, s25
	s_addc_u32 s22, s26, s23
	s_addc_u32 s23, s27, 0
	s_mul_i32 s24, s1, s25
	s_add_u32 s22, s22, s24
	v_mov_b32_e32 v2, s22
	s_addc_u32 s23, 0, s23
	v_add_co_u32_e32 v10, vcc, s0, v2
	s_cmp_lg_u64 vcc, 0
	s_addc_u32 s22, s1, s23
	v_mad_u64_u32 v[2:3], s[0:1], v5, s22, 0
	v_mul_hi_u32 v11, v5, v10
	v_add_co_u32_e32 v13, vcc, v11, v2
	v_addc_co_u32_e32 v43, vcc, 0, v3, vcc
	v_mad_u64_u32 v[10:11], s[0:1], v4, v10, 0
	v_add_co_u32_e32 v10, vcc, v13, v10
	v_mad_u64_u32 v[2:3], s[0:1], v4, s22, 0
	v_addc_co_u32_e32 v10, vcc, v43, v11, vcc
	v_addc_co_u32_e32 v3, vcc, 0, v3, vcc
	v_add_co_u32_e32 v2, vcc, v10, v2
	v_addc_co_u32_e32 v11, vcc, 0, v3, vcc
	v_mad_u64_u32 v[2:3], s[0:1], v2, s18, 0
	v_mov_b32_e32 v10, v3
	v_mad_u64_u32 v[10:11], s[0:1], v11, s18, v[10:11]
	v_sub_co_u32_e32 v2, vcc, v5, v2
	v_subb_co_u32_e32 v3, vcc, v4, v10, vcc
	v_subrev_co_u32_e32 v4, vcc, s18, v2
	v_subbrev_co_u32_e32 v5, vcc, 0, v3, vcc
	v_subrev_co_u32_e32 v10, vcc, s18, v4
	v_subbrev_co_u32_e32 v11, vcc, 0, v5, vcc
	v_cmp_lt_u32_e32 vcc, s19, v4
	v_cndmask_b32_e64 v13, 0, -1, vcc
	v_cmp_eq_u32_e32 vcc, 0, v5
	v_cndmask_b32_e32 v13, -1, v13, vcc
	v_cmp_ne_u32_e32 vcc, 0, v13
	v_cmp_lt_u32_e64 s[0:1], s19, v2
	v_cndmask_b32_e32 v5, v5, v11, vcc
	v_cndmask_b32_e64 v11, 0, -1, s[0:1]
	v_cmp_eq_u32_e64 s[0:1], 0, v3
	v_cndmask_b32_e64 v11, -1, v11, s[0:1]
	v_cmp_ne_u32_e64 s[0:1], 0, v11
	v_cndmask_b32_e64 v3, v3, v5, s[0:1]
	v_cndmask_b32_e32 v4, v4, v10, vcc
	v_cndmask_b32_e64 v2, v2, v4, s[0:1]
	v_ffbh_u32_e32 v4, v3
	v_min_u32_e32 v4, 32, v4
	v_lshlrev_b64 v[2:3], v4, v[2:3]
	v_min_u32_e32 v2, 1, v2
	v_or_b32_e32 v2, v3, v2
	v_cvt_f32_u32_e32 v5, v2
	v_add_u32_e32 v1, s21, v40
	v_ashrrev_i32_e32 v9, 31, v1
	v_add_co_u32_e32 v2, vcc, s10, v1
	v_sub_u32_e32 v1, 32, v4
	v_ldexp_f32 v1, v5, v1
	v_mov_b32_e32 v12, s11
	v_bfe_u32 v4, v1, 16, 1
	v_addc_co_u32_e32 v3, vcc, v12, v9, vcc
	v_add3_u32 v1, v1, v4, s20
	global_store_short_d16_hi v[2:3], v1, off
	s_branch .LBB100_7
.LBB100_14:                             ;   in Loop: Header=BB100_8 Depth=1
	v_cmp_lt_i32_e32 vcc, 2, v18
	s_and_saveexec_b64 s[6:7], vcc
	s_xor_b64 s[6:7], exec, s[6:7]
; %bb.15:                               ;   in Loop: Header=BB100_8 Depth=1
	v_mov_b32_e32 v10, v5
	v_mov_b32_e32 v11, v6
	v_pk_mov_b32 v[2:3], v[10:11], v[10:11] op_sel:[0,1]
	v_pk_mov_b32 v[4:5], v[12:13], v[12:13] op_sel:[0,1]
                                        ; implicit-def: $vgpr12_vgpr13
; %bb.16:                               ;   in Loop: Header=BB100_8 Depth=1
	s_andn2_saveexec_b64 s[6:7], s[6:7]
; %bb.17:                               ;   in Loop: Header=BB100_8 Depth=1
	v_mov_b32_e32 v2, v4
	v_mov_b32_e32 v3, v5
	;; [unrolled: 1-line block ×4, first 2 shown]
; %bb.18:                               ;   in Loop: Header=BB100_8 Depth=1
	s_or_b64 exec, exec, s[6:7]
	s_andn2_saveexec_b64 s[0:1], s[0:1]
	s_cbranch_execz .LBB100_10
.LBB100_19:                             ;   in Loop: Header=BB100_8 Depth=1
	v_cmp_eq_u32_e32 vcc, 1, v18
	s_and_saveexec_b64 s[6:7], vcc
; %bb.20:                               ;   in Loop: Header=BB100_8 Depth=1
	v_mov_b32_e32 v2, v3
	v_mov_b32_e32 v3, v4
	;; [unrolled: 1-line block ×4, first 2 shown]
; %bb.21:                               ;   in Loop: Header=BB100_8 Depth=1
	s_or_b64 exec, exec, s[6:7]
	s_or_b64 exec, exec, s[0:1]
	v_cmp_gt_i64_e32 vcc, s[8:9], v[16:17]
	s_and_saveexec_b64 s[6:7], vcc
	s_cbranch_execnz .LBB100_11
	s_branch .LBB100_12
.LBB100_22:
	s_endpgm
.LBB100_23:
                                        ; implicit-def: $sgpr2_sgpr3
	s_andn2_b64 vcc, exec, s[0:1]
	s_cbranch_vccz .LBB100_4
	s_branch .LBB100_5
	.section	.rodata,"a",@progbits
	.p2align	6, 0x0
	.amdhsa_kernel _ZN2at6native12_GLOBAL__N_143distribution_elementwise_grid_stride_kernelImLi2EZZZNS0_9templates4cuda13random_kernelIPNS_17CUDAGeneratorImplEEEvRNS_18TensorIteratorBaseET_ENKUlvE_clEvENKUlvE7_clEvEUlP25hiprandStatePhilox4_32_10E_ZNS1_27distribution_nullary_kernelIN3c108BFloat16Em15HIP_vector_typeIyLj2EES7_SF_ZZZNS5_IS7_EEvS9_SA_ENKSB_clEvENKSC_clEvEUlmE_EEvS9_T2_RKT3_T4_EUlimE_EEvlNS_15PhiloxCudaStateET1_SM_
		.amdhsa_group_segment_fixed_size 0
		.amdhsa_private_segment_fixed_size 0
		.amdhsa_kernarg_size 320
		.amdhsa_user_sgpr_count 6
		.amdhsa_user_sgpr_private_segment_buffer 1
		.amdhsa_user_sgpr_dispatch_ptr 0
		.amdhsa_user_sgpr_queue_ptr 0
		.amdhsa_user_sgpr_kernarg_segment_ptr 1
		.amdhsa_user_sgpr_dispatch_id 0
		.amdhsa_user_sgpr_flat_scratch_init 0
		.amdhsa_user_sgpr_kernarg_preload_length 0
		.amdhsa_user_sgpr_kernarg_preload_offset 0
		.amdhsa_user_sgpr_private_segment_size 0
		.amdhsa_uses_dynamic_stack 0
		.amdhsa_system_sgpr_private_segment_wavefront_offset 0
		.amdhsa_system_sgpr_workgroup_id_x 1
		.amdhsa_system_sgpr_workgroup_id_y 0
		.amdhsa_system_sgpr_workgroup_id_z 0
		.amdhsa_system_sgpr_workgroup_info 0
		.amdhsa_system_vgpr_workitem_id 0
		.amdhsa_next_free_vgpr 46
		.amdhsa_next_free_sgpr 28
		.amdhsa_accum_offset 48
		.amdhsa_reserve_vcc 1
		.amdhsa_reserve_flat_scratch 0
		.amdhsa_float_round_mode_32 0
		.amdhsa_float_round_mode_16_64 0
		.amdhsa_float_denorm_mode_32 3
		.amdhsa_float_denorm_mode_16_64 3
		.amdhsa_dx10_clamp 1
		.amdhsa_ieee_mode 1
		.amdhsa_fp16_overflow 0
		.amdhsa_tg_split 0
		.amdhsa_exception_fp_ieee_invalid_op 0
		.amdhsa_exception_fp_denorm_src 0
		.amdhsa_exception_fp_ieee_div_zero 0
		.amdhsa_exception_fp_ieee_overflow 0
		.amdhsa_exception_fp_ieee_underflow 0
		.amdhsa_exception_fp_ieee_inexact 0
		.amdhsa_exception_int_div_zero 0
	.end_amdhsa_kernel
	.section	.text._ZN2at6native12_GLOBAL__N_143distribution_elementwise_grid_stride_kernelImLi2EZZZNS0_9templates4cuda13random_kernelIPNS_17CUDAGeneratorImplEEEvRNS_18TensorIteratorBaseET_ENKUlvE_clEvENKUlvE7_clEvEUlP25hiprandStatePhilox4_32_10E_ZNS1_27distribution_nullary_kernelIN3c108BFloat16Em15HIP_vector_typeIyLj2EES7_SF_ZZZNS5_IS7_EEvS9_SA_ENKSB_clEvENKSC_clEvEUlmE_EEvS9_T2_RKT3_T4_EUlimE_EEvlNS_15PhiloxCudaStateET1_SM_,"axG",@progbits,_ZN2at6native12_GLOBAL__N_143distribution_elementwise_grid_stride_kernelImLi2EZZZNS0_9templates4cuda13random_kernelIPNS_17CUDAGeneratorImplEEEvRNS_18TensorIteratorBaseET_ENKUlvE_clEvENKUlvE7_clEvEUlP25hiprandStatePhilox4_32_10E_ZNS1_27distribution_nullary_kernelIN3c108BFloat16Em15HIP_vector_typeIyLj2EES7_SF_ZZZNS5_IS7_EEvS9_SA_ENKSB_clEvENKSC_clEvEUlmE_EEvS9_T2_RKT3_T4_EUlimE_EEvlNS_15PhiloxCudaStateET1_SM_,comdat
.Lfunc_end100:
	.size	_ZN2at6native12_GLOBAL__N_143distribution_elementwise_grid_stride_kernelImLi2EZZZNS0_9templates4cuda13random_kernelIPNS_17CUDAGeneratorImplEEEvRNS_18TensorIteratorBaseET_ENKUlvE_clEvENKUlvE7_clEvEUlP25hiprandStatePhilox4_32_10E_ZNS1_27distribution_nullary_kernelIN3c108BFloat16Em15HIP_vector_typeIyLj2EES7_SF_ZZZNS5_IS7_EEvS9_SA_ENKSB_clEvENKSC_clEvEUlmE_EEvS9_T2_RKT3_T4_EUlimE_EEvlNS_15PhiloxCudaStateET1_SM_, .Lfunc_end100-_ZN2at6native12_GLOBAL__N_143distribution_elementwise_grid_stride_kernelImLi2EZZZNS0_9templates4cuda13random_kernelIPNS_17CUDAGeneratorImplEEEvRNS_18TensorIteratorBaseET_ENKUlvE_clEvENKUlvE7_clEvEUlP25hiprandStatePhilox4_32_10E_ZNS1_27distribution_nullary_kernelIN3c108BFloat16Em15HIP_vector_typeIyLj2EES7_SF_ZZZNS5_IS7_EEvS9_SA_ENKSB_clEvENKSC_clEvEUlmE_EEvS9_T2_RKT3_T4_EUlimE_EEvlNS_15PhiloxCudaStateET1_SM_
                                        ; -- End function
	.section	.AMDGPU.csdata,"",@progbits
; Kernel info:
; codeLenInByte = 2916
; NumSgprs: 32
; NumVgprs: 46
; NumAgprs: 0
; TotalNumVgprs: 46
; ScratchSize: 0
; MemoryBound: 0
; FloatMode: 240
; IeeeMode: 1
; LDSByteSize: 0 bytes/workgroup (compile time only)
; SGPRBlocks: 3
; VGPRBlocks: 5
; NumSGPRsForWavesPerEU: 32
; NumVGPRsForWavesPerEU: 46
; AccumOffset: 48
; Occupancy: 8
; WaveLimiterHint : 0
; COMPUTE_PGM_RSRC2:SCRATCH_EN: 0
; COMPUTE_PGM_RSRC2:USER_SGPR: 6
; COMPUTE_PGM_RSRC2:TRAP_HANDLER: 0
; COMPUTE_PGM_RSRC2:TGID_X_EN: 1
; COMPUTE_PGM_RSRC2:TGID_Y_EN: 0
; COMPUTE_PGM_RSRC2:TGID_Z_EN: 0
; COMPUTE_PGM_RSRC2:TIDIG_COMP_CNT: 0
; COMPUTE_PGM_RSRC3_GFX90A:ACCUM_OFFSET: 11
; COMPUTE_PGM_RSRC3_GFX90A:TG_SPLIT: 0
	.section	.text._ZN2at6native12_GLOBAL__N_143distribution_elementwise_grid_stride_kernelImLi2EZZZNS0_9templates4cuda13random_kernelIPNS_17CUDAGeneratorImplEEEvRNS_18TensorIteratorBaseET_ENKUlvE_clEvENKUlvE7_clEvEUlP25hiprandStatePhilox4_32_10E_ZNS1_27distribution_nullary_kernelIN3c108BFloat16Em15HIP_vector_typeIyLj2EES7_SF_ZZZNS5_IS7_EEvS9_SA_ENKSB_clEvENKSC_clEvEUlmE_EEvS9_T2_RKT3_T4_EUlimE0_EEvlNS_15PhiloxCudaStateET1_SM_,"axG",@progbits,_ZN2at6native12_GLOBAL__N_143distribution_elementwise_grid_stride_kernelImLi2EZZZNS0_9templates4cuda13random_kernelIPNS_17CUDAGeneratorImplEEEvRNS_18TensorIteratorBaseET_ENKUlvE_clEvENKUlvE7_clEvEUlP25hiprandStatePhilox4_32_10E_ZNS1_27distribution_nullary_kernelIN3c108BFloat16Em15HIP_vector_typeIyLj2EES7_SF_ZZZNS5_IS7_EEvS9_SA_ENKSB_clEvENKSC_clEvEUlmE_EEvS9_T2_RKT3_T4_EUlimE0_EEvlNS_15PhiloxCudaStateET1_SM_,comdat
	.globl	_ZN2at6native12_GLOBAL__N_143distribution_elementwise_grid_stride_kernelImLi2EZZZNS0_9templates4cuda13random_kernelIPNS_17CUDAGeneratorImplEEEvRNS_18TensorIteratorBaseET_ENKUlvE_clEvENKUlvE7_clEvEUlP25hiprandStatePhilox4_32_10E_ZNS1_27distribution_nullary_kernelIN3c108BFloat16Em15HIP_vector_typeIyLj2EES7_SF_ZZZNS5_IS7_EEvS9_SA_ENKSB_clEvENKSC_clEvEUlmE_EEvS9_T2_RKT3_T4_EUlimE0_EEvlNS_15PhiloxCudaStateET1_SM_ ; -- Begin function _ZN2at6native12_GLOBAL__N_143distribution_elementwise_grid_stride_kernelImLi2EZZZNS0_9templates4cuda13random_kernelIPNS_17CUDAGeneratorImplEEEvRNS_18TensorIteratorBaseET_ENKUlvE_clEvENKUlvE7_clEvEUlP25hiprandStatePhilox4_32_10E_ZNS1_27distribution_nullary_kernelIN3c108BFloat16Em15HIP_vector_typeIyLj2EES7_SF_ZZZNS5_IS7_EEvS9_SA_ENKSB_clEvENKSC_clEvEUlmE_EEvS9_T2_RKT3_T4_EUlimE0_EEvlNS_15PhiloxCudaStateET1_SM_
	.p2align	8
	.type	_ZN2at6native12_GLOBAL__N_143distribution_elementwise_grid_stride_kernelImLi2EZZZNS0_9templates4cuda13random_kernelIPNS_17CUDAGeneratorImplEEEvRNS_18TensorIteratorBaseET_ENKUlvE_clEvENKUlvE7_clEvEUlP25hiprandStatePhilox4_32_10E_ZNS1_27distribution_nullary_kernelIN3c108BFloat16Em15HIP_vector_typeIyLj2EES7_SF_ZZZNS5_IS7_EEvS9_SA_ENKSB_clEvENKSC_clEvEUlmE_EEvS9_T2_RKT3_T4_EUlimE0_EEvlNS_15PhiloxCudaStateET1_SM_,@function
_ZN2at6native12_GLOBAL__N_143distribution_elementwise_grid_stride_kernelImLi2EZZZNS0_9templates4cuda13random_kernelIPNS_17CUDAGeneratorImplEEEvRNS_18TensorIteratorBaseET_ENKUlvE_clEvENKUlvE7_clEvEUlP25hiprandStatePhilox4_32_10E_ZNS1_27distribution_nullary_kernelIN3c108BFloat16Em15HIP_vector_typeIyLj2EES7_SF_ZZZNS5_IS7_EEvS9_SA_ENKSB_clEvENKSC_clEvEUlmE_EEvS9_T2_RKT3_T4_EUlimE0_EEvlNS_15PhiloxCudaStateET1_SM_: ; @_ZN2at6native12_GLOBAL__N_143distribution_elementwise_grid_stride_kernelImLi2EZZZNS0_9templates4cuda13random_kernelIPNS_17CUDAGeneratorImplEEEvRNS_18TensorIteratorBaseET_ENKUlvE_clEvENKUlvE7_clEvEUlP25hiprandStatePhilox4_32_10E_ZNS1_27distribution_nullary_kernelIN3c108BFloat16Em15HIP_vector_typeIyLj2EES7_SF_ZZZNS5_IS7_EEvS9_SA_ENKSB_clEvENKSC_clEvEUlmE_EEvS9_T2_RKT3_T4_EUlimE0_EEvlNS_15PhiloxCudaStateET1_SM_
; %bb.0:
	s_load_dword s2, s[4:5], 0x20
	s_load_dwordx2 s[0:1], s[4:5], 0x10
	s_load_dwordx4 s[24:27], s[4:5], 0x0
	s_waitcnt lgkmcnt(0)
	s_bitcmp0_b32 s2, 0
	s_mov_b32 s2, 0
	v_pk_mov_b32 v[2:3], s[0:1], s[0:1] op_sel:[0,1]
	v_pk_mov_b32 v[12:13], s[26:27], s[26:27] op_sel:[0,1]
	s_cbranch_scc1 .LBB101_2
; %bb.1:
	v_pk_mov_b32 v[2:3], s[0:1], s[0:1] op_sel:[0,1]
	flat_load_dwordx2 v[2:3], v[2:3]
	v_pk_mov_b32 v[4:5], s[26:27], s[26:27] op_sel:[0,1]
	flat_load_dwordx2 v[12:13], v[4:5]
	s_load_dwordx2 s[0:1], s[4:5], 0x18
	s_waitcnt lgkmcnt(0)
	v_mov_b32_e32 v1, s1
	s_waitcnt vmcnt(0)
	v_add_co_u32_e32 v2, vcc, s0, v2
	v_addc_co_u32_e32 v3, vcc, v3, v1, vcc
.LBB101_2:
	s_load_dword s0, s[4:5], 0x154
	s_load_dword s7, s[4:5], 0x148
	s_waitcnt lgkmcnt(0)
	s_and_b32 s8, s0, 0xffff
	s_add_u32 s9, s24, -1
	s_mul_i32 s33, s7, s8
	s_addc_u32 s3, s25, -1
	s_lshl_b32 s58, s33, 1
	s_cmp_lg_u64 s[2:3], 0
	s_mov_b64 s[0:1], -1
	s_cbranch_scc0 .LBB101_51
; %bb.3:
	v_cvt_f32_u32_e32 v1, s58
	v_cvt_f32_ubyte0_e32 v4, 0
	s_sub_u32 s2, 0, s58
	s_subb_u32 s10, 0, 0
	v_madmk_f32 v1, v4, 0x4f800000, v1
	v_rcp_f32_e32 v1, v1
	v_mul_f32_e32 v1, 0x5f7ffffc, v1
	v_mul_f32_e32 v4, 0x2f800000, v1
	v_trunc_f32_e32 v4, v4
	v_madmk_f32 v1, v4, 0xcf800000, v1
	v_cvt_u32_f32_e32 v4, v4
	v_cvt_u32_f32_e32 v1, v1
	v_readfirstlane_b32 s11, v4
	v_readfirstlane_b32 s12, v1
	s_mul_i32 s13, s2, s11
	s_mul_hi_u32 s15, s2, s12
	s_mul_i32 s14, s10, s12
	s_add_i32 s13, s15, s13
	s_add_i32 s13, s13, s14
	s_mul_i32 s16, s2, s12
	s_mul_hi_u32 s14, s12, s13
	s_mul_i32 s15, s12, s13
	s_mul_hi_u32 s12, s12, s16
	s_add_u32 s12, s12, s15
	s_addc_u32 s14, 0, s14
	s_mul_hi_u32 s17, s11, s16
	s_mul_i32 s16, s11, s16
	s_add_u32 s12, s12, s16
	s_mul_hi_u32 s15, s11, s13
	s_addc_u32 s12, s14, s17
	s_addc_u32 s14, s15, 0
	s_mul_i32 s13, s11, s13
	s_add_u32 s12, s12, s13
	s_addc_u32 s13, 0, s14
	v_add_co_u32_e32 v1, vcc, s12, v1
	s_cmp_lg_u64 vcc, 0
	s_addc_u32 s11, s11, s13
	v_readfirstlane_b32 s13, v1
	s_mul_i32 s12, s2, s11
	s_mul_hi_u32 s14, s2, s13
	s_add_i32 s12, s14, s12
	s_mul_i32 s10, s10, s13
	s_add_i32 s12, s12, s10
	s_mul_i32 s2, s2, s13
	s_mul_hi_u32 s14, s11, s2
	s_mul_i32 s15, s11, s2
	s_mul_i32 s17, s13, s12
	s_mul_hi_u32 s2, s13, s2
	s_mul_hi_u32 s16, s13, s12
	s_add_u32 s2, s2, s17
	s_addc_u32 s13, 0, s16
	s_add_u32 s2, s2, s15
	s_mul_hi_u32 s10, s11, s12
	s_addc_u32 s2, s13, s14
	s_addc_u32 s10, s10, 0
	s_mul_i32 s12, s11, s12
	s_add_u32 s2, s2, s12
	s_addc_u32 s10, 0, s10
	v_add_co_u32_e32 v1, vcc, s2, v1
	s_cmp_lg_u64 vcc, 0
	s_addc_u32 s12, s11, s10
	s_ashr_i32 s10, s3, 31
	s_add_u32 s2, s9, s10
	s_mov_b32 s11, s10
	s_addc_u32 s3, s3, s10
	s_xor_b64 s[2:3], s[2:3], s[10:11]
	v_readfirstlane_b32 s15, v1
	s_mul_i32 s14, s2, s12
	s_mul_hi_u32 s16, s2, s15
	s_mul_hi_u32 s13, s2, s12
	s_add_u32 s14, s16, s14
	s_addc_u32 s13, 0, s13
	s_mul_hi_u32 s17, s3, s15
	s_mul_i32 s15, s3, s15
	s_add_u32 s14, s14, s15
	s_mul_hi_u32 s16, s3, s12
	s_addc_u32 s13, s13, s17
	s_addc_u32 s14, s16, 0
	s_mul_i32 s12, s3, s12
	s_add_u32 s12, s13, s12
	s_addc_u32 s13, 0, s14
	s_add_u32 s14, s12, 1
	s_addc_u32 s15, s13, 0
	s_add_u32 s16, s12, 2
	s_mul_i32 s18, s58, s13
	s_mul_hi_u32 s19, s58, s12
	s_addc_u32 s17, s13, 0
	s_add_i32 s19, s19, s18
	s_mul_i32 s18, s58, s12
	v_mov_b32_e32 v1, s18
	v_sub_co_u32_e32 v1, vcc, s2, v1
	s_cmp_lg_u64 vcc, 0
	s_subb_u32 s2, s3, s19
	v_subrev_co_u32_e32 v4, vcc, s58, v1
	s_cmp_lg_u64 vcc, 0
	s_subb_u32 s3, s2, 0
	v_readfirstlane_b32 s18, v4
	s_cmp_ge_u32 s18, s58
	s_cselect_b32 s18, -1, 0
	s_cmp_eq_u32 s3, 0
	s_cselect_b32 s3, s18, -1
	s_cmp_lg_u32 s3, 0
	s_cselect_b32 s3, s17, s15
	v_readfirstlane_b32 s15, v1
	s_cselect_b32 s14, s16, s14
	s_cmp_ge_u32 s15, s58
	s_cselect_b32 s15, -1, 0
	s_cmp_eq_u32 s2, 0
	s_cselect_b32 s2, s15, -1
	s_cmp_lg_u32 s2, 0
	s_cselect_b32 s3, s3, s13
	s_cselect_b32 s2, s14, s12
	s_xor_b64 s[2:3], s[2:3], s[10:11]
	s_sub_u32 s2, s2, s10
	s_subb_u32 s3, s3, s10
	s_cbranch_execnz .LBB101_5
.LBB101_4:
	v_cvt_f32_u32_e32 v1, s58
	s_sub_i32 s0, 0, s58
	s_mov_b32 s3, 0
	v_rcp_iflag_f32_e32 v1, v1
	v_mul_f32_e32 v1, 0x4f7ffffe, v1
	v_cvt_u32_f32_e32 v1, v1
	v_readfirstlane_b32 s1, v1
	s_mul_i32 s0, s0, s1
	s_mul_hi_u32 s0, s1, s0
	s_add_i32 s1, s1, s0
	s_mul_hi_u32 s0, s9, s1
	s_mul_i32 s2, s0, s58
	s_sub_i32 s2, s9, s2
	s_add_i32 s1, s0, 1
	s_sub_i32 s9, s2, s58
	s_cmp_ge_u32 s2, s58
	s_cselect_b32 s0, s1, s0
	s_cselect_b32 s2, s9, s2
	s_add_i32 s1, s0, 1
	s_cmp_ge_u32 s2, s58
	s_cselect_b32 s2, s1, s0
.LBB101_5:
	v_mov_b32_e32 v1, 0
	v_mov_b32_e32 v4, s6
	v_mad_u64_u32 v[14:15], s[0:1], s8, v4, v[0:1]
	s_add_u32 s0, s2, 1
	s_addc_u32 s1, s3, 0
	s_mul_hi_u32 s2, s7, s8
	s_mul_i32 s1, s33, s1
	s_mul_hi_u32 s3, s33, s0
	s_add_i32 s1, s3, s1
	s_mul_i32 s2, s2, s0
	s_add_i32 s1, s1, s2
	s_mul_i32 s0, s33, s0
	s_lshl_b64 s[26:27], s[0:1], 1
	v_cmp_gt_i64_e32 vcc, s[26:27], v[14:15]
	s_and_saveexec_b64 s[0:1], vcc
	s_cbranch_execz .LBB101_50
; %bb.6:
	s_mov_b32 s0, 0x5384540f
	v_mov_b32_e32 v0, v13
	v_add_co_u32_e32 v22, vcc, s0, v12
	s_mov_b32 s0, 0x646e171e
	v_add_co_u32_e32 v23, vcc, s0, v0
	s_mov_b32 s0, 0x1715609d
	;; [unrolled: 2-line block ×6, first 2 shown]
	v_alignbit_b32 v29, v3, v2, 2
	s_mov_b32 s60, 0xd2511f53
	v_add_co_u32_e32 v28, vcc, s0, v12
	v_mad_u64_u32 v[4:5], s[0:1], v29, s60, 0
	v_xor_b32_e32 v1, v5, v13
	v_xor_b32_e32 v1, v1, v15
	s_mov_b32 s61, 0xcd9e8d57
	v_mad_u64_u32 v[6:7], s[0:1], v1, s61, 0
	v_xor_b32_e32 v1, v28, v7
	v_mad_u64_u32 v[8:9], s[0:1], v14, s61, 0
	v_and_b32_e32 v18, 3, v2
	v_xor_b32_e32 v1, v1, v8
	v_xor_b32_e32 v2, v12, v9
	v_lshrrev_b32_e32 v30, 2, v3
	v_mad_u64_u32 v[10:11], s[0:1], v1, s60, 0
	v_xor_b32_e32 v2, v2, v30
	v_xor_b32_e32 v1, v27, v11
	v_mad_u64_u32 v[2:3], s[0:1], v2, s60, 0
	v_xor_b32_e32 v1, v1, v2
	v_mad_u64_u32 v[8:9], s[0:1], v1, s61, 0
	s_mov_b32 s0, 0xbb67ae85
	v_add_co_u32_e32 v31, vcc, s0, v0
	v_xor_b32_e32 v2, v31, v3
	v_xor_b32_e32 v2, v2, v4
	v_xor_b32_e32 v1, v26, v9
	v_mad_u64_u32 v[2:3], s[0:1], v2, s61, 0
	v_xor_b32_e32 v1, v1, v2
	v_mad_u64_u32 v[4:5], s[0:1], v1, s60, 0
	s_mov_b32 s0, 0x3c6ef372
	v_add_co_u32_e32 v32, vcc, s0, v12
	v_xor_b32_e32 v2, v32, v3
	;; [unrolled: 8-line block ×6, first 2 shown]
	v_add_co_u32_e32 v21, vcc, 0xdb3d7428, v0
	v_xor_b32_e32 v2, v2, v6
	v_xor_b32_e32 v1, v21, v5
	v_mad_u64_u32 v[2:3], s[0:1], v2, s60, 0
	v_xor_b32_e32 v1, v1, v2
	v_mad_u64_u32 v[6:7], s[0:1], v1, s61, 0
	s_mov_b32 s0, 0x1fd5c5a3
	v_add_co_u32_e32 v37, vcc, s0, v0
	v_xor_b32_e32 v0, v37, v3
	v_xor_b32_e32 v0, v0, v10
	v_mad_u64_u32 v[0:1], s[0:1], v0, s61, 0
	s_mov_b32 s0, 0xf1bbcdc8
	s_load_dwordx8 s[8:15], s[4:5], 0x30
	v_add_co_u32_e32 v38, vcc, s0, v12
	v_xor_b32_e32 v1, v38, v1
	v_xor_b32_e32 v1, v1, v8
	s_add_u32 s34, s4, 48
	v_mad_u64_u32 v[8:9], s[0:1], v1, s60, 0
	s_addc_u32 s35, s5, 0
	s_waitcnt lgkmcnt(0)
	s_add_i32 s0, s8, -1
	s_cmp_gt_u32 s0, 1
	s_cselect_b64 s[36:37], -1, 0
	s_cmp_lg_u32 s8, 0
	s_cselect_b64 s[38:39], -1, 0
	s_add_u32 s40, s4, 0xf4
	s_addc_u32 s41, s5, 0
	s_min_u32 s1, s0, 15
	s_cmp_gt_u32 s8, 1
	s_cselect_b64 s[42:43], -1, 0
	s_add_i32 s1, s1, 1
	s_mov_b32 s8, s13
	s_load_dwordx2 s[44:45], s[4:5], 0xf4
	s_load_dwordx2 s[46:47], s[4:5], 0x138
	s_and_b32 s13, s1, 3
	s_cmp_lg_u32 s0, 2
	s_cselect_b64 s[48:49], -1, 0
	s_and_b32 s15, s1, 28
	v_add_u32_e32 v19, 0x8ff34781, v12
	v_add_u32_e32 v20, 0x96a522ad, v13
	v_xor_b32_e32 v0, v7, v0
	v_xor_b32_e32 v1, v9, v4
	s_cmp_lg_u32 s13, 0
	s_mov_b32 s59, 0
	v_xor_b32_e32 v0, v19, v0
	v_xor_b32_e32 v2, v20, v1
	v_mov_b32_e32 v1, v6
	v_mov_b32_e32 v3, v8
	s_mov_b64 s[50:51], 0
	s_cselect_b64 s[52:53], -1, 0
	s_movk_i32 s62, 0x101
	s_movk_i32 s63, 0x100
	;; [unrolled: 1-line block ×3, first 2 shown]
	v_mov_b32_e32 v39, v14
	v_mov_b32_e32 v40, v15
	s_branch .LBB101_9
.LBB101_7:                              ;   in Loop: Header=BB101_9 Depth=1
	s_add_u32 s0, 0, 0xfef0e7
	s_addc_u32 s1, 0, 4
	s_add_i32 s1, s1, 0xff00fb
	s_mul_hi_u32 s5, s0, 0xfffffeff
	s_sub_i32 s5, s5, s0
	s_mul_i32 s6, s1, 0xfffffeff
	s_mul_i32 s2, s0, 0xfffffeff
	s_add_i32 s5, s5, s6
	s_mul_hi_u32 s3, s1, s2
	s_mul_i32 s4, s1, s2
	s_mul_i32 s7, s0, s5
	s_mul_hi_u32 s2, s0, s2
	s_mul_hi_u32 s6, s0, s5
	s_add_u32 s2, s2, s7
	s_addc_u32 s6, 0, s6
	s_add_u32 s2, s2, s4
	s_mul_hi_u32 s7, s1, s5
	s_addc_u32 s2, s6, s3
	s_addc_u32 s3, s7, 0
	s_mul_i32 s4, s1, s5
	s_add_u32 s2, s2, s4
	v_mov_b32_e32 v1, s2
	s_addc_u32 s3, 0, s3
	v_add_co_u32_e32 v1, vcc, s0, v1
	s_cmp_lg_u64 vcc, 0
	s_addc_u32 s2, s1, s3
	v_mad_u64_u32 v[8:9], s[0:1], v3, s2, 0
	v_mul_hi_u32 v7, v3, v1
	v_add_co_u32_e32 v7, vcc, v7, v8
	v_addc_co_u32_e32 v17, vcc, 0, v9, vcc
	v_mad_u64_u32 v[10:11], s[0:1], v2, v1, 0
	v_add_co_u32_e32 v1, vcc, v7, v10
	v_mad_u64_u32 v[8:9], s[0:1], v2, s2, 0
	v_addc_co_u32_e32 v1, vcc, v17, v11, vcc
	v_addc_co_u32_e32 v7, vcc, 0, v9, vcc
	v_add_co_u32_e32 v1, vcc, v1, v8
	v_mad_u64_u32 v[8:9], s[0:1], v1, s62, 0
	v_addc_co_u32_e32 v7, vcc, 0, v7, vcc
	v_mov_b32_e32 v10, v9
	v_mad_u64_u32 v[10:11], s[0:1], v7, s62, v[10:11]
	v_sub_co_u32_e32 v1, vcc, v3, v8
	v_subb_co_u32_e32 v2, vcc, v2, v10, vcc
	v_subrev_co_u32_e32 v7, vcc, s62, v1
	v_subbrev_co_u32_e32 v3, vcc, 0, v2, vcc
	v_subrev_co_u32_e32 v8, vcc, s62, v7
	v_subbrev_co_u32_e32 v9, vcc, 0, v3, vcc
	v_cmp_lt_u32_e32 vcc, s63, v7
	v_cndmask_b32_e64 v10, 0, -1, vcc
	v_cmp_eq_u32_e32 vcc, 0, v3
	v_cndmask_b32_e32 v10, -1, v10, vcc
	v_cmp_ne_u32_e32 vcc, 0, v10
	v_cmp_lt_u32_e64 s[0:1], s63, v1
	v_cndmask_b32_e32 v3, v3, v9, vcc
	v_cndmask_b32_e64 v9, 0, -1, s[0:1]
	v_cmp_eq_u32_e64 s[0:1], 0, v2
	v_cndmask_b32_e64 v9, -1, v9, s[0:1]
	v_cmp_ne_u32_e64 s[0:1], 0, v9
	v_cndmask_b32_e64 v3, v2, v3, s[0:1]
	v_cndmask_b32_e32 v2, v7, v8, vcc
	v_cndmask_b32_e64 v2, v1, v2, s[0:1]
	v_ffbh_u32_e32 v1, v3
	v_min_u32_e32 v1, 32, v1
	v_lshlrev_b64 v[2:3], v1, v[2:3]
	v_min_u32_e32 v2, 1, v2
	v_or_b32_e32 v2, v3, v2
	v_cvt_f32_u32_e32 v2, v2
	v_sub_u32_e32 v1, 32, v1
	v_ldexp_f32 v1, v2, v1
	v_bfe_u32 v2, v1, 16, 1
	v_add3_u32 v1, v1, v2, s64
	s_waitcnt lgkmcnt(0)
	global_store_short_d16_hi v0, v1, s[46:47]
.LBB101_8:                              ;   in Loop: Header=BB101_9 Depth=1
	s_or_b64 exec, exec, s[28:29]
	v_add_co_u32_e32 v14, vcc, s58, v14
	v_addc_co_u32_e32 v15, vcc, 0, v15, vcc
	v_mov_b32_e32 v7, v16
	v_cmp_le_i64_e32 vcc, s[26:27], v[14:15]
	v_pk_mov_b32 v[0:1], v[4:5], v[4:5] op_sel:[0,1]
	s_or_b64 s[50:51], vcc, s[50:51]
	v_pk_mov_b32 v[2:3], v[6:7], v[6:7] op_sel:[0,1]
	s_waitcnt lgkmcnt(0)
	s_barrier
	s_andn2_b64 exec, exec, s[50:51]
	s_cbranch_execz .LBB101_50
.LBB101_9:                              ; =>This Loop Header: Depth=1
                                        ;     Child Loop BB101_24 Depth 2
                                        ;     Child Loop BB101_30 Depth 2
	;; [unrolled: 1-line block ×4, first 2 shown]
	v_add_co_u32_e32 v29, vcc, 1, v29
	v_cndmask_b32_e64 v4, 0, 1, vcc
	v_addc_co_u32_e32 v30, vcc, 0, v30, vcc
	v_cmp_eq_u32_e32 vcc, 0, v30
	v_cndmask_b32_e32 v4, 0, v4, vcc
	v_add_u32_e32 v39, v4, v39
	v_cmp_eq_u32_e32 vcc, 0, v39
	v_cndmask_b32_e32 v4, 0, v4, vcc
	v_add_u32_e32 v40, v4, v40
	v_mad_u64_u32 v[4:5], s[0:1], v29, s60, 0
	v_mad_u64_u32 v[6:7], s[0:1], v39, s61, 0
	v_xor_b32_e32 v5, v5, v13
	v_xor_b32_e32 v7, v7, v12
	v_xor_b32_e32 v5, v40, v5
	v_xor_b32_e32 v7, v30, v7
	v_mad_u64_u32 v[10:11], s[0:1], v5, s61, 0
	v_mad_u64_u32 v[8:9], s[0:1], v7, s60, 0
	v_xor_b32_e32 v5, v28, v11
	v_xor_b32_e32 v5, v5, v6
	v_xor_b32_e32 v6, v31, v9
	v_xor_b32_e32 v6, v6, v4
	;; [unrolled: 6-line block ×10, first 2 shown]
	v_mov_b32_e32 v5, v10
	v_mov_b32_e32 v6, v11
	v_cmp_lt_i32_e32 vcc, 1, v18
	s_and_saveexec_b64 s[0:1], vcc
	s_xor_b64 s[0:1], exec, s[0:1]
	s_cbranch_execz .LBB101_15
; %bb.10:                               ;   in Loop: Header=BB101_9 Depth=1
	v_cmp_lt_i32_e32 vcc, 2, v18
	s_and_saveexec_b64 s[2:3], vcc
	s_xor_b64 s[2:3], exec, s[2:3]
; %bb.11:                               ;   in Loop: Header=BB101_9 Depth=1
	v_mov_b32_e32 v8, v3
	v_mov_b32_e32 v9, v4
	v_pk_mov_b32 v[0:1], v[8:9], v[8:9] op_sel:[0,1]
	v_pk_mov_b32 v[2:3], v[10:11], v[10:11] op_sel:[0,1]
                                        ; implicit-def: $vgpr10_vgpr11
; %bb.12:                               ;   in Loop: Header=BB101_9 Depth=1
	s_andn2_saveexec_b64 s[2:3], s[2:3]
; %bb.13:                               ;   in Loop: Header=BB101_9 Depth=1
	v_mov_b32_e32 v0, v2
	v_mov_b32_e32 v1, v3
	;; [unrolled: 1-line block ×4, first 2 shown]
; %bb.14:                               ;   in Loop: Header=BB101_9 Depth=1
	s_or_b64 exec, exec, s[2:3]
.LBB101_15:                             ;   in Loop: Header=BB101_9 Depth=1
	s_andn2_saveexec_b64 s[0:1], s[0:1]
	s_cbranch_execz .LBB101_19
; %bb.16:                               ;   in Loop: Header=BB101_9 Depth=1
	v_cmp_eq_u32_e32 vcc, 1, v18
	s_and_saveexec_b64 s[2:3], vcc
; %bb.17:                               ;   in Loop: Header=BB101_9 Depth=1
	v_mov_b32_e32 v0, v1
	v_mov_b32_e32 v1, v2
	;; [unrolled: 1-line block ×4, first 2 shown]
; %bb.18:                               ;   in Loop: Header=BB101_9 Depth=1
	s_or_b64 exec, exec, s[2:3]
.LBB101_19:                             ;   in Loop: Header=BB101_9 Depth=1
	s_or_b64 exec, exec, s[0:1]
	v_cndmask_b32_e64 v7, 0, 1, s[36:37]
	v_cmp_gt_i64_e32 vcc, s[24:25], v[14:15]
	v_cmp_ne_u32_e64 s[0:1], 1, v7
	s_and_saveexec_b64 s[54:55], vcc
	s_cbranch_execz .LBB101_35
; %bb.20:                               ;   in Loop: Header=BB101_9 Depth=1
	s_and_b64 vcc, exec, s[0:1]
	s_cbranch_vccnz .LBB101_26
; %bb.21:                               ;   in Loop: Header=BB101_9 Depth=1
	s_andn2_b64 vcc, exec, s[38:39]
	s_cbranch_vccnz .LBB101_27
; %bb.22:                               ;   in Loop: Header=BB101_9 Depth=1
	s_mov_b32 s4, 0
	s_andn2_b64 vcc, exec, s[48:49]
	v_mov_b32_e32 v8, 0
	s_cbranch_vccnz .LBB101_28
; %bb.23:                               ;   in Loop: Header=BB101_9 Depth=1
	s_mov_b32 s65, 0
	v_mov_b32_e32 v8, 0
	s_mov_b64 s[2:3], s[34:35]
	s_mov_b64 s[56:57], s[40:41]
	v_mov_b32_e32 v7, v14
.LBB101_24:                             ;   Parent Loop BB101_9 Depth=1
                                        ; =>  This Inner Loop Header: Depth=2
	s_load_dwordx8 s[16:23], s[2:3], 0x4
	s_load_dwordx4 s[4:7], s[2:3], 0x24
	s_load_dwordx4 s[28:31], s[56:57], 0x0
	s_add_u32 s2, s2, 48
	s_addc_u32 s3, s3, 0
	s_waitcnt lgkmcnt(0)
	v_mul_hi_u32 v9, s17, v7
	v_add_u32_e32 v9, v7, v9
	v_lshrrev_b32_e32 v9, s18, v9
	v_mul_lo_u32 v10, v9, s16
	v_mul_hi_u32 v11, s20, v9
	v_sub_u32_e32 v7, v7, v10
	v_add_u32_e32 v10, v9, v11
	v_lshrrev_b32_e32 v10, s21, v10
	v_mul_lo_u32 v11, v10, s19
	v_mul_hi_u32 v17, s23, v10
	v_sub_u32_e32 v9, v9, v11
	v_add_u32_e32 v11, v10, v17
	v_mul_lo_u32 v7, v7, s28
	v_mul_lo_u32 v9, v9, s29
	v_lshrrev_b32_e32 v11, s4, v11
	v_add3_u32 v8, v7, v8, v9
	v_mul_lo_u32 v7, v11, s22
	v_mul_hi_u32 v9, s6, v11
	v_sub_u32_e32 v7, v10, v7
	v_add_u32_e32 v9, v11, v9
	v_mul_lo_u32 v10, v7, s30
	v_lshrrev_b32_e32 v7, s7, v9
	s_add_i32 s65, s65, 4
	v_mul_lo_u32 v9, v7, s5
	s_add_u32 s56, s56, 16
	v_sub_u32_e32 v9, v11, v9
	s_addc_u32 s57, s57, 0
	v_mul_lo_u32 v9, v9, s31
	s_cmp_lg_u32 s15, s65
	v_add3_u32 v8, v10, v8, v9
	s_cbranch_scc1 .LBB101_24
; %bb.25:                               ;   in Loop: Header=BB101_9 Depth=1
	s_mov_b32 s4, s15
	s_andn2_b64 vcc, exec, s[52:53]
	s_cbranch_vccz .LBB101_29
	s_branch .LBB101_31
.LBB101_26:                             ;   in Loop: Header=BB101_9 Depth=1
                                        ; implicit-def: $vgpr8
	s_branch .LBB101_32
.LBB101_27:                             ;   in Loop: Header=BB101_9 Depth=1
	v_mov_b32_e32 v8, 0
	s_branch .LBB101_31
.LBB101_28:                             ;   in Loop: Header=BB101_9 Depth=1
	v_mov_b32_e32 v7, v14
	s_andn2_b64 vcc, exec, s[52:53]
	s_cbranch_vccnz .LBB101_31
.LBB101_29:                             ;   in Loop: Header=BB101_9 Depth=1
	s_lshl_b32 s2, s4, 2
	s_add_u32 s2, s40, s2
	s_addc_u32 s3, s41, 0
	s_mul_i32 s4, s4, 12
	s_add_u32 s4, s34, s4
	s_addc_u32 s5, s35, 0
	s_mov_b32 s6, s13
.LBB101_30:                             ;   Parent Loop BB101_9 Depth=1
                                        ; =>  This Inner Loop Header: Depth=2
	s_load_dwordx2 s[16:17], s[4:5], 0x4
	s_load_dword s7, s[4:5], 0xc
	s_load_dword s18, s[2:3], 0x0
	s_add_u32 s4, s4, 12
	s_addc_u32 s5, s5, 0
	s_waitcnt lgkmcnt(0)
	v_mul_hi_u32 v9, s17, v7
	v_add_u32_e32 v9, v7, v9
	v_lshrrev_b32_e32 v9, s7, v9
	s_add_u32 s2, s2, 4
	v_mul_lo_u32 v10, v9, s16
	s_addc_u32 s3, s3, 0
	s_add_i32 s6, s6, -1
	v_sub_u32_e32 v10, v7, v10
	s_cmp_lg_u32 s6, 0
	v_mov_b32_e32 v7, v9
	v_mad_u64_u32 v[8:9], s[16:17], v10, s18, v[8:9]
	s_cbranch_scc1 .LBB101_30
.LBB101_31:                             ;   in Loop: Header=BB101_9 Depth=1
	s_cbranch_execnz .LBB101_34
.LBB101_32:                             ;   in Loop: Header=BB101_9 Depth=1
	v_mul_hi_u32 v7, v14, s10
	v_add_u32_e32 v7, v7, v14
	v_lshrrev_b32_e32 v7, s11, v7
	v_mul_lo_u32 v8, v7, s9
	v_sub_u32_e32 v8, v14, v8
	s_andn2_b64 vcc, exec, s[42:43]
	s_waitcnt lgkmcnt(0)
	v_mul_lo_u32 v8, v8, s44
	s_cbranch_vccnz .LBB101_34
; %bb.33:                               ;   in Loop: Header=BB101_9 Depth=1
	v_mul_hi_u32 v9, s8, v7
	v_add_u32_e32 v9, v7, v9
	v_lshrrev_b32_e32 v9, s14, v9
	v_mul_lo_u32 v9, v9, s12
	v_sub_u32_e32 v7, v7, v9
	v_mad_u64_u32 v[8:9], s[2:3], v7, s45, v[8:9]
.LBB101_34:                             ;   in Loop: Header=BB101_9 Depth=1
	s_add_u32 s2, 0, 0xfef0e7
	s_addc_u32 s3, 0, 4
	s_add_i32 s3, s3, 0xff00fb
	s_mul_hi_u32 s7, s2, 0xfffffeff
	s_sub_i32 s7, s7, s2
	s_mul_i32 s16, s3, 0xfffffeff
	s_mul_i32 s4, s2, 0xfffffeff
	s_add_i32 s7, s7, s16
	s_mul_hi_u32 s5, s3, s4
	s_mul_i32 s6, s3, s4
	s_mul_i32 s17, s2, s7
	s_mul_hi_u32 s4, s2, s4
	s_mul_hi_u32 s16, s2, s7
	s_add_u32 s4, s4, s17
	s_addc_u32 s16, 0, s16
	s_add_u32 s4, s4, s6
	s_mul_hi_u32 s17, s3, s7
	s_addc_u32 s4, s16, s5
	s_addc_u32 s5, s17, 0
	s_mul_i32 s6, s3, s7
	s_add_u32 s4, s4, s6
	v_mov_b32_e32 v7, s4
	s_addc_u32 s5, 0, s5
	v_add_co_u32_e32 v7, vcc, s2, v7
	s_cmp_lg_u64 vcc, 0
	s_addc_u32 s4, s3, s5
	v_mad_u64_u32 v[10:11], s[2:3], v1, s4, 0
	v_mul_hi_u32 v9, v1, v7
	v_add_co_u32_e32 v9, vcc, v9, v10
	v_addc_co_u32_e32 v17, vcc, 0, v11, vcc
	v_mad_u64_u32 v[42:43], s[2:3], v0, v7, 0
	v_add_co_u32_e32 v7, vcc, v9, v42
	v_mad_u64_u32 v[10:11], s[2:3], v0, s4, 0
	v_addc_co_u32_e32 v7, vcc, v17, v43, vcc
	v_addc_co_u32_e32 v9, vcc, 0, v11, vcc
	v_add_co_u32_e32 v7, vcc, v7, v10
	v_mad_u64_u32 v[10:11], s[2:3], v7, s62, 0
	v_addc_co_u32_e32 v9, vcc, 0, v9, vcc
	v_mov_b32_e32 v42, v11
	v_mad_u64_u32 v[42:43], s[2:3], v9, s62, v[42:43]
	v_sub_co_u32_e32 v7, vcc, v1, v10
	v_subb_co_u32_e32 v0, vcc, v0, v42, vcc
	v_subrev_co_u32_e32 v9, vcc, s62, v7
	v_subbrev_co_u32_e32 v1, vcc, 0, v0, vcc
	v_subrev_co_u32_e32 v10, vcc, s62, v9
	v_subbrev_co_u32_e32 v11, vcc, 0, v1, vcc
	v_cmp_lt_u32_e32 vcc, s63, v9
	v_cndmask_b32_e64 v17, 0, -1, vcc
	v_cmp_eq_u32_e32 vcc, 0, v1
	v_cndmask_b32_e32 v17, -1, v17, vcc
	v_cmp_ne_u32_e32 vcc, 0, v17
	v_cmp_lt_u32_e64 s[2:3], s63, v7
	v_cndmask_b32_e32 v1, v1, v11, vcc
	v_cndmask_b32_e64 v11, 0, -1, s[2:3]
	v_cmp_eq_u32_e64 s[2:3], 0, v0
	v_cndmask_b32_e64 v11, -1, v11, s[2:3]
	v_cmp_ne_u32_e64 s[2:3], 0, v11
	v_cndmask_b32_e64 v1, v0, v1, s[2:3]
	v_cndmask_b32_e32 v0, v9, v10, vcc
	v_cndmask_b32_e64 v0, v7, v0, s[2:3]
	v_ffbh_u32_e32 v7, v1
	v_min_u32_e32 v7, 32, v7
	v_lshlrev_b64 v[0:1], v7, v[0:1]
	v_min_u32_e32 v0, 1, v0
	v_or_b32_e32 v0, v1, v0
	v_cvt_f32_u32_e32 v0, v0
	v_sub_u32_e32 v1, 32, v7
	v_ldexp_f32 v0, v0, v1
	v_bfe_u32 v1, v0, 16, 1
	v_add3_u32 v0, v0, v1, s64
	s_waitcnt lgkmcnt(0)
	global_store_short_d16_hi v8, v0, s[46:47]
.LBB101_35:                             ;   in Loop: Header=BB101_9 Depth=1
	s_or_b64 exec, exec, s[54:55]
	v_mov_b32_e32 v0, s59
	v_add_co_u32_e32 v8, vcc, s33, v14
	v_addc_co_u32_e32 v9, vcc, v15, v0, vcc
	v_cmp_gt_i64_e32 vcc, s[24:25], v[8:9]
	s_and_saveexec_b64 s[28:29], vcc
	s_cbranch_execz .LBB101_8
; %bb.36:                               ;   in Loop: Header=BB101_9 Depth=1
	s_and_b64 vcc, exec, s[0:1]
	s_cbranch_vccnz .LBB101_42
; %bb.37:                               ;   in Loop: Header=BB101_9 Depth=1
	s_andn2_b64 vcc, exec, s[38:39]
	s_cbranch_vccnz .LBB101_43
; %bb.38:                               ;   in Loop: Header=BB101_9 Depth=1
	s_mov_b32 s2, 0
	s_andn2_b64 vcc, exec, s[48:49]
	v_mov_b32_e32 v0, 0
	s_cbranch_vccnz .LBB101_44
; %bb.39:                               ;   in Loop: Header=BB101_9 Depth=1
	s_mov_b32 s56, 0
	v_mov_b32_e32 v0, 0
	s_mov_b64 s[30:31], s[34:35]
	s_mov_b64 s[54:55], s[40:41]
	v_mov_b32_e32 v7, v8
.LBB101_40:                             ;   Parent Loop BB101_9 Depth=1
                                        ; =>  This Inner Loop Header: Depth=2
	s_load_dwordx8 s[0:7], s[30:31], 0x4
	s_load_dwordx4 s[16:19], s[30:31], 0x24
	s_load_dwordx4 s[20:23], s[54:55], 0x0
	s_add_u32 s30, s30, 48
	s_addc_u32 s31, s31, 0
	s_waitcnt lgkmcnt(0)
	v_mul_hi_u32 v1, s1, v7
	v_add_u32_e32 v1, v7, v1
	v_lshrrev_b32_e32 v1, s2, v1
	v_mul_lo_u32 v9, v1, s0
	v_mul_hi_u32 v10, s4, v1
	v_sub_u32_e32 v7, v7, v9
	v_add_u32_e32 v9, v1, v10
	v_lshrrev_b32_e32 v9, s5, v9
	v_mul_lo_u32 v10, v9, s3
	v_mul_hi_u32 v11, s7, v9
	v_sub_u32_e32 v1, v1, v10
	v_add_u32_e32 v10, v9, v11
	v_mul_lo_u32 v7, v7, s20
	v_mul_lo_u32 v1, v1, s21
	v_lshrrev_b32_e32 v10, s16, v10
	v_add3_u32 v0, v7, v0, v1
	v_mul_hi_u32 v7, s18, v10
	v_add_u32_e32 v7, v10, v7
	v_mul_lo_u32 v1, v10, s6
	v_lshrrev_b32_e32 v7, s19, v7
	s_add_i32 s56, s56, 4
	v_sub_u32_e32 v1, v9, v1
	v_mul_lo_u32 v9, v7, s17
	s_add_u32 s54, s54, 16
	v_sub_u32_e32 v9, v10, v9
	s_addc_u32 s55, s55, 0
	v_mul_lo_u32 v1, v1, s22
	v_mul_lo_u32 v9, v9, s23
	s_cmp_eq_u32 s15, s56
	v_add3_u32 v0, v1, v0, v9
	s_cbranch_scc0 .LBB101_40
; %bb.41:                               ;   in Loop: Header=BB101_9 Depth=1
	s_mov_b32 s2, s15
	s_andn2_b64 vcc, exec, s[52:53]
	s_cbranch_vccz .LBB101_45
	s_branch .LBB101_47
.LBB101_42:                             ;   in Loop: Header=BB101_9 Depth=1
                                        ; implicit-def: $vgpr0
	s_branch .LBB101_48
.LBB101_43:                             ;   in Loop: Header=BB101_9 Depth=1
	v_mov_b32_e32 v0, 0
	s_branch .LBB101_47
.LBB101_44:                             ;   in Loop: Header=BB101_9 Depth=1
	v_mov_b32_e32 v7, v8
	s_andn2_b64 vcc, exec, s[52:53]
	s_cbranch_vccnz .LBB101_47
.LBB101_45:                             ;   in Loop: Header=BB101_9 Depth=1
	s_lshl_b32 s0, s2, 2
	s_add_u32 s0, s40, s0
	s_addc_u32 s1, s41, 0
	s_mul_i32 s2, s2, 12
	s_add_u32 s2, s34, s2
	s_addc_u32 s3, s35, 0
	s_mov_b32 s4, s13
.LBB101_46:                             ;   Parent Loop BB101_9 Depth=1
                                        ; =>  This Inner Loop Header: Depth=2
	s_load_dwordx2 s[6:7], s[2:3], 0x4
	s_load_dword s5, s[2:3], 0xc
	s_load_dword s16, s[0:1], 0x0
	s_add_u32 s2, s2, 12
	s_addc_u32 s3, s3, 0
	s_waitcnt lgkmcnt(0)
	v_mul_hi_u32 v1, s7, v7
	v_add_u32_e32 v1, v7, v1
	v_lshrrev_b32_e32 v1, s5, v1
	s_add_u32 s0, s0, 4
	v_mul_lo_u32 v9, v1, s6
	s_addc_u32 s1, s1, 0
	s_add_i32 s4, s4, -1
	v_sub_u32_e32 v9, v7, v9
	s_cmp_lg_u32 s4, 0
	v_mov_b32_e32 v7, v1
	v_mad_u64_u32 v[0:1], s[6:7], v9, s16, v[0:1]
	s_cbranch_scc1 .LBB101_46
.LBB101_47:                             ;   in Loop: Header=BB101_9 Depth=1
	s_cbranch_execnz .LBB101_7
.LBB101_48:                             ;   in Loop: Header=BB101_9 Depth=1
	v_mul_hi_u32 v0, v8, s10
	v_add_u32_e32 v0, v0, v8
	v_lshrrev_b32_e32 v1, s11, v0
	v_mul_lo_u32 v0, v1, s9
	v_sub_u32_e32 v0, v8, v0
	s_andn2_b64 vcc, exec, s[42:43]
	s_waitcnt lgkmcnt(0)
	v_mul_lo_u32 v0, v0, s44
	s_cbranch_vccnz .LBB101_7
; %bb.49:                               ;   in Loop: Header=BB101_9 Depth=1
	v_mul_hi_u32 v7, s8, v1
	v_add_u32_e32 v7, v1, v7
	v_lshrrev_b32_e32 v7, s14, v7
	v_mul_lo_u32 v7, v7, s12
	v_sub_u32_e32 v1, v1, v7
	v_mad_u64_u32 v[0:1], s[0:1], v1, s45, v[0:1]
	s_branch .LBB101_7
.LBB101_50:
	s_endpgm
.LBB101_51:
                                        ; implicit-def: $sgpr2_sgpr3
	s_andn2_b64 vcc, exec, s[0:1]
	s_cbranch_vccz .LBB101_4
	s_branch .LBB101_5
	.section	.rodata,"a",@progbits
	.p2align	6, 0x0
	.amdhsa_kernel _ZN2at6native12_GLOBAL__N_143distribution_elementwise_grid_stride_kernelImLi2EZZZNS0_9templates4cuda13random_kernelIPNS_17CUDAGeneratorImplEEEvRNS_18TensorIteratorBaseET_ENKUlvE_clEvENKUlvE7_clEvEUlP25hiprandStatePhilox4_32_10E_ZNS1_27distribution_nullary_kernelIN3c108BFloat16Em15HIP_vector_typeIyLj2EES7_SF_ZZZNS5_IS7_EEvS9_SA_ENKSB_clEvENKSC_clEvEUlmE_EEvS9_T2_RKT3_T4_EUlimE0_EEvlNS_15PhiloxCudaStateET1_SM_
		.amdhsa_group_segment_fixed_size 0
		.amdhsa_private_segment_fixed_size 0
		.amdhsa_kernarg_size 584
		.amdhsa_user_sgpr_count 6
		.amdhsa_user_sgpr_private_segment_buffer 1
		.amdhsa_user_sgpr_dispatch_ptr 0
		.amdhsa_user_sgpr_queue_ptr 0
		.amdhsa_user_sgpr_kernarg_segment_ptr 1
		.amdhsa_user_sgpr_dispatch_id 0
		.amdhsa_user_sgpr_flat_scratch_init 0
		.amdhsa_user_sgpr_kernarg_preload_length 0
		.amdhsa_user_sgpr_kernarg_preload_offset 0
		.amdhsa_user_sgpr_private_segment_size 0
		.amdhsa_uses_dynamic_stack 0
		.amdhsa_system_sgpr_private_segment_wavefront_offset 0
		.amdhsa_system_sgpr_workgroup_id_x 1
		.amdhsa_system_sgpr_workgroup_id_y 0
		.amdhsa_system_sgpr_workgroup_id_z 0
		.amdhsa_system_sgpr_workgroup_info 0
		.amdhsa_system_vgpr_workitem_id 0
		.amdhsa_next_free_vgpr 44
		.amdhsa_next_free_sgpr 66
		.amdhsa_accum_offset 44
		.amdhsa_reserve_vcc 1
		.amdhsa_reserve_flat_scratch 0
		.amdhsa_float_round_mode_32 0
		.amdhsa_float_round_mode_16_64 0
		.amdhsa_float_denorm_mode_32 3
		.amdhsa_float_denorm_mode_16_64 3
		.amdhsa_dx10_clamp 1
		.amdhsa_ieee_mode 1
		.amdhsa_fp16_overflow 0
		.amdhsa_tg_split 0
		.amdhsa_exception_fp_ieee_invalid_op 0
		.amdhsa_exception_fp_denorm_src 0
		.amdhsa_exception_fp_ieee_div_zero 0
		.amdhsa_exception_fp_ieee_overflow 0
		.amdhsa_exception_fp_ieee_underflow 0
		.amdhsa_exception_fp_ieee_inexact 0
		.amdhsa_exception_int_div_zero 0
	.end_amdhsa_kernel
	.section	.text._ZN2at6native12_GLOBAL__N_143distribution_elementwise_grid_stride_kernelImLi2EZZZNS0_9templates4cuda13random_kernelIPNS_17CUDAGeneratorImplEEEvRNS_18TensorIteratorBaseET_ENKUlvE_clEvENKUlvE7_clEvEUlP25hiprandStatePhilox4_32_10E_ZNS1_27distribution_nullary_kernelIN3c108BFloat16Em15HIP_vector_typeIyLj2EES7_SF_ZZZNS5_IS7_EEvS9_SA_ENKSB_clEvENKSC_clEvEUlmE_EEvS9_T2_RKT3_T4_EUlimE0_EEvlNS_15PhiloxCudaStateET1_SM_,"axG",@progbits,_ZN2at6native12_GLOBAL__N_143distribution_elementwise_grid_stride_kernelImLi2EZZZNS0_9templates4cuda13random_kernelIPNS_17CUDAGeneratorImplEEEvRNS_18TensorIteratorBaseET_ENKUlvE_clEvENKUlvE7_clEvEUlP25hiprandStatePhilox4_32_10E_ZNS1_27distribution_nullary_kernelIN3c108BFloat16Em15HIP_vector_typeIyLj2EES7_SF_ZZZNS5_IS7_EEvS9_SA_ENKSB_clEvENKSC_clEvEUlmE_EEvS9_T2_RKT3_T4_EUlimE0_EEvlNS_15PhiloxCudaStateET1_SM_,comdat
.Lfunc_end101:
	.size	_ZN2at6native12_GLOBAL__N_143distribution_elementwise_grid_stride_kernelImLi2EZZZNS0_9templates4cuda13random_kernelIPNS_17CUDAGeneratorImplEEEvRNS_18TensorIteratorBaseET_ENKUlvE_clEvENKUlvE7_clEvEUlP25hiprandStatePhilox4_32_10E_ZNS1_27distribution_nullary_kernelIN3c108BFloat16Em15HIP_vector_typeIyLj2EES7_SF_ZZZNS5_IS7_EEvS9_SA_ENKSB_clEvENKSC_clEvEUlmE_EEvS9_T2_RKT3_T4_EUlimE0_EEvlNS_15PhiloxCudaStateET1_SM_, .Lfunc_end101-_ZN2at6native12_GLOBAL__N_143distribution_elementwise_grid_stride_kernelImLi2EZZZNS0_9templates4cuda13random_kernelIPNS_17CUDAGeneratorImplEEEvRNS_18TensorIteratorBaseET_ENKUlvE_clEvENKUlvE7_clEvEUlP25hiprandStatePhilox4_32_10E_ZNS1_27distribution_nullary_kernelIN3c108BFloat16Em15HIP_vector_typeIyLj2EES7_SF_ZZZNS5_IS7_EEvS9_SA_ENKSB_clEvENKSC_clEvEUlmE_EEvS9_T2_RKT3_T4_EUlimE0_EEvlNS_15PhiloxCudaStateET1_SM_
                                        ; -- End function
	.section	.AMDGPU.csdata,"",@progbits
; Kernel info:
; codeLenInByte = 3952
; NumSgprs: 70
; NumVgprs: 44
; NumAgprs: 0
; TotalNumVgprs: 44
; ScratchSize: 0
; MemoryBound: 0
; FloatMode: 240
; IeeeMode: 1
; LDSByteSize: 0 bytes/workgroup (compile time only)
; SGPRBlocks: 8
; VGPRBlocks: 5
; NumSGPRsForWavesPerEU: 70
; NumVGPRsForWavesPerEU: 44
; AccumOffset: 44
; Occupancy: 8
; WaveLimiterHint : 1
; COMPUTE_PGM_RSRC2:SCRATCH_EN: 0
; COMPUTE_PGM_RSRC2:USER_SGPR: 6
; COMPUTE_PGM_RSRC2:TRAP_HANDLER: 0
; COMPUTE_PGM_RSRC2:TGID_X_EN: 1
; COMPUTE_PGM_RSRC2:TGID_Y_EN: 0
; COMPUTE_PGM_RSRC2:TGID_Z_EN: 0
; COMPUTE_PGM_RSRC2:TIDIG_COMP_CNT: 0
; COMPUTE_PGM_RSRC3_GFX90A:ACCUM_OFFSET: 10
; COMPUTE_PGM_RSRC3_GFX90A:TG_SPLIT: 0
	.section	.text._ZN2at6native12_GLOBAL__N_143distribution_elementwise_grid_stride_kernelIjLi4EZZZNS0_9templates4cuda13random_kernelIPNS_17CUDAGeneratorImplEEEvRNS_18TensorIteratorBaseET_ENKUlvE_clEvENKUlvE7_clEvEUlP25hiprandStatePhilox4_32_10E0_ZNS1_27distribution_nullary_kernelIN3c108BFloat16Ej15HIP_vector_typeIjLj4EES7_SF_ZZZNS5_IS7_EEvS9_SA_ENKSB_clEvENKSC_clEvEUljE_EEvS9_T2_RKT3_T4_EUlijE_EEvlNS_15PhiloxCudaStateET1_SM_,"axG",@progbits,_ZN2at6native12_GLOBAL__N_143distribution_elementwise_grid_stride_kernelIjLi4EZZZNS0_9templates4cuda13random_kernelIPNS_17CUDAGeneratorImplEEEvRNS_18TensorIteratorBaseET_ENKUlvE_clEvENKUlvE7_clEvEUlP25hiprandStatePhilox4_32_10E0_ZNS1_27distribution_nullary_kernelIN3c108BFloat16Ej15HIP_vector_typeIjLj4EES7_SF_ZZZNS5_IS7_EEvS9_SA_ENKSB_clEvENKSC_clEvEUljE_EEvS9_T2_RKT3_T4_EUlijE_EEvlNS_15PhiloxCudaStateET1_SM_,comdat
	.globl	_ZN2at6native12_GLOBAL__N_143distribution_elementwise_grid_stride_kernelIjLi4EZZZNS0_9templates4cuda13random_kernelIPNS_17CUDAGeneratorImplEEEvRNS_18TensorIteratorBaseET_ENKUlvE_clEvENKUlvE7_clEvEUlP25hiprandStatePhilox4_32_10E0_ZNS1_27distribution_nullary_kernelIN3c108BFloat16Ej15HIP_vector_typeIjLj4EES7_SF_ZZZNS5_IS7_EEvS9_SA_ENKSB_clEvENKSC_clEvEUljE_EEvS9_T2_RKT3_T4_EUlijE_EEvlNS_15PhiloxCudaStateET1_SM_ ; -- Begin function _ZN2at6native12_GLOBAL__N_143distribution_elementwise_grid_stride_kernelIjLi4EZZZNS0_9templates4cuda13random_kernelIPNS_17CUDAGeneratorImplEEEvRNS_18TensorIteratorBaseET_ENKUlvE_clEvENKUlvE7_clEvEUlP25hiprandStatePhilox4_32_10E0_ZNS1_27distribution_nullary_kernelIN3c108BFloat16Ej15HIP_vector_typeIjLj4EES7_SF_ZZZNS5_IS7_EEvS9_SA_ENKSB_clEvENKSC_clEvEUljE_EEvS9_T2_RKT3_T4_EUlijE_EEvlNS_15PhiloxCudaStateET1_SM_
	.p2align	8
	.type	_ZN2at6native12_GLOBAL__N_143distribution_elementwise_grid_stride_kernelIjLi4EZZZNS0_9templates4cuda13random_kernelIPNS_17CUDAGeneratorImplEEEvRNS_18TensorIteratorBaseET_ENKUlvE_clEvENKUlvE7_clEvEUlP25hiprandStatePhilox4_32_10E0_ZNS1_27distribution_nullary_kernelIN3c108BFloat16Ej15HIP_vector_typeIjLj4EES7_SF_ZZZNS5_IS7_EEvS9_SA_ENKSB_clEvENKSC_clEvEUljE_EEvS9_T2_RKT3_T4_EUlijE_EEvlNS_15PhiloxCudaStateET1_SM_,@function
_ZN2at6native12_GLOBAL__N_143distribution_elementwise_grid_stride_kernelIjLi4EZZZNS0_9templates4cuda13random_kernelIPNS_17CUDAGeneratorImplEEEvRNS_18TensorIteratorBaseET_ENKUlvE_clEvENKUlvE7_clEvEUlP25hiprandStatePhilox4_32_10E0_ZNS1_27distribution_nullary_kernelIN3c108BFloat16Ej15HIP_vector_typeIjLj4EES7_SF_ZZZNS5_IS7_EEvS9_SA_ENKSB_clEvENKSC_clEvEUljE_EEvS9_T2_RKT3_T4_EUlijE_EEvlNS_15PhiloxCudaStateET1_SM_: ; @_ZN2at6native12_GLOBAL__N_143distribution_elementwise_grid_stride_kernelIjLi4EZZZNS0_9templates4cuda13random_kernelIPNS_17CUDAGeneratorImplEEEvRNS_18TensorIteratorBaseET_ENKUlvE_clEvENKUlvE7_clEvEUlP25hiprandStatePhilox4_32_10E0_ZNS1_27distribution_nullary_kernelIN3c108BFloat16Ej15HIP_vector_typeIjLj4EES7_SF_ZZZNS5_IS7_EEvS9_SA_ENKSB_clEvENKSC_clEvEUljE_EEvS9_T2_RKT3_T4_EUlijE_EEvlNS_15PhiloxCudaStateET1_SM_
; %bb.0:
	s_load_dword s7, s[4:5], 0x20
	s_load_dwordx2 s[10:11], s[4:5], 0x10
	s_load_dwordx4 s[0:3], s[4:5], 0x0
	s_mov_b32 s8, 0
	s_waitcnt lgkmcnt(0)
	s_bitcmp0_b32 s7, 0
	v_pk_mov_b32 v[2:3], s[10:11], s[10:11] op_sel:[0,1]
	v_pk_mov_b32 v[14:15], s[2:3], s[2:3] op_sel:[0,1]
	s_cbranch_scc1 .LBB102_2
; %bb.1:
	v_pk_mov_b32 v[2:3], s[10:11], s[10:11] op_sel:[0,1]
	flat_load_dwordx2 v[2:3], v[2:3]
	v_pk_mov_b32 v[4:5], s[2:3], s[2:3] op_sel:[0,1]
	flat_load_dwordx2 v[14:15], v[4:5]
	s_load_dwordx2 s[2:3], s[4:5], 0x18
	s_waitcnt lgkmcnt(0)
	v_mov_b32_e32 v1, s3
	s_waitcnt vmcnt(0)
	v_add_co_u32_e32 v2, vcc, s2, v2
	v_addc_co_u32_e32 v3, vcc, v3, v1, vcc
.LBB102_2:
	s_load_dword s2, s[4:5], 0x4c
	s_load_dword s10, s[4:5], 0x40
	s_waitcnt lgkmcnt(0)
	s_and_b32 s7, s2, 0xffff
	s_add_u32 s11, s0, -1
	s_mul_i32 s12, s10, s7
	s_addc_u32 s9, s1, -1
	s_lshl_b32 s13, s12, 2
	s_cmp_lg_u64 s[8:9], 0
	s_mov_b64 s[2:3], -1
	s_cbranch_scc0 .LBB102_27
; %bb.3:
	v_cvt_f32_u32_e32 v1, s13
	v_cvt_f32_ubyte0_e32 v4, 0
	s_sub_u32 s8, 0, s13
	s_subb_u32 s14, 0, 0
	v_madmk_f32 v1, v4, 0x4f800000, v1
	v_rcp_f32_e32 v1, v1
	v_mul_f32_e32 v1, 0x5f7ffffc, v1
	v_mul_f32_e32 v4, 0x2f800000, v1
	v_trunc_f32_e32 v4, v4
	v_madmk_f32 v1, v4, 0xcf800000, v1
	v_cvt_u32_f32_e32 v4, v4
	v_cvt_u32_f32_e32 v1, v1
	v_readfirstlane_b32 s15, v4
	v_readfirstlane_b32 s16, v1
	s_mul_i32 s17, s8, s15
	s_mul_hi_u32 s19, s8, s16
	s_mul_i32 s18, s14, s16
	s_add_i32 s17, s19, s17
	s_add_i32 s17, s17, s18
	s_mul_i32 s20, s8, s16
	s_mul_hi_u32 s18, s16, s17
	s_mul_i32 s19, s16, s17
	s_mul_hi_u32 s16, s16, s20
	s_add_u32 s16, s16, s19
	s_addc_u32 s18, 0, s18
	s_mul_hi_u32 s21, s15, s20
	s_mul_i32 s20, s15, s20
	s_add_u32 s16, s16, s20
	s_mul_hi_u32 s19, s15, s17
	s_addc_u32 s16, s18, s21
	s_addc_u32 s18, s19, 0
	s_mul_i32 s17, s15, s17
	s_add_u32 s16, s16, s17
	s_addc_u32 s17, 0, s18
	v_add_co_u32_e32 v1, vcc, s16, v1
	s_cmp_lg_u64 vcc, 0
	s_addc_u32 s15, s15, s17
	v_readfirstlane_b32 s17, v1
	s_mul_i32 s16, s8, s15
	s_mul_hi_u32 s18, s8, s17
	s_add_i32 s16, s18, s16
	s_mul_i32 s14, s14, s17
	s_add_i32 s16, s16, s14
	s_mul_i32 s8, s8, s17
	s_mul_hi_u32 s18, s15, s8
	s_mul_i32 s19, s15, s8
	s_mul_i32 s21, s17, s16
	s_mul_hi_u32 s8, s17, s8
	s_mul_hi_u32 s20, s17, s16
	s_add_u32 s8, s8, s21
	s_addc_u32 s17, 0, s20
	s_add_u32 s8, s8, s19
	s_mul_hi_u32 s14, s15, s16
	s_addc_u32 s8, s17, s18
	s_addc_u32 s14, s14, 0
	s_mul_i32 s16, s15, s16
	s_add_u32 s8, s8, s16
	s_addc_u32 s14, 0, s14
	v_add_co_u32_e32 v1, vcc, s8, v1
	s_cmp_lg_u64 vcc, 0
	s_addc_u32 s16, s15, s14
	s_ashr_i32 s14, s9, 31
	s_add_u32 s8, s11, s14
	s_mov_b32 s15, s14
	s_addc_u32 s9, s9, s14
	s_xor_b64 s[8:9], s[8:9], s[14:15]
	v_readfirstlane_b32 s19, v1
	s_mul_i32 s18, s8, s16
	s_mul_hi_u32 s20, s8, s19
	s_mul_hi_u32 s17, s8, s16
	s_add_u32 s18, s20, s18
	s_addc_u32 s17, 0, s17
	s_mul_hi_u32 s21, s9, s19
	s_mul_i32 s19, s9, s19
	s_add_u32 s18, s18, s19
	s_mul_hi_u32 s20, s9, s16
	s_addc_u32 s17, s17, s21
	s_addc_u32 s18, s20, 0
	s_mul_i32 s16, s9, s16
	s_add_u32 s16, s17, s16
	s_addc_u32 s17, 0, s18
	s_add_u32 s18, s16, 1
	s_addc_u32 s19, s17, 0
	s_add_u32 s20, s16, 2
	s_mul_i32 s22, s13, s17
	s_mul_hi_u32 s23, s13, s16
	s_addc_u32 s21, s17, 0
	s_add_i32 s23, s23, s22
	s_mul_i32 s22, s13, s16
	v_mov_b32_e32 v1, s22
	v_sub_co_u32_e32 v1, vcc, s8, v1
	s_cmp_lg_u64 vcc, 0
	s_subb_u32 s8, s9, s23
	v_subrev_co_u32_e32 v4, vcc, s13, v1
	s_cmp_lg_u64 vcc, 0
	s_subb_u32 s9, s8, 0
	v_readfirstlane_b32 s22, v4
	s_cmp_ge_u32 s22, s13
	s_cselect_b32 s22, -1, 0
	s_cmp_eq_u32 s9, 0
	s_cselect_b32 s9, s22, -1
	s_cmp_lg_u32 s9, 0
	s_cselect_b32 s9, s21, s19
	v_readfirstlane_b32 s19, v1
	s_cselect_b32 s18, s20, s18
	s_cmp_ge_u32 s19, s13
	s_cselect_b32 s19, -1, 0
	s_cmp_eq_u32 s8, 0
	s_cselect_b32 s8, s19, -1
	s_cmp_lg_u32 s8, 0
	s_cselect_b32 s9, s9, s17
	s_cselect_b32 s8, s18, s16
	s_xor_b64 s[8:9], s[8:9], s[14:15]
	s_sub_u32 s8, s8, s14
	s_subb_u32 s9, s9, s14
	s_cbranch_execnz .LBB102_5
.LBB102_4:
	v_cvt_f32_u32_e32 v1, s13
	s_sub_i32 s2, 0, s13
	s_mov_b32 s9, 0
	v_rcp_iflag_f32_e32 v1, v1
	v_mul_f32_e32 v1, 0x4f7ffffe, v1
	v_cvt_u32_f32_e32 v1, v1
	v_readfirstlane_b32 s3, v1
	s_mul_i32 s2, s2, s3
	s_mul_hi_u32 s2, s3, s2
	s_add_i32 s3, s3, s2
	s_mul_hi_u32 s2, s11, s3
	s_mul_i32 s8, s2, s13
	s_sub_i32 s8, s11, s8
	s_add_i32 s3, s2, 1
	s_sub_i32 s11, s8, s13
	s_cmp_ge_u32 s8, s13
	s_cselect_b32 s2, s3, s2
	s_cselect_b32 s8, s11, s8
	s_add_i32 s3, s2, 1
	s_cmp_ge_u32 s8, s13
	s_cselect_b32 s8, s3, s2
.LBB102_5:
	v_mov_b32_e32 v1, 0
	v_mov_b32_e32 v4, s6
	v_mad_u64_u32 v[16:17], s[2:3], s7, v4, v[0:1]
	s_add_u32 s2, s8, 1
	s_addc_u32 s3, s9, 0
	s_mul_hi_u32 s8, s10, s7
	s_mul_i32 s3, s12, s3
	s_mul_hi_u32 s9, s12, s2
	s_add_i32 s3, s9, s3
	s_mul_i32 s8, s8, s2
	s_add_i32 s3, s3, s8
	s_mul_i32 s2, s12, s2
	s_lshl_b64 s[2:3], s[2:3], 2
	v_cmp_gt_i64_e32 vcc, s[2:3], v[16:17]
	s_and_saveexec_b64 s[8:9], vcc
	s_cbranch_execz .LBB102_26
; %bb.6:
	s_load_dwordx2 s[8:9], s[4:5], 0x30
	s_load_dword s11, s[4:5], 0x38
	s_mov_b32 s4, 0x5384540f
	v_mov_b32_e32 v4, v15
	v_add_co_u32_e32 v22, vcc, s4, v14
	s_mov_b32 s4, 0x646e171e
	v_add_co_u32_e32 v23, vcc, s4, v4
	s_mov_b32 s4, 0x1715609d
	v_add_co_u32_e32 v24, vcc, s4, v14
	s_mov_b32 s4, 0xed9eba14
	v_add_co_u32_e32 v25, vcc, s4, v4
	s_mov_b32 s4, 0xdaa66d2b
	v_add_co_u32_e32 v26, vcc, s4, v14
	s_mov_b32 s4, 0x76cf5d0a
	v_add_co_u32_e32 v27, vcc, s4, v4
	s_mov_b32 s4, 0x9e3779b9
	v_alignbit_b32 v29, v3, v2, 2
	s_mov_b32 s15, 0xd2511f53
	v_add_co_u32_e32 v28, vcc, s4, v14
	v_mad_u64_u32 v[6:7], s[4:5], v29, s15, 0
	v_xor_b32_e32 v1, v7, v15
	v_xor_b32_e32 v1, v1, v17
	s_mov_b32 s16, 0xcd9e8d57
	v_mad_u64_u32 v[8:9], s[4:5], v1, s16, 0
	v_xor_b32_e32 v1, v28, v9
	v_mad_u64_u32 v[10:11], s[4:5], v16, s16, 0
	v_and_b32_e32 v18, 3, v2
	v_xor_b32_e32 v1, v1, v10
	v_xor_b32_e32 v2, v14, v11
	v_lshrrev_b32_e32 v30, 2, v3
	v_mad_u64_u32 v[12:13], s[4:5], v1, s15, 0
	v_xor_b32_e32 v2, v2, v30
	v_xor_b32_e32 v1, v27, v13
	v_mad_u64_u32 v[2:3], s[4:5], v2, s15, 0
	v_xor_b32_e32 v1, v1, v2
	v_mad_u64_u32 v[10:11], s[4:5], v1, s16, 0
	s_mov_b32 s4, 0xbb67ae85
	v_add_co_u32_e32 v31, vcc, s4, v4
	v_xor_b32_e32 v2, v31, v3
	v_xor_b32_e32 v2, v2, v6
	v_xor_b32_e32 v1, v26, v11
	v_mad_u64_u32 v[2:3], s[4:5], v2, s16, 0
	v_xor_b32_e32 v1, v1, v2
	v_mad_u64_u32 v[6:7], s[4:5], v1, s15, 0
	s_mov_b32 s4, 0x3c6ef372
	v_add_co_u32_e32 v32, vcc, s4, v14
	v_xor_b32_e32 v2, v32, v3
	;; [unrolled: 8-line block ×6, first 2 shown]
	v_add_co_u32_e32 v21, vcc, 0xdb3d7428, v4
	v_xor_b32_e32 v2, v2, v8
	v_xor_b32_e32 v1, v21, v7
	v_mad_u64_u32 v[2:3], s[4:5], v2, s15, 0
	v_xor_b32_e32 v1, v1, v2
	v_mad_u64_u32 v[8:9], s[4:5], v1, s16, 0
	s_mov_b32 s4, 0x1fd5c5a3
	v_add_co_u32_e32 v37, vcc, s4, v4
	v_xor_b32_e32 v1, v37, v3
	v_xor_b32_e32 v1, v1, v12
	v_mad_u64_u32 v[2:3], s[4:5], v1, s16, 0
	s_mov_b32 s4, 0xf1bbcdc8
	v_add_u32_e32 v19, 0x8ff34781, v14
	v_xor_b32_e32 v1, v9, v2
	v_add_co_u32_e32 v38, vcc, s4, v14
	v_xor_b32_e32 v2, v19, v1
	v_xor_b32_e32 v1, v38, v3
	;; [unrolled: 1-line block ×3, first 2 shown]
	v_mad_u64_u32 v[10:11], s[4:5], v1, s15, 0
	v_add_u32_e32 v20, 0x96a522ad, v15
	v_xor_b32_e32 v1, v11, v6
	s_mul_i32 s4, s6, s7
	v_xor_b32_e32 v4, v20, v1
	v_add_u32_e32 v1, s4, v0
	s_waitcnt lgkmcnt(0)
	s_mul_i32 s4, s10, s11
	s_mul_i32 s4, s4, s7
	s_lshl_b32 s21, s4, 2
	s_mul_i32 s4, s10, 3
	s_add_i32 s4, s6, s4
	s_mul_i32 s4, s4, s7
	v_mul_lo_u32 v39, s11, v1
	v_add_u32_e32 v1, s4, v0
	s_lshl_b32 s4, s10, 1
	s_add_i32 s4, s6, s4
	s_mul_i32 s4, s4, s7
	v_mul_lo_u32 v40, s11, v1
	v_add_u32_e32 v1, s4, v0
	s_add_i32 s4, s6, s10
	s_mul_i32 s4, s4, s7
	s_mov_b32 s14, 0
	v_add_u32_e32 v0, s4, v0
	v_mov_b32_e32 v3, v8
	v_mov_b32_e32 v5, v10
	s_lshl_b32 s17, s12, 1
	s_mov_b32 s18, s14
	s_mul_i32 s19, s12, 3
	s_mov_b32 s20, s14
	v_mul_lo_u32 v41, s11, v1
	v_mul_lo_u32 v42, s11, v0
	s_mov_b64 s[4:5], 0
	s_mov_b32 s22, 0xff00ff01
	s_movk_i32 s23, 0x7fff
	s_mov_b32 s24, s14
	v_mov_b32_e32 v43, v16
	v_mov_b32_e32 v44, v17
	s_branch .LBB102_8
.LBB102_7:                              ;   in Loop: Header=BB102_8 Depth=1
	s_or_b64 exec, exec, s[6:7]
	v_add_co_u32_e32 v16, vcc, s13, v16
	v_addc_co_u32_e32 v17, vcc, 0, v17, vcc
	v_mov_b32_e32 v9, v0
	s_add_i32 s24, s24, s21
	v_cmp_le_i64_e32 vcc, s[2:3], v[16:17]
	v_pk_mov_b32 v[2:3], v[6:7], v[6:7] op_sel:[0,1]
	s_or_b64 s[4:5], vcc, s[4:5]
	v_pk_mov_b32 v[4:5], v[8:9], v[8:9] op_sel:[0,1]
	s_barrier
	s_andn2_b64 exec, exec, s[4:5]
	s_cbranch_execz .LBB102_26
.LBB102_8:                              ; =>This Inner Loop Header: Depth=1
	v_add_co_u32_e32 v29, vcc, 1, v29
	v_cndmask_b32_e64 v0, 0, 1, vcc
	v_addc_co_u32_e32 v30, vcc, 0, v30, vcc
	v_cmp_eq_u32_e32 vcc, 0, v30
	v_cndmask_b32_e32 v0, 0, v0, vcc
	v_add_u32_e32 v43, v0, v43
	v_cmp_eq_u32_e32 vcc, 0, v43
	v_cndmask_b32_e32 v0, 0, v0, vcc
	v_add_u32_e32 v44, v0, v44
	v_mad_u64_u32 v[0:1], s[6:7], v29, s15, 0
	v_mad_u64_u32 v[6:7], s[6:7], v43, s16, 0
	v_xor_b32_e32 v1, v1, v15
	v_xor_b32_e32 v7, v7, v14
	v_xor_b32_e32 v1, v44, v1
	v_xor_b32_e32 v7, v30, v7
	v_mad_u64_u32 v[10:11], s[6:7], v1, s16, 0
	v_mad_u64_u32 v[8:9], s[6:7], v7, s15, 0
	v_xor_b32_e32 v1, v28, v11
	v_xor_b32_e32 v1, v1, v6
	v_xor_b32_e32 v6, v31, v9
	v_xor_b32_e32 v6, v6, v0
	;; [unrolled: 6-line block ×10, first 2 shown]
	v_mov_b32_e32 v7, v12
	v_mov_b32_e32 v8, v13
	v_cmp_lt_i32_e32 vcc, 1, v18
	s_and_saveexec_b64 s[6:7], vcc
	s_xor_b64 s[6:7], exec, s[6:7]
	s_cbranch_execnz .LBB102_18
; %bb.9:                                ;   in Loop: Header=BB102_8 Depth=1
	s_andn2_saveexec_b64 s[6:7], s[6:7]
	s_cbranch_execnz .LBB102_23
.LBB102_10:                             ;   in Loop: Header=BB102_8 Depth=1
	s_or_b64 exec, exec, s[6:7]
	v_cmp_gt_i64_e32 vcc, s[0:1], v[16:17]
	s_and_saveexec_b64 s[6:7], vcc
	s_cbranch_execz .LBB102_12
.LBB102_11:                             ;   in Loop: Header=BB102_8 Depth=1
	v_mul_hi_u32 v10, v2, s22
	v_lshrrev_b32_e32 v10, 8, v10
	v_mul_u32_u24_e32 v10, 0x101, v10
	v_sub_u32_e32 v2, v2, v10
	v_cvt_f32_u32_e32 v2, v2
	v_add_u32_e32 v1, s24, v39
	v_ashrrev_i32_e32 v9, 31, v1
	v_mov_b32_e32 v11, s9
	v_add_co_u32_e32 v10, vcc, s8, v1
	v_bfe_u32 v1, v2, 16, 1
	v_addc_co_u32_e32 v11, vcc, v11, v9, vcc
	v_add3_u32 v1, v2, v1, s23
	global_store_short_d16_hi v[10:11], v1, off
.LBB102_12:                             ;   in Loop: Header=BB102_8 Depth=1
	s_or_b64 exec, exec, s[6:7]
	v_mov_b32_e32 v1, s14
	v_add_co_u32_e32 v10, vcc, s12, v16
	v_addc_co_u32_e32 v11, vcc, v1, v17, vcc
	v_cmp_gt_i64_e32 vcc, s[0:1], v[10:11]
	s_and_saveexec_b64 s[6:7], vcc
	s_cbranch_execz .LBB102_14
; %bb.13:                               ;   in Loop: Header=BB102_8 Depth=1
	v_mul_hi_u32 v2, v3, s22
	v_lshrrev_b32_e32 v2, 8, v2
	v_mul_u32_u24_e32 v2, 0x101, v2
	v_sub_u32_e32 v2, v3, v2
	v_cvt_f32_u32_e32 v11, v2
	v_add_u32_e32 v1, s24, v42
	v_ashrrev_i32_e32 v9, 31, v1
	v_mov_b32_e32 v10, s9
	v_add_co_u32_e32 v2, vcc, s8, v1
	v_bfe_u32 v1, v11, 16, 1
	v_addc_co_u32_e32 v3, vcc, v10, v9, vcc
	v_add3_u32 v1, v11, v1, s23
	global_store_short_d16_hi v[2:3], v1, off
.LBB102_14:                             ;   in Loop: Header=BB102_8 Depth=1
	s_or_b64 exec, exec, s[6:7]
	v_mov_b32_e32 v1, s18
	v_add_co_u32_e32 v2, vcc, s17, v16
	v_addc_co_u32_e32 v3, vcc, v1, v17, vcc
	v_cmp_gt_i64_e32 vcc, s[0:1], v[2:3]
	s_and_saveexec_b64 s[6:7], vcc
	s_cbranch_execz .LBB102_16
; %bb.15:                               ;   in Loop: Header=BB102_8 Depth=1
	v_mul_hi_u32 v2, v4, s22
	v_lshrrev_b32_e32 v2, 8, v2
	v_mul_u32_u24_e32 v2, 0x101, v2
	v_sub_u32_e32 v2, v4, v2
	v_cvt_f32_u32_e32 v4, v2
	v_add_u32_e32 v1, s24, v41
	v_ashrrev_i32_e32 v3, 31, v1
	v_mov_b32_e32 v9, s9
	v_add_co_u32_e32 v2, vcc, s8, v1
	v_bfe_u32 v1, v4, 16, 1
	v_addc_co_u32_e32 v3, vcc, v9, v3, vcc
	v_add3_u32 v1, v4, v1, s23
	global_store_short_d16_hi v[2:3], v1, off
.LBB102_16:                             ;   in Loop: Header=BB102_8 Depth=1
	s_or_b64 exec, exec, s[6:7]
	v_mov_b32_e32 v1, s20
	v_add_co_u32_e32 v2, vcc, s19, v16
	v_addc_co_u32_e32 v3, vcc, v1, v17, vcc
	v_cmp_gt_i64_e32 vcc, s[0:1], v[2:3]
	s_and_saveexec_b64 s[6:7], vcc
	s_cbranch_execz .LBB102_7
; %bb.17:                               ;   in Loop: Header=BB102_8 Depth=1
	v_mul_hi_u32 v2, v5, s22
	v_lshrrev_b32_e32 v2, 8, v2
	v_mul_u32_u24_e32 v2, 0x101, v2
	v_sub_u32_e32 v2, v5, v2
	v_cvt_f32_u32_e32 v5, v2
	v_add_u32_e32 v1, s24, v40
	v_ashrrev_i32_e32 v3, 31, v1
	v_mov_b32_e32 v4, s9
	v_add_co_u32_e32 v2, vcc, s8, v1
	v_bfe_u32 v1, v5, 16, 1
	v_addc_co_u32_e32 v3, vcc, v4, v3, vcc
	v_add3_u32 v1, v5, v1, s23
	global_store_short_d16_hi v[2:3], v1, off
	s_branch .LBB102_7
.LBB102_18:                             ;   in Loop: Header=BB102_8 Depth=1
	v_cmp_lt_i32_e32 vcc, 2, v18
	s_and_saveexec_b64 s[10:11], vcc
	s_xor_b64 s[10:11], exec, s[10:11]
; %bb.19:                               ;   in Loop: Header=BB102_8 Depth=1
	v_mov_b32_e32 v10, v5
	v_mov_b32_e32 v11, v6
	v_pk_mov_b32 v[2:3], v[10:11], v[10:11] op_sel:[0,1]
	v_pk_mov_b32 v[4:5], v[12:13], v[12:13] op_sel:[0,1]
                                        ; implicit-def: $vgpr12_vgpr13
; %bb.20:                               ;   in Loop: Header=BB102_8 Depth=1
	s_andn2_saveexec_b64 s[10:11], s[10:11]
; %bb.21:                               ;   in Loop: Header=BB102_8 Depth=1
	v_mov_b32_e32 v2, v4
	v_mov_b32_e32 v3, v5
	;; [unrolled: 1-line block ×4, first 2 shown]
; %bb.22:                               ;   in Loop: Header=BB102_8 Depth=1
	s_or_b64 exec, exec, s[10:11]
	s_andn2_saveexec_b64 s[6:7], s[6:7]
	s_cbranch_execz .LBB102_10
.LBB102_23:                             ;   in Loop: Header=BB102_8 Depth=1
	v_cmp_eq_u32_e32 vcc, 1, v18
	s_and_saveexec_b64 s[10:11], vcc
; %bb.24:                               ;   in Loop: Header=BB102_8 Depth=1
	v_mov_b32_e32 v2, v3
	v_mov_b32_e32 v3, v4
	;; [unrolled: 1-line block ×4, first 2 shown]
; %bb.25:                               ;   in Loop: Header=BB102_8 Depth=1
	s_or_b64 exec, exec, s[10:11]
	s_or_b64 exec, exec, s[6:7]
	v_cmp_gt_i64_e32 vcc, s[0:1], v[16:17]
	s_and_saveexec_b64 s[6:7], vcc
	s_cbranch_execnz .LBB102_11
	s_branch .LBB102_12
.LBB102_26:
	s_endpgm
.LBB102_27:
                                        ; implicit-def: $sgpr8_sgpr9
	s_andn2_b64 vcc, exec, s[2:3]
	s_cbranch_vccz .LBB102_4
	s_branch .LBB102_5
	.section	.rodata,"a",@progbits
	.p2align	6, 0x0
	.amdhsa_kernel _ZN2at6native12_GLOBAL__N_143distribution_elementwise_grid_stride_kernelIjLi4EZZZNS0_9templates4cuda13random_kernelIPNS_17CUDAGeneratorImplEEEvRNS_18TensorIteratorBaseET_ENKUlvE_clEvENKUlvE7_clEvEUlP25hiprandStatePhilox4_32_10E0_ZNS1_27distribution_nullary_kernelIN3c108BFloat16Ej15HIP_vector_typeIjLj4EES7_SF_ZZZNS5_IS7_EEvS9_SA_ENKSB_clEvENKSC_clEvEUljE_EEvS9_T2_RKT3_T4_EUlijE_EEvlNS_15PhiloxCudaStateET1_SM_
		.amdhsa_group_segment_fixed_size 0
		.amdhsa_private_segment_fixed_size 0
		.amdhsa_kernarg_size 320
		.amdhsa_user_sgpr_count 6
		.amdhsa_user_sgpr_private_segment_buffer 1
		.amdhsa_user_sgpr_dispatch_ptr 0
		.amdhsa_user_sgpr_queue_ptr 0
		.amdhsa_user_sgpr_kernarg_segment_ptr 1
		.amdhsa_user_sgpr_dispatch_id 0
		.amdhsa_user_sgpr_flat_scratch_init 0
		.amdhsa_user_sgpr_kernarg_preload_length 0
		.amdhsa_user_sgpr_kernarg_preload_offset 0
		.amdhsa_user_sgpr_private_segment_size 0
		.amdhsa_uses_dynamic_stack 0
		.amdhsa_system_sgpr_private_segment_wavefront_offset 0
		.amdhsa_system_sgpr_workgroup_id_x 1
		.amdhsa_system_sgpr_workgroup_id_y 0
		.amdhsa_system_sgpr_workgroup_id_z 0
		.amdhsa_system_sgpr_workgroup_info 0
		.amdhsa_system_vgpr_workitem_id 0
		.amdhsa_next_free_vgpr 48
		.amdhsa_next_free_sgpr 25
		.amdhsa_accum_offset 48
		.amdhsa_reserve_vcc 1
		.amdhsa_reserve_flat_scratch 0
		.amdhsa_float_round_mode_32 0
		.amdhsa_float_round_mode_16_64 0
		.amdhsa_float_denorm_mode_32 3
		.amdhsa_float_denorm_mode_16_64 3
		.amdhsa_dx10_clamp 1
		.amdhsa_ieee_mode 1
		.amdhsa_fp16_overflow 0
		.amdhsa_tg_split 0
		.amdhsa_exception_fp_ieee_invalid_op 0
		.amdhsa_exception_fp_denorm_src 0
		.amdhsa_exception_fp_ieee_div_zero 0
		.amdhsa_exception_fp_ieee_overflow 0
		.amdhsa_exception_fp_ieee_underflow 0
		.amdhsa_exception_fp_ieee_inexact 0
		.amdhsa_exception_int_div_zero 0
	.end_amdhsa_kernel
	.section	.text._ZN2at6native12_GLOBAL__N_143distribution_elementwise_grid_stride_kernelIjLi4EZZZNS0_9templates4cuda13random_kernelIPNS_17CUDAGeneratorImplEEEvRNS_18TensorIteratorBaseET_ENKUlvE_clEvENKUlvE7_clEvEUlP25hiprandStatePhilox4_32_10E0_ZNS1_27distribution_nullary_kernelIN3c108BFloat16Ej15HIP_vector_typeIjLj4EES7_SF_ZZZNS5_IS7_EEvS9_SA_ENKSB_clEvENKSC_clEvEUljE_EEvS9_T2_RKT3_T4_EUlijE_EEvlNS_15PhiloxCudaStateET1_SM_,"axG",@progbits,_ZN2at6native12_GLOBAL__N_143distribution_elementwise_grid_stride_kernelIjLi4EZZZNS0_9templates4cuda13random_kernelIPNS_17CUDAGeneratorImplEEEvRNS_18TensorIteratorBaseET_ENKUlvE_clEvENKUlvE7_clEvEUlP25hiprandStatePhilox4_32_10E0_ZNS1_27distribution_nullary_kernelIN3c108BFloat16Ej15HIP_vector_typeIjLj4EES7_SF_ZZZNS5_IS7_EEvS9_SA_ENKSB_clEvENKSC_clEvEUljE_EEvS9_T2_RKT3_T4_EUlijE_EEvlNS_15PhiloxCudaStateET1_SM_,comdat
.Lfunc_end102:
	.size	_ZN2at6native12_GLOBAL__N_143distribution_elementwise_grid_stride_kernelIjLi4EZZZNS0_9templates4cuda13random_kernelIPNS_17CUDAGeneratorImplEEEvRNS_18TensorIteratorBaseET_ENKUlvE_clEvENKUlvE7_clEvEUlP25hiprandStatePhilox4_32_10E0_ZNS1_27distribution_nullary_kernelIN3c108BFloat16Ej15HIP_vector_typeIjLj4EES7_SF_ZZZNS5_IS7_EEvS9_SA_ENKSB_clEvENKSC_clEvEUljE_EEvS9_T2_RKT3_T4_EUlijE_EEvlNS_15PhiloxCudaStateET1_SM_, .Lfunc_end102-_ZN2at6native12_GLOBAL__N_143distribution_elementwise_grid_stride_kernelIjLi4EZZZNS0_9templates4cuda13random_kernelIPNS_17CUDAGeneratorImplEEEvRNS_18TensorIteratorBaseET_ENKUlvE_clEvENKUlvE7_clEvEUlP25hiprandStatePhilox4_32_10E0_ZNS1_27distribution_nullary_kernelIN3c108BFloat16Ej15HIP_vector_typeIjLj4EES7_SF_ZZZNS5_IS7_EEvS9_SA_ENKSB_clEvENKSC_clEvEUljE_EEvS9_T2_RKT3_T4_EUlijE_EEvlNS_15PhiloxCudaStateET1_SM_
                                        ; -- End function
	.section	.AMDGPU.csdata,"",@progbits
; Kernel info:
; codeLenInByte = 2524
; NumSgprs: 29
; NumVgprs: 48
; NumAgprs: 0
; TotalNumVgprs: 48
; ScratchSize: 0
; MemoryBound: 0
; FloatMode: 240
; IeeeMode: 1
; LDSByteSize: 0 bytes/workgroup (compile time only)
; SGPRBlocks: 3
; VGPRBlocks: 5
; NumSGPRsForWavesPerEU: 29
; NumVGPRsForWavesPerEU: 48
; AccumOffset: 48
; Occupancy: 8
; WaveLimiterHint : 0
; COMPUTE_PGM_RSRC2:SCRATCH_EN: 0
; COMPUTE_PGM_RSRC2:USER_SGPR: 6
; COMPUTE_PGM_RSRC2:TRAP_HANDLER: 0
; COMPUTE_PGM_RSRC2:TGID_X_EN: 1
; COMPUTE_PGM_RSRC2:TGID_Y_EN: 0
; COMPUTE_PGM_RSRC2:TGID_Z_EN: 0
; COMPUTE_PGM_RSRC2:TIDIG_COMP_CNT: 0
; COMPUTE_PGM_RSRC3_GFX90A:ACCUM_OFFSET: 11
; COMPUTE_PGM_RSRC3_GFX90A:TG_SPLIT: 0
	.section	.text._ZN2at6native12_GLOBAL__N_143distribution_elementwise_grid_stride_kernelIjLi4EZZZNS0_9templates4cuda13random_kernelIPNS_17CUDAGeneratorImplEEEvRNS_18TensorIteratorBaseET_ENKUlvE_clEvENKUlvE7_clEvEUlP25hiprandStatePhilox4_32_10E0_ZNS1_27distribution_nullary_kernelIN3c108BFloat16Ej15HIP_vector_typeIjLj4EES7_SF_ZZZNS5_IS7_EEvS9_SA_ENKSB_clEvENKSC_clEvEUljE_EEvS9_T2_RKT3_T4_EUlijE0_EEvlNS_15PhiloxCudaStateET1_SM_,"axG",@progbits,_ZN2at6native12_GLOBAL__N_143distribution_elementwise_grid_stride_kernelIjLi4EZZZNS0_9templates4cuda13random_kernelIPNS_17CUDAGeneratorImplEEEvRNS_18TensorIteratorBaseET_ENKUlvE_clEvENKUlvE7_clEvEUlP25hiprandStatePhilox4_32_10E0_ZNS1_27distribution_nullary_kernelIN3c108BFloat16Ej15HIP_vector_typeIjLj4EES7_SF_ZZZNS5_IS7_EEvS9_SA_ENKSB_clEvENKSC_clEvEUljE_EEvS9_T2_RKT3_T4_EUlijE0_EEvlNS_15PhiloxCudaStateET1_SM_,comdat
	.globl	_ZN2at6native12_GLOBAL__N_143distribution_elementwise_grid_stride_kernelIjLi4EZZZNS0_9templates4cuda13random_kernelIPNS_17CUDAGeneratorImplEEEvRNS_18TensorIteratorBaseET_ENKUlvE_clEvENKUlvE7_clEvEUlP25hiprandStatePhilox4_32_10E0_ZNS1_27distribution_nullary_kernelIN3c108BFloat16Ej15HIP_vector_typeIjLj4EES7_SF_ZZZNS5_IS7_EEvS9_SA_ENKSB_clEvENKSC_clEvEUljE_EEvS9_T2_RKT3_T4_EUlijE0_EEvlNS_15PhiloxCudaStateET1_SM_ ; -- Begin function _ZN2at6native12_GLOBAL__N_143distribution_elementwise_grid_stride_kernelIjLi4EZZZNS0_9templates4cuda13random_kernelIPNS_17CUDAGeneratorImplEEEvRNS_18TensorIteratorBaseET_ENKUlvE_clEvENKUlvE7_clEvEUlP25hiprandStatePhilox4_32_10E0_ZNS1_27distribution_nullary_kernelIN3c108BFloat16Ej15HIP_vector_typeIjLj4EES7_SF_ZZZNS5_IS7_EEvS9_SA_ENKSB_clEvENKSC_clEvEUljE_EEvS9_T2_RKT3_T4_EUlijE0_EEvlNS_15PhiloxCudaStateET1_SM_
	.p2align	8
	.type	_ZN2at6native12_GLOBAL__N_143distribution_elementwise_grid_stride_kernelIjLi4EZZZNS0_9templates4cuda13random_kernelIPNS_17CUDAGeneratorImplEEEvRNS_18TensorIteratorBaseET_ENKUlvE_clEvENKUlvE7_clEvEUlP25hiprandStatePhilox4_32_10E0_ZNS1_27distribution_nullary_kernelIN3c108BFloat16Ej15HIP_vector_typeIjLj4EES7_SF_ZZZNS5_IS7_EEvS9_SA_ENKSB_clEvENKSC_clEvEUljE_EEvS9_T2_RKT3_T4_EUlijE0_EEvlNS_15PhiloxCudaStateET1_SM_,@function
_ZN2at6native12_GLOBAL__N_143distribution_elementwise_grid_stride_kernelIjLi4EZZZNS0_9templates4cuda13random_kernelIPNS_17CUDAGeneratorImplEEEvRNS_18TensorIteratorBaseET_ENKUlvE_clEvENKUlvE7_clEvEUlP25hiprandStatePhilox4_32_10E0_ZNS1_27distribution_nullary_kernelIN3c108BFloat16Ej15HIP_vector_typeIjLj4EES7_SF_ZZZNS5_IS7_EEvS9_SA_ENKSB_clEvENKSC_clEvEUljE_EEvS9_T2_RKT3_T4_EUlijE0_EEvlNS_15PhiloxCudaStateET1_SM_: ; @_ZN2at6native12_GLOBAL__N_143distribution_elementwise_grid_stride_kernelIjLi4EZZZNS0_9templates4cuda13random_kernelIPNS_17CUDAGeneratorImplEEEvRNS_18TensorIteratorBaseET_ENKUlvE_clEvENKUlvE7_clEvEUlP25hiprandStatePhilox4_32_10E0_ZNS1_27distribution_nullary_kernelIN3c108BFloat16Ej15HIP_vector_typeIjLj4EES7_SF_ZZZNS5_IS7_EEvS9_SA_ENKSB_clEvENKSC_clEvEUljE_EEvS9_T2_RKT3_T4_EUlijE0_EEvlNS_15PhiloxCudaStateET1_SM_
; %bb.0:
	s_load_dword s2, s[4:5], 0x20
	s_load_dwordx2 s[0:1], s[4:5], 0x10
	s_load_dwordx4 s[24:27], s[4:5], 0x0
	s_waitcnt lgkmcnt(0)
	s_bitcmp0_b32 s2, 0
	s_mov_b32 s2, 0
	v_pk_mov_b32 v[2:3], s[0:1], s[0:1] op_sel:[0,1]
	v_pk_mov_b32 v[12:13], s[26:27], s[26:27] op_sel:[0,1]
	s_cbranch_scc1 .LBB103_2
; %bb.1:
	v_pk_mov_b32 v[2:3], s[0:1], s[0:1] op_sel:[0,1]
	flat_load_dwordx2 v[2:3], v[2:3]
	v_pk_mov_b32 v[4:5], s[26:27], s[26:27] op_sel:[0,1]
	flat_load_dwordx2 v[12:13], v[4:5]
	s_load_dwordx2 s[0:1], s[4:5], 0x18
	s_waitcnt lgkmcnt(0)
	v_mov_b32_e32 v1, s1
	s_waitcnt vmcnt(0)
	v_add_co_u32_e32 v2, vcc, s0, v2
	v_addc_co_u32_e32 v3, vcc, v3, v1, vcc
.LBB103_2:
	s_load_dword s0, s[4:5], 0x154
	s_load_dword s7, s[4:5], 0x148
	s_waitcnt lgkmcnt(0)
	s_and_b32 s8, s0, 0xffff
	s_add_u32 s9, s24, -1
	s_mul_i32 s33, s7, s8
	s_addc_u32 s3, s25, -1
	s_lshl_b32 s58, s33, 2
	s_cmp_lg_u64 s[2:3], 0
	s_mov_b64 s[0:1], -1
	s_cbranch_scc0 .LBB103_83
; %bb.3:
	v_cvt_f32_u32_e32 v1, s58
	v_cvt_f32_ubyte0_e32 v4, 0
	s_sub_u32 s2, 0, s58
	s_subb_u32 s10, 0, 0
	v_madmk_f32 v1, v4, 0x4f800000, v1
	v_rcp_f32_e32 v1, v1
	v_mul_f32_e32 v1, 0x5f7ffffc, v1
	v_mul_f32_e32 v4, 0x2f800000, v1
	v_trunc_f32_e32 v4, v4
	v_madmk_f32 v1, v4, 0xcf800000, v1
	v_cvt_u32_f32_e32 v4, v4
	v_cvt_u32_f32_e32 v1, v1
	v_readfirstlane_b32 s11, v4
	v_readfirstlane_b32 s12, v1
	s_mul_i32 s13, s2, s11
	s_mul_hi_u32 s15, s2, s12
	s_mul_i32 s14, s10, s12
	s_add_i32 s13, s15, s13
	s_add_i32 s13, s13, s14
	s_mul_i32 s16, s2, s12
	s_mul_hi_u32 s14, s12, s13
	s_mul_i32 s15, s12, s13
	s_mul_hi_u32 s12, s12, s16
	s_add_u32 s12, s12, s15
	s_addc_u32 s14, 0, s14
	s_mul_hi_u32 s17, s11, s16
	s_mul_i32 s16, s11, s16
	s_add_u32 s12, s12, s16
	s_mul_hi_u32 s15, s11, s13
	s_addc_u32 s12, s14, s17
	s_addc_u32 s14, s15, 0
	s_mul_i32 s13, s11, s13
	s_add_u32 s12, s12, s13
	s_addc_u32 s13, 0, s14
	v_add_co_u32_e32 v1, vcc, s12, v1
	s_cmp_lg_u64 vcc, 0
	s_addc_u32 s11, s11, s13
	v_readfirstlane_b32 s13, v1
	s_mul_i32 s12, s2, s11
	s_mul_hi_u32 s14, s2, s13
	s_add_i32 s12, s14, s12
	s_mul_i32 s10, s10, s13
	s_add_i32 s12, s12, s10
	s_mul_i32 s2, s2, s13
	s_mul_hi_u32 s14, s11, s2
	s_mul_i32 s15, s11, s2
	s_mul_i32 s17, s13, s12
	s_mul_hi_u32 s2, s13, s2
	s_mul_hi_u32 s16, s13, s12
	s_add_u32 s2, s2, s17
	s_addc_u32 s13, 0, s16
	s_add_u32 s2, s2, s15
	s_mul_hi_u32 s10, s11, s12
	s_addc_u32 s2, s13, s14
	s_addc_u32 s10, s10, 0
	s_mul_i32 s12, s11, s12
	s_add_u32 s2, s2, s12
	s_addc_u32 s10, 0, s10
	v_add_co_u32_e32 v1, vcc, s2, v1
	s_cmp_lg_u64 vcc, 0
	s_addc_u32 s12, s11, s10
	s_ashr_i32 s10, s3, 31
	s_add_u32 s2, s9, s10
	s_mov_b32 s11, s10
	s_addc_u32 s3, s3, s10
	s_xor_b64 s[2:3], s[2:3], s[10:11]
	v_readfirstlane_b32 s15, v1
	s_mul_i32 s14, s2, s12
	s_mul_hi_u32 s16, s2, s15
	s_mul_hi_u32 s13, s2, s12
	s_add_u32 s14, s16, s14
	s_addc_u32 s13, 0, s13
	s_mul_hi_u32 s17, s3, s15
	s_mul_i32 s15, s3, s15
	s_add_u32 s14, s14, s15
	s_mul_hi_u32 s16, s3, s12
	s_addc_u32 s13, s13, s17
	s_addc_u32 s14, s16, 0
	s_mul_i32 s12, s3, s12
	s_add_u32 s12, s13, s12
	s_addc_u32 s13, 0, s14
	s_add_u32 s14, s12, 1
	s_addc_u32 s15, s13, 0
	s_add_u32 s16, s12, 2
	s_mul_i32 s18, s58, s13
	s_mul_hi_u32 s19, s58, s12
	s_addc_u32 s17, s13, 0
	s_add_i32 s19, s19, s18
	s_mul_i32 s18, s58, s12
	v_mov_b32_e32 v1, s18
	v_sub_co_u32_e32 v1, vcc, s2, v1
	s_cmp_lg_u64 vcc, 0
	s_subb_u32 s2, s3, s19
	v_subrev_co_u32_e32 v4, vcc, s58, v1
	s_cmp_lg_u64 vcc, 0
	s_subb_u32 s3, s2, 0
	v_readfirstlane_b32 s18, v4
	s_cmp_ge_u32 s18, s58
	s_cselect_b32 s18, -1, 0
	s_cmp_eq_u32 s3, 0
	s_cselect_b32 s3, s18, -1
	s_cmp_lg_u32 s3, 0
	s_cselect_b32 s3, s17, s15
	v_readfirstlane_b32 s15, v1
	s_cselect_b32 s14, s16, s14
	s_cmp_ge_u32 s15, s58
	s_cselect_b32 s15, -1, 0
	s_cmp_eq_u32 s2, 0
	s_cselect_b32 s2, s15, -1
	s_cmp_lg_u32 s2, 0
	s_cselect_b32 s3, s3, s13
	s_cselect_b32 s2, s14, s12
	s_xor_b64 s[2:3], s[2:3], s[10:11]
	s_sub_u32 s2, s2, s10
	s_subb_u32 s3, s3, s10
	s_cbranch_execnz .LBB103_5
.LBB103_4:
	v_cvt_f32_u32_e32 v1, s58
	s_sub_i32 s0, 0, s58
	s_mov_b32 s3, 0
	v_rcp_iflag_f32_e32 v1, v1
	v_mul_f32_e32 v1, 0x4f7ffffe, v1
	v_cvt_u32_f32_e32 v1, v1
	v_readfirstlane_b32 s1, v1
	s_mul_i32 s0, s0, s1
	s_mul_hi_u32 s0, s1, s0
	s_add_i32 s1, s1, s0
	s_mul_hi_u32 s0, s9, s1
	s_mul_i32 s2, s0, s58
	s_sub_i32 s2, s9, s2
	s_add_i32 s1, s0, 1
	s_sub_i32 s9, s2, s58
	s_cmp_ge_u32 s2, s58
	s_cselect_b32 s0, s1, s0
	s_cselect_b32 s2, s9, s2
	s_add_i32 s1, s0, 1
	s_cmp_ge_u32 s2, s58
	s_cselect_b32 s2, s1, s0
.LBB103_5:
	v_mov_b32_e32 v1, 0
	v_mov_b32_e32 v4, s6
	v_mad_u64_u32 v[14:15], s[0:1], s8, v4, v[0:1]
	s_add_u32 s0, s2, 1
	s_addc_u32 s1, s3, 0
	s_mul_hi_u32 s2, s7, s8
	s_mul_i32 s1, s33, s1
	s_mul_hi_u32 s3, s33, s0
	s_add_i32 s1, s3, s1
	s_mul_i32 s2, s2, s0
	s_add_i32 s1, s1, s2
	s_mul_i32 s0, s33, s0
	s_lshl_b64 s[26:27], s[0:1], 2
	v_cmp_gt_i64_e32 vcc, s[26:27], v[14:15]
	s_and_saveexec_b64 s[0:1], vcc
	s_cbranch_execz .LBB103_82
; %bb.6:
	s_mov_b32 s0, 0x5384540f
	v_mov_b32_e32 v0, v13
	v_add_co_u32_e32 v22, vcc, s0, v12
	s_mov_b32 s0, 0x646e171e
	v_add_co_u32_e32 v23, vcc, s0, v0
	s_mov_b32 s0, 0x1715609d
	;; [unrolled: 2-line block ×6, first 2 shown]
	v_alignbit_b32 v29, v3, v2, 2
	s_mov_b32 s60, 0xd2511f53
	v_add_co_u32_e32 v28, vcc, s0, v12
	v_mad_u64_u32 v[4:5], s[0:1], v29, s60, 0
	v_xor_b32_e32 v1, v5, v13
	v_xor_b32_e32 v1, v1, v15
	s_mov_b32 s61, 0xcd9e8d57
	v_mad_u64_u32 v[6:7], s[0:1], v1, s61, 0
	v_xor_b32_e32 v1, v28, v7
	v_mad_u64_u32 v[8:9], s[0:1], v14, s61, 0
	v_and_b32_e32 v18, 3, v2
	v_xor_b32_e32 v1, v1, v8
	v_xor_b32_e32 v2, v12, v9
	v_lshrrev_b32_e32 v30, 2, v3
	v_mad_u64_u32 v[10:11], s[0:1], v1, s60, 0
	v_xor_b32_e32 v2, v2, v30
	v_xor_b32_e32 v1, v27, v11
	v_mad_u64_u32 v[2:3], s[0:1], v2, s60, 0
	v_xor_b32_e32 v1, v1, v2
	v_mad_u64_u32 v[8:9], s[0:1], v1, s61, 0
	s_mov_b32 s0, 0xbb67ae85
	v_add_co_u32_e32 v31, vcc, s0, v0
	v_xor_b32_e32 v2, v31, v3
	v_xor_b32_e32 v2, v2, v4
	v_xor_b32_e32 v1, v26, v9
	v_mad_u64_u32 v[2:3], s[0:1], v2, s61, 0
	v_xor_b32_e32 v1, v1, v2
	v_mad_u64_u32 v[4:5], s[0:1], v1, s60, 0
	s_mov_b32 s0, 0x3c6ef372
	v_add_co_u32_e32 v32, vcc, s0, v12
	v_xor_b32_e32 v2, v32, v3
	;; [unrolled: 8-line block ×6, first 2 shown]
	v_add_co_u32_e32 v21, vcc, 0xdb3d7428, v0
	v_xor_b32_e32 v2, v2, v6
	v_xor_b32_e32 v1, v21, v5
	v_mad_u64_u32 v[2:3], s[0:1], v2, s60, 0
	v_xor_b32_e32 v1, v1, v2
	v_mad_u64_u32 v[6:7], s[0:1], v1, s61, 0
	s_mov_b32 s0, 0x1fd5c5a3
	v_add_co_u32_e32 v37, vcc, s0, v0
	v_xor_b32_e32 v0, v37, v3
	v_xor_b32_e32 v0, v0, v10
	v_mad_u64_u32 v[0:1], s[0:1], v0, s61, 0
	s_mov_b32 s0, 0xf1bbcdc8
	s_load_dwordx8 s[8:15], s[4:5], 0x30
	v_add_co_u32_e32 v38, vcc, s0, v12
	v_xor_b32_e32 v1, v38, v1
	v_xor_b32_e32 v1, v1, v8
	s_add_u32 s34, s4, 48
	v_mad_u64_u32 v[8:9], s[0:1], v1, s60, 0
	s_addc_u32 s35, s5, 0
	s_waitcnt lgkmcnt(0)
	s_add_i32 s0, s8, -1
	s_cmp_gt_u32 s0, 1
	s_cselect_b64 s[36:37], -1, 0
	s_cmp_lg_u32 s8, 0
	s_cselect_b64 s[38:39], -1, 0
	s_add_u32 s40, s4, 0xf4
	s_addc_u32 s41, s5, 0
	s_min_u32 s1, s0, 15
	s_cmp_gt_u32 s8, 1
	s_cselect_b64 s[42:43], -1, 0
	s_add_i32 s1, s1, 1
	s_mov_b32 s8, s13
	s_load_dwordx2 s[44:45], s[4:5], 0xf4
	s_load_dwordx2 s[46:47], s[4:5], 0x138
	s_lshl_b32 s13, s33, 1
	s_and_b32 s64, s1, 3
	s_cmp_lg_u32 s0, 2
	s_cselect_b64 s[48:49], -1, 0
	s_and_b32 s65, s1, 28
	s_mov_b32 s59, 0
	v_add_u32_e32 v19, 0x8ff34781, v12
	v_add_u32_e32 v20, 0x96a522ad, v13
	v_xor_b32_e32 v0, v7, v0
	v_xor_b32_e32 v1, v9, v4
	s_cmp_lg_u32 s64, 0
	v_xor_b32_e32 v0, v19, v0
	v_xor_b32_e32 v2, v20, v1
	v_mov_b32_e32 v1, v6
	v_mov_b32_e32 v3, v8
	s_mov_b32 s15, s59
	s_mul_i32 s62, s33, 3
	s_mov_b32 s63, s59
	s_mov_b64 s[50:51], 0
	s_cselect_b64 s[52:53], -1, 0
	s_mov_b32 s66, 0xff00ff01
	s_movk_i32 s67, 0x7fff
	v_mov_b32_e32 v39, v14
	v_mov_b32_e32 v40, v15
	s_branch .LBB103_9
.LBB103_7:                              ;   in Loop: Header=BB103_9 Depth=1
	v_mul_hi_u32 v0, v3, s66
	v_lshrrev_b32_e32 v0, 8, v0
	v_mul_u32_u24_e32 v0, 0x101, v0
	v_sub_u32_e32 v0, v3, v0
	v_cvt_f32_u32_e32 v0, v0
	v_bfe_u32 v1, v0, 16, 1
	v_add3_u32 v0, v0, v1, s67
	s_waitcnt lgkmcnt(0)
	global_store_short_d16_hi v8, v0, s[46:47]
.LBB103_8:                              ;   in Loop: Header=BB103_9 Depth=1
	s_or_b64 exec, exec, s[28:29]
	v_add_co_u32_e32 v14, vcc, s58, v14
	v_addc_co_u32_e32 v15, vcc, 0, v15, vcc
	v_mov_b32_e32 v7, v16
	v_cmp_le_i64_e32 vcc, s[26:27], v[14:15]
	v_pk_mov_b32 v[0:1], v[4:5], v[4:5] op_sel:[0,1]
	s_or_b64 s[50:51], vcc, s[50:51]
	v_pk_mov_b32 v[2:3], v[6:7], v[6:7] op_sel:[0,1]
	s_waitcnt lgkmcnt(0)
	s_barrier
	s_andn2_b64 exec, exec, s[50:51]
	s_cbranch_execz .LBB103_82
.LBB103_9:                              ; =>This Loop Header: Depth=1
                                        ;     Child Loop BB103_24 Depth 2
                                        ;     Child Loop BB103_30 Depth 2
                                        ;     Child Loop BB103_40 Depth 2
                                        ;     Child Loop BB103_46 Depth 2
                                        ;     Child Loop BB103_56 Depth 2
                                        ;     Child Loop BB103_62 Depth 2
                                        ;     Child Loop BB103_72 Depth 2
                                        ;     Child Loop BB103_78 Depth 2
	v_add_co_u32_e32 v29, vcc, 1, v29
	v_cndmask_b32_e64 v4, 0, 1, vcc
	v_addc_co_u32_e32 v30, vcc, 0, v30, vcc
	v_cmp_eq_u32_e32 vcc, 0, v30
	v_cndmask_b32_e32 v4, 0, v4, vcc
	v_add_u32_e32 v39, v4, v39
	v_cmp_eq_u32_e32 vcc, 0, v39
	v_cndmask_b32_e32 v4, 0, v4, vcc
	v_add_u32_e32 v40, v4, v40
	v_mad_u64_u32 v[4:5], s[0:1], v29, s60, 0
	v_mad_u64_u32 v[6:7], s[0:1], v39, s61, 0
	v_xor_b32_e32 v5, v5, v13
	v_xor_b32_e32 v7, v7, v12
	v_xor_b32_e32 v5, v40, v5
	v_xor_b32_e32 v7, v30, v7
	v_mad_u64_u32 v[10:11], s[0:1], v5, s61, 0
	v_mad_u64_u32 v[8:9], s[0:1], v7, s60, 0
	v_xor_b32_e32 v5, v28, v11
	v_xor_b32_e32 v5, v5, v6
	v_xor_b32_e32 v6, v31, v9
	v_xor_b32_e32 v6, v6, v4
	;; [unrolled: 6-line block ×10, first 2 shown]
	v_mov_b32_e32 v5, v10
	v_mov_b32_e32 v6, v11
	v_cmp_lt_i32_e32 vcc, 1, v18
	s_and_saveexec_b64 s[0:1], vcc
	s_xor_b64 s[0:1], exec, s[0:1]
	s_cbranch_execz .LBB103_15
; %bb.10:                               ;   in Loop: Header=BB103_9 Depth=1
	v_cmp_lt_i32_e32 vcc, 2, v18
	s_and_saveexec_b64 s[2:3], vcc
	s_xor_b64 s[2:3], exec, s[2:3]
; %bb.11:                               ;   in Loop: Header=BB103_9 Depth=1
	v_mov_b32_e32 v8, v3
	v_mov_b32_e32 v9, v4
	v_pk_mov_b32 v[0:1], v[8:9], v[8:9] op_sel:[0,1]
	v_pk_mov_b32 v[2:3], v[10:11], v[10:11] op_sel:[0,1]
                                        ; implicit-def: $vgpr10_vgpr11
; %bb.12:                               ;   in Loop: Header=BB103_9 Depth=1
	s_andn2_saveexec_b64 s[2:3], s[2:3]
; %bb.13:                               ;   in Loop: Header=BB103_9 Depth=1
	v_mov_b32_e32 v0, v2
	v_mov_b32_e32 v1, v3
	;; [unrolled: 1-line block ×4, first 2 shown]
; %bb.14:                               ;   in Loop: Header=BB103_9 Depth=1
	s_or_b64 exec, exec, s[2:3]
.LBB103_15:                             ;   in Loop: Header=BB103_9 Depth=1
	s_andn2_saveexec_b64 s[0:1], s[0:1]
	s_cbranch_execz .LBB103_19
; %bb.16:                               ;   in Loop: Header=BB103_9 Depth=1
	v_cmp_eq_u32_e32 vcc, 1, v18
	s_and_saveexec_b64 s[2:3], vcc
; %bb.17:                               ;   in Loop: Header=BB103_9 Depth=1
	v_mov_b32_e32 v0, v1
	v_mov_b32_e32 v1, v2
	;; [unrolled: 1-line block ×4, first 2 shown]
; %bb.18:                               ;   in Loop: Header=BB103_9 Depth=1
	s_or_b64 exec, exec, s[2:3]
.LBB103_19:                             ;   in Loop: Header=BB103_9 Depth=1
	s_or_b64 exec, exec, s[0:1]
	v_cndmask_b32_e64 v7, 0, 1, s[36:37]
	v_cmp_gt_i64_e32 vcc, s[24:25], v[14:15]
	v_cmp_ne_u32_e64 s[0:1], 1, v7
	s_and_saveexec_b64 s[2:3], vcc
	s_cbranch_execz .LBB103_35
; %bb.20:                               ;   in Loop: Header=BB103_9 Depth=1
	s_and_b64 vcc, exec, s[0:1]
	s_cbranch_vccnz .LBB103_26
; %bb.21:                               ;   in Loop: Header=BB103_9 Depth=1
	s_andn2_b64 vcc, exec, s[38:39]
	s_cbranch_vccnz .LBB103_27
; %bb.22:                               ;   in Loop: Header=BB103_9 Depth=1
	s_mov_b32 s6, 0
	s_andn2_b64 vcc, exec, s[48:49]
	v_mov_b32_e32 v8, 0
	s_cbranch_vccnz .LBB103_28
; %bb.23:                               ;   in Loop: Header=BB103_9 Depth=1
	s_mov_b32 s68, 0
	v_mov_b32_e32 v8, 0
	s_mov_b64 s[54:55], s[34:35]
	s_mov_b64 s[56:57], s[40:41]
	v_mov_b32_e32 v7, v14
.LBB103_24:                             ;   Parent Loop BB103_9 Depth=1
                                        ; =>  This Inner Loop Header: Depth=2
	s_load_dwordx8 s[16:23], s[54:55], 0x4
	s_load_dwordx4 s[4:7], s[54:55], 0x24
	s_load_dwordx4 s[28:31], s[56:57], 0x0
	s_add_u32 s54, s54, 48
	s_addc_u32 s55, s55, 0
	s_waitcnt lgkmcnt(0)
	v_mul_hi_u32 v9, s17, v7
	v_add_u32_e32 v9, v7, v9
	v_lshrrev_b32_e32 v9, s18, v9
	v_mul_lo_u32 v10, v9, s16
	v_mul_hi_u32 v11, s20, v9
	v_sub_u32_e32 v7, v7, v10
	v_add_u32_e32 v10, v9, v11
	v_lshrrev_b32_e32 v10, s21, v10
	v_mul_lo_u32 v11, v10, s19
	v_mul_hi_u32 v17, s23, v10
	v_sub_u32_e32 v9, v9, v11
	v_add_u32_e32 v11, v10, v17
	v_mul_lo_u32 v7, v7, s28
	v_mul_lo_u32 v9, v9, s29
	v_lshrrev_b32_e32 v11, s4, v11
	v_add3_u32 v8, v7, v8, v9
	v_mul_lo_u32 v7, v11, s22
	v_mul_hi_u32 v9, s6, v11
	v_sub_u32_e32 v7, v10, v7
	v_add_u32_e32 v9, v11, v9
	v_mul_lo_u32 v10, v7, s30
	v_lshrrev_b32_e32 v7, s7, v9
	s_add_i32 s68, s68, 4
	v_mul_lo_u32 v9, v7, s5
	s_add_u32 s56, s56, 16
	v_sub_u32_e32 v9, v11, v9
	s_addc_u32 s57, s57, 0
	v_mul_lo_u32 v9, v9, s31
	s_cmp_lg_u32 s65, s68
	v_add3_u32 v8, v10, v8, v9
	s_cbranch_scc1 .LBB103_24
; %bb.25:                               ;   in Loop: Header=BB103_9 Depth=1
	s_mov_b32 s6, s65
	s_andn2_b64 vcc, exec, s[52:53]
	s_cbranch_vccz .LBB103_29
	s_branch .LBB103_31
.LBB103_26:                             ;   in Loop: Header=BB103_9 Depth=1
                                        ; implicit-def: $vgpr8
	s_branch .LBB103_32
.LBB103_27:                             ;   in Loop: Header=BB103_9 Depth=1
	v_mov_b32_e32 v8, 0
	s_branch .LBB103_31
.LBB103_28:                             ;   in Loop: Header=BB103_9 Depth=1
	v_mov_b32_e32 v7, v14
	s_andn2_b64 vcc, exec, s[52:53]
	s_cbranch_vccnz .LBB103_31
.LBB103_29:                             ;   in Loop: Header=BB103_9 Depth=1
	s_lshl_b32 s4, s6, 2
	s_add_u32 s4, s40, s4
	s_addc_u32 s5, s41, 0
	s_mul_i32 s6, s6, 12
	s_add_u32 s6, s34, s6
	s_addc_u32 s7, s35, 0
	s_mov_b32 s16, s64
.LBB103_30:                             ;   Parent Loop BB103_9 Depth=1
                                        ; =>  This Inner Loop Header: Depth=2
	s_load_dwordx2 s[18:19], s[6:7], 0x4
	s_load_dword s17, s[6:7], 0xc
	s_load_dword s20, s[4:5], 0x0
	s_add_u32 s6, s6, 12
	s_addc_u32 s7, s7, 0
	s_waitcnt lgkmcnt(0)
	v_mul_hi_u32 v9, s19, v7
	v_add_u32_e32 v9, v7, v9
	v_lshrrev_b32_e32 v9, s17, v9
	s_add_u32 s4, s4, 4
	v_mul_lo_u32 v10, v9, s18
	s_addc_u32 s5, s5, 0
	s_add_i32 s16, s16, -1
	v_sub_u32_e32 v10, v7, v10
	s_cmp_lg_u32 s16, 0
	v_mov_b32_e32 v7, v9
	v_mad_u64_u32 v[8:9], s[18:19], v10, s20, v[8:9]
	s_cbranch_scc1 .LBB103_30
.LBB103_31:                             ;   in Loop: Header=BB103_9 Depth=1
	s_cbranch_execnz .LBB103_34
.LBB103_32:                             ;   in Loop: Header=BB103_9 Depth=1
	v_mul_hi_u32 v7, v14, s10
	v_add_u32_e32 v7, v7, v14
	v_lshrrev_b32_e32 v7, s11, v7
	v_mul_lo_u32 v8, v7, s9
	v_sub_u32_e32 v8, v14, v8
	s_andn2_b64 vcc, exec, s[42:43]
	s_waitcnt lgkmcnt(0)
	v_mul_lo_u32 v8, v8, s44
	s_cbranch_vccnz .LBB103_34
; %bb.33:                               ;   in Loop: Header=BB103_9 Depth=1
	v_mul_hi_u32 v9, s8, v7
	v_add_u32_e32 v9, v7, v9
	v_lshrrev_b32_e32 v9, s14, v9
	v_mul_lo_u32 v9, v9, s12
	v_sub_u32_e32 v7, v7, v9
	v_mad_u64_u32 v[8:9], s[4:5], v7, s45, v[8:9]
.LBB103_34:                             ;   in Loop: Header=BB103_9 Depth=1
	v_mul_hi_u32 v7, v0, s66
	v_lshrrev_b32_e32 v7, 8, v7
	v_mul_u32_u24_e32 v7, 0x101, v7
	v_sub_u32_e32 v0, v0, v7
	v_cvt_f32_u32_e32 v0, v0
	v_bfe_u32 v7, v0, 16, 1
	v_add3_u32 v0, v0, v7, s67
	s_waitcnt lgkmcnt(0)
	global_store_short_d16_hi v8, v0, s[46:47]
.LBB103_35:                             ;   in Loop: Header=BB103_9 Depth=1
	s_or_b64 exec, exec, s[2:3]
	v_mov_b32_e32 v0, s59
	v_add_co_u32_e32 v8, vcc, s33, v14
	v_addc_co_u32_e32 v9, vcc, v15, v0, vcc
	v_cmp_gt_i64_e32 vcc, s[24:25], v[8:9]
	s_and_saveexec_b64 s[2:3], vcc
	s_cbranch_execz .LBB103_51
; %bb.36:                               ;   in Loop: Header=BB103_9 Depth=1
	s_and_b64 vcc, exec, s[0:1]
	s_cbranch_vccnz .LBB103_42
; %bb.37:                               ;   in Loop: Header=BB103_9 Depth=1
	s_andn2_b64 vcc, exec, s[38:39]
	s_cbranch_vccnz .LBB103_43
; %bb.38:                               ;   in Loop: Header=BB103_9 Depth=1
	s_mov_b32 s6, 0
	s_andn2_b64 vcc, exec, s[48:49]
	v_mov_b32_e32 v10, 0
	s_cbranch_vccnz .LBB103_44
; %bb.39:                               ;   in Loop: Header=BB103_9 Depth=1
	s_mov_b32 s68, 0
	v_mov_b32_e32 v10, 0
	s_mov_b64 s[54:55], s[34:35]
	s_mov_b64 s[56:57], s[40:41]
	v_mov_b32_e32 v0, v8
.LBB103_40:                             ;   Parent Loop BB103_9 Depth=1
                                        ; =>  This Inner Loop Header: Depth=2
	s_load_dwordx8 s[16:23], s[54:55], 0x4
	s_load_dwordx4 s[4:7], s[54:55], 0x24
	s_load_dwordx4 s[28:31], s[56:57], 0x0
	s_add_u32 s54, s54, 48
	s_addc_u32 s55, s55, 0
	s_waitcnt lgkmcnt(0)
	v_mul_hi_u32 v7, s17, v0
	v_add_u32_e32 v7, v0, v7
	v_lshrrev_b32_e32 v7, s18, v7
	v_mul_lo_u32 v9, v7, s16
	v_mul_hi_u32 v11, s20, v7
	v_sub_u32_e32 v0, v0, v9
	v_add_u32_e32 v9, v7, v11
	v_lshrrev_b32_e32 v9, s21, v9
	v_mul_lo_u32 v11, v9, s19
	v_mul_hi_u32 v17, s23, v9
	v_sub_u32_e32 v7, v7, v11
	v_add_u32_e32 v11, v9, v17
	v_mul_lo_u32 v0, v0, s28
	v_mul_lo_u32 v7, v7, s29
	v_lshrrev_b32_e32 v11, s4, v11
	v_add3_u32 v7, v0, v10, v7
	v_mul_lo_u32 v0, v11, s22
	v_mul_hi_u32 v10, s6, v11
	v_sub_u32_e32 v0, v9, v0
	v_add_u32_e32 v9, v11, v10
	v_mul_lo_u32 v10, v0, s30
	v_lshrrev_b32_e32 v0, s7, v9
	s_add_i32 s68, s68, 4
	v_mul_lo_u32 v9, v0, s5
	s_add_u32 s56, s56, 16
	v_sub_u32_e32 v9, v11, v9
	s_addc_u32 s57, s57, 0
	v_mul_lo_u32 v9, v9, s31
	s_cmp_eq_u32 s65, s68
	v_add3_u32 v10, v10, v7, v9
	s_cbranch_scc0 .LBB103_40
; %bb.41:                               ;   in Loop: Header=BB103_9 Depth=1
	s_mov_b32 s6, s65
	s_andn2_b64 vcc, exec, s[52:53]
	s_cbranch_vccz .LBB103_45
	s_branch .LBB103_47
.LBB103_42:                             ;   in Loop: Header=BB103_9 Depth=1
                                        ; implicit-def: $vgpr10
	s_branch .LBB103_48
.LBB103_43:                             ;   in Loop: Header=BB103_9 Depth=1
	v_mov_b32_e32 v10, 0
	s_branch .LBB103_47
.LBB103_44:                             ;   in Loop: Header=BB103_9 Depth=1
	v_mov_b32_e32 v0, v8
	s_andn2_b64 vcc, exec, s[52:53]
	s_cbranch_vccnz .LBB103_47
.LBB103_45:                             ;   in Loop: Header=BB103_9 Depth=1
	s_lshl_b32 s4, s6, 2
	s_add_u32 s4, s40, s4
	s_addc_u32 s5, s41, 0
	s_mul_i32 s6, s6, 12
	s_add_u32 s6, s34, s6
	s_addc_u32 s7, s35, 0
	s_mov_b32 s16, s64
.LBB103_46:                             ;   Parent Loop BB103_9 Depth=1
                                        ; =>  This Inner Loop Header: Depth=2
	s_load_dwordx2 s[18:19], s[6:7], 0x4
	s_load_dword s17, s[6:7], 0xc
	s_load_dword s20, s[4:5], 0x0
	s_add_u32 s6, s6, 12
	s_addc_u32 s7, s7, 0
	s_waitcnt lgkmcnt(0)
	v_mul_hi_u32 v7, s19, v0
	v_add_u32_e32 v7, v0, v7
	v_lshrrev_b32_e32 v7, s17, v7
	s_add_u32 s4, s4, 4
	v_mul_lo_u32 v9, v7, s18
	s_addc_u32 s5, s5, 0
	s_add_i32 s16, s16, -1
	v_sub_u32_e32 v9, v0, v9
	s_cmp_lg_u32 s16, 0
	v_mov_b32_e32 v0, v7
	v_mad_u64_u32 v[10:11], s[18:19], v9, s20, v[10:11]
	s_cbranch_scc1 .LBB103_46
.LBB103_47:                             ;   in Loop: Header=BB103_9 Depth=1
	s_cbranch_execnz .LBB103_50
.LBB103_48:                             ;   in Loop: Header=BB103_9 Depth=1
	v_mul_hi_u32 v0, v8, s10
	v_add_u32_e32 v0, v0, v8
	v_lshrrev_b32_e32 v0, s11, v0
	v_mul_lo_u32 v7, v0, s9
	v_sub_u32_e32 v7, v8, v7
	s_andn2_b64 vcc, exec, s[42:43]
	s_waitcnt lgkmcnt(0)
	v_mul_lo_u32 v10, v7, s44
	s_cbranch_vccnz .LBB103_50
; %bb.49:                               ;   in Loop: Header=BB103_9 Depth=1
	v_mul_hi_u32 v7, s8, v0
	v_add_u32_e32 v7, v0, v7
	v_lshrrev_b32_e32 v7, s14, v7
	v_mul_lo_u32 v7, v7, s12
	v_sub_u32_e32 v0, v0, v7
	v_mad_u64_u32 v[10:11], s[4:5], v0, s45, v[10:11]
.LBB103_50:                             ;   in Loop: Header=BB103_9 Depth=1
	v_mul_hi_u32 v0, v1, s66
	v_lshrrev_b32_e32 v0, 8, v0
	v_mul_u32_u24_e32 v0, 0x101, v0
	v_sub_u32_e32 v0, v1, v0
	v_cvt_f32_u32_e32 v0, v0
	v_bfe_u32 v1, v0, 16, 1
	v_add3_u32 v0, v0, v1, s67
	s_waitcnt lgkmcnt(0)
	global_store_short_d16_hi v10, v0, s[46:47]
.LBB103_51:                             ;   in Loop: Header=BB103_9 Depth=1
	s_or_b64 exec, exec, s[2:3]
	v_mov_b32_e32 v1, s15
	v_add_co_u32_e32 v0, vcc, s13, v14
	v_addc_co_u32_e32 v1, vcc, v15, v1, vcc
	v_cmp_gt_i64_e32 vcc, s[24:25], v[0:1]
	s_and_saveexec_b64 s[2:3], vcc
	s_cbranch_execz .LBB103_67
; %bb.52:                               ;   in Loop: Header=BB103_9 Depth=1
	s_and_b64 vcc, exec, s[0:1]
	s_cbranch_vccnz .LBB103_58
; %bb.53:                               ;   in Loop: Header=BB103_9 Depth=1
	s_andn2_b64 vcc, exec, s[38:39]
	s_cbranch_vccnz .LBB103_59
; %bb.54:                               ;   in Loop: Header=BB103_9 Depth=1
	s_mov_b32 s6, 0
	s_andn2_b64 vcc, exec, s[48:49]
	v_mov_b32_e32 v8, 0
	s_cbranch_vccnz .LBB103_60
; %bb.55:                               ;   in Loop: Header=BB103_9 Depth=1
	s_mov_b32 s68, 0
	v_mov_b32_e32 v8, 0
	s_mov_b64 s[54:55], s[34:35]
	s_mov_b64 s[56:57], s[40:41]
	v_mov_b32_e32 v1, v0
.LBB103_56:                             ;   Parent Loop BB103_9 Depth=1
                                        ; =>  This Inner Loop Header: Depth=2
	s_load_dwordx8 s[16:23], s[54:55], 0x4
	s_load_dwordx4 s[4:7], s[54:55], 0x24
	s_load_dwordx4 s[28:31], s[56:57], 0x0
	s_add_u32 s54, s54, 48
	s_addc_u32 s55, s55, 0
	s_waitcnt lgkmcnt(0)
	v_mul_hi_u32 v7, s17, v1
	v_add_u32_e32 v7, v1, v7
	v_lshrrev_b32_e32 v7, s18, v7
	v_mul_lo_u32 v9, v7, s16
	v_mul_hi_u32 v10, s20, v7
	v_sub_u32_e32 v1, v1, v9
	v_add_u32_e32 v9, v7, v10
	v_lshrrev_b32_e32 v9, s21, v9
	v_mul_lo_u32 v10, v9, s19
	v_mul_hi_u32 v11, s23, v9
	v_sub_u32_e32 v7, v7, v10
	v_add_u32_e32 v10, v9, v11
	v_mul_lo_u32 v1, v1, s28
	v_mul_lo_u32 v7, v7, s29
	v_lshrrev_b32_e32 v10, s4, v10
	v_add3_u32 v7, v1, v8, v7
	v_mul_lo_u32 v1, v10, s22
	v_mul_hi_u32 v8, s6, v10
	v_sub_u32_e32 v1, v9, v1
	v_add_u32_e32 v8, v10, v8
	v_mul_lo_u32 v9, v1, s30
	v_lshrrev_b32_e32 v1, s7, v8
	s_add_i32 s68, s68, 4
	v_mul_lo_u32 v8, v1, s5
	s_add_u32 s56, s56, 16
	v_sub_u32_e32 v8, v10, v8
	s_addc_u32 s57, s57, 0
	v_mul_lo_u32 v8, v8, s31
	s_cmp_eq_u32 s65, s68
	v_add3_u32 v8, v9, v7, v8
	s_cbranch_scc0 .LBB103_56
; %bb.57:                               ;   in Loop: Header=BB103_9 Depth=1
	s_mov_b32 s6, s65
	s_andn2_b64 vcc, exec, s[52:53]
	s_cbranch_vccz .LBB103_61
	s_branch .LBB103_63
.LBB103_58:                             ;   in Loop: Header=BB103_9 Depth=1
                                        ; implicit-def: $vgpr8
	s_branch .LBB103_64
.LBB103_59:                             ;   in Loop: Header=BB103_9 Depth=1
	v_mov_b32_e32 v8, 0
	s_branch .LBB103_63
.LBB103_60:                             ;   in Loop: Header=BB103_9 Depth=1
	v_mov_b32_e32 v1, v0
	s_andn2_b64 vcc, exec, s[52:53]
	s_cbranch_vccnz .LBB103_63
.LBB103_61:                             ;   in Loop: Header=BB103_9 Depth=1
	s_lshl_b32 s4, s6, 2
	s_add_u32 s4, s40, s4
	s_addc_u32 s5, s41, 0
	s_mul_i32 s6, s6, 12
	s_add_u32 s6, s34, s6
	s_addc_u32 s7, s35, 0
	s_mov_b32 s16, s64
.LBB103_62:                             ;   Parent Loop BB103_9 Depth=1
                                        ; =>  This Inner Loop Header: Depth=2
	s_load_dwordx2 s[18:19], s[6:7], 0x4
	s_load_dword s17, s[6:7], 0xc
	s_load_dword s20, s[4:5], 0x0
	s_add_u32 s6, s6, 12
	s_addc_u32 s7, s7, 0
	s_waitcnt lgkmcnt(0)
	v_mul_hi_u32 v7, s19, v1
	v_add_u32_e32 v7, v1, v7
	v_lshrrev_b32_e32 v7, s17, v7
	s_add_u32 s4, s4, 4
	v_mul_lo_u32 v9, v7, s18
	s_addc_u32 s5, s5, 0
	s_add_i32 s16, s16, -1
	v_sub_u32_e32 v9, v1, v9
	s_cmp_lg_u32 s16, 0
	v_mov_b32_e32 v1, v7
	v_mad_u64_u32 v[8:9], s[18:19], v9, s20, v[8:9]
	s_cbranch_scc1 .LBB103_62
.LBB103_63:                             ;   in Loop: Header=BB103_9 Depth=1
	s_cbranch_execnz .LBB103_66
.LBB103_64:                             ;   in Loop: Header=BB103_9 Depth=1
	v_mul_hi_u32 v1, v0, s10
	v_add_u32_e32 v1, v1, v0
	v_lshrrev_b32_e32 v1, s11, v1
	v_mul_lo_u32 v7, v1, s9
	v_sub_u32_e32 v0, v0, v7
	s_andn2_b64 vcc, exec, s[42:43]
	s_waitcnt lgkmcnt(0)
	v_mul_lo_u32 v8, v0, s44
	s_cbranch_vccnz .LBB103_66
; %bb.65:                               ;   in Loop: Header=BB103_9 Depth=1
	v_mul_hi_u32 v0, s8, v1
	v_add_u32_e32 v0, v1, v0
	v_lshrrev_b32_e32 v0, s14, v0
	v_mul_lo_u32 v0, v0, s12
	v_sub_u32_e32 v0, v1, v0
	v_mad_u64_u32 v[8:9], s[4:5], v0, s45, v[8:9]
.LBB103_66:                             ;   in Loop: Header=BB103_9 Depth=1
	v_mul_hi_u32 v0, v2, s66
	v_lshrrev_b32_e32 v0, 8, v0
	v_mul_u32_u24_e32 v0, 0x101, v0
	v_sub_u32_e32 v0, v2, v0
	v_cvt_f32_u32_e32 v0, v0
	v_bfe_u32 v1, v0, 16, 1
	v_add3_u32 v0, v0, v1, s67
	s_waitcnt lgkmcnt(0)
	global_store_short_d16_hi v8, v0, s[46:47]
.LBB103_67:                             ;   in Loop: Header=BB103_9 Depth=1
	s_or_b64 exec, exec, s[2:3]
	v_mov_b32_e32 v1, s63
	v_add_co_u32_e32 v0, vcc, s62, v14
	v_addc_co_u32_e32 v1, vcc, v15, v1, vcc
	v_cmp_gt_i64_e32 vcc, s[24:25], v[0:1]
	s_and_saveexec_b64 s[28:29], vcc
	s_cbranch_execz .LBB103_8
; %bb.68:                               ;   in Loop: Header=BB103_9 Depth=1
	s_and_b64 vcc, exec, s[0:1]
	s_cbranch_vccnz .LBB103_74
; %bb.69:                               ;   in Loop: Header=BB103_9 Depth=1
	s_andn2_b64 vcc, exec, s[38:39]
	s_cbranch_vccnz .LBB103_75
; %bb.70:                               ;   in Loop: Header=BB103_9 Depth=1
	s_mov_b32 s2, 0
	s_andn2_b64 vcc, exec, s[48:49]
	v_mov_b32_e32 v8, 0
	s_cbranch_vccnz .LBB103_76
; %bb.71:                               ;   in Loop: Header=BB103_9 Depth=1
	s_mov_b32 s56, 0
	v_mov_b32_e32 v8, 0
	s_mov_b64 s[30:31], s[34:35]
	s_mov_b64 s[54:55], s[40:41]
	v_mov_b32_e32 v1, v0
.LBB103_72:                             ;   Parent Loop BB103_9 Depth=1
                                        ; =>  This Inner Loop Header: Depth=2
	s_load_dwordx8 s[0:7], s[30:31], 0x4
	s_load_dwordx4 s[16:19], s[30:31], 0x24
	s_load_dwordx4 s[20:23], s[54:55], 0x0
	s_add_u32 s30, s30, 48
	s_addc_u32 s31, s31, 0
	s_waitcnt lgkmcnt(0)
	v_mul_hi_u32 v2, s1, v1
	v_add_u32_e32 v2, v1, v2
	v_lshrrev_b32_e32 v2, s2, v2
	v_mul_lo_u32 v7, v2, s0
	v_mul_hi_u32 v9, s4, v2
	v_sub_u32_e32 v1, v1, v7
	v_add_u32_e32 v7, v2, v9
	v_lshrrev_b32_e32 v7, s5, v7
	v_mul_lo_u32 v9, v7, s3
	v_mul_hi_u32 v10, s7, v7
	v_sub_u32_e32 v2, v2, v9
	v_add_u32_e32 v9, v7, v10
	v_mul_lo_u32 v1, v1, s20
	v_mul_lo_u32 v2, v2, s21
	v_lshrrev_b32_e32 v9, s16, v9
	v_add3_u32 v2, v1, v8, v2
	v_mul_lo_u32 v1, v9, s6
	v_mul_hi_u32 v8, s18, v9
	v_sub_u32_e32 v1, v7, v1
	v_add_u32_e32 v7, v9, v8
	v_mul_lo_u32 v8, v1, s22
	v_lshrrev_b32_e32 v1, s19, v7
	s_add_i32 s56, s56, 4
	v_mul_lo_u32 v7, v1, s17
	s_add_u32 s54, s54, 16
	v_sub_u32_e32 v7, v9, v7
	s_addc_u32 s55, s55, 0
	v_mul_lo_u32 v7, v7, s23
	s_cmp_eq_u32 s65, s56
	v_add3_u32 v8, v8, v2, v7
	s_cbranch_scc0 .LBB103_72
; %bb.73:                               ;   in Loop: Header=BB103_9 Depth=1
	s_mov_b32 s2, s65
	s_andn2_b64 vcc, exec, s[52:53]
	s_cbranch_vccz .LBB103_77
	s_branch .LBB103_79
.LBB103_74:                             ;   in Loop: Header=BB103_9 Depth=1
                                        ; implicit-def: $vgpr8
	s_branch .LBB103_80
.LBB103_75:                             ;   in Loop: Header=BB103_9 Depth=1
	v_mov_b32_e32 v8, 0
	s_branch .LBB103_79
.LBB103_76:                             ;   in Loop: Header=BB103_9 Depth=1
	v_mov_b32_e32 v1, v0
	s_andn2_b64 vcc, exec, s[52:53]
	s_cbranch_vccnz .LBB103_79
.LBB103_77:                             ;   in Loop: Header=BB103_9 Depth=1
	s_lshl_b32 s0, s2, 2
	s_add_u32 s0, s40, s0
	s_addc_u32 s1, s41, 0
	s_mul_i32 s2, s2, 12
	s_add_u32 s2, s34, s2
	s_addc_u32 s3, s35, 0
	s_mov_b32 s4, s64
.LBB103_78:                             ;   Parent Loop BB103_9 Depth=1
                                        ; =>  This Inner Loop Header: Depth=2
	s_load_dwordx2 s[6:7], s[2:3], 0x4
	s_load_dword s5, s[2:3], 0xc
	s_load_dword s16, s[0:1], 0x0
	s_add_u32 s2, s2, 12
	s_addc_u32 s3, s3, 0
	s_waitcnt lgkmcnt(0)
	v_mul_hi_u32 v2, s7, v1
	v_add_u32_e32 v2, v1, v2
	v_lshrrev_b32_e32 v2, s5, v2
	s_add_u32 s0, s0, 4
	v_mul_lo_u32 v7, v2, s6
	s_addc_u32 s1, s1, 0
	s_add_i32 s4, s4, -1
	v_sub_u32_e32 v7, v1, v7
	s_cmp_lg_u32 s4, 0
	v_mov_b32_e32 v1, v2
	v_mad_u64_u32 v[8:9], s[6:7], v7, s16, v[8:9]
	s_cbranch_scc1 .LBB103_78
.LBB103_79:                             ;   in Loop: Header=BB103_9 Depth=1
	s_cbranch_execnz .LBB103_7
.LBB103_80:                             ;   in Loop: Header=BB103_9 Depth=1
	v_mul_hi_u32 v1, v0, s10
	v_add_u32_e32 v1, v1, v0
	v_lshrrev_b32_e32 v1, s11, v1
	v_mul_lo_u32 v2, v1, s9
	v_sub_u32_e32 v0, v0, v2
	s_andn2_b64 vcc, exec, s[42:43]
	s_waitcnt lgkmcnt(0)
	v_mul_lo_u32 v8, v0, s44
	s_cbranch_vccnz .LBB103_7
; %bb.81:                               ;   in Loop: Header=BB103_9 Depth=1
	v_mul_hi_u32 v0, s8, v1
	v_add_u32_e32 v0, v1, v0
	v_lshrrev_b32_e32 v0, s14, v0
	v_mul_lo_u32 v0, v0, s12
	v_sub_u32_e32 v0, v1, v0
	v_mad_u64_u32 v[8:9], s[0:1], v0, s45, v[8:9]
	s_branch .LBB103_7
.LBB103_82:
	s_endpgm
.LBB103_83:
                                        ; implicit-def: $sgpr2_sgpr3
	s_andn2_b64 vcc, exec, s[0:1]
	s_cbranch_vccz .LBB103_4
	s_branch .LBB103_5
	.section	.rodata,"a",@progbits
	.p2align	6, 0x0
	.amdhsa_kernel _ZN2at6native12_GLOBAL__N_143distribution_elementwise_grid_stride_kernelIjLi4EZZZNS0_9templates4cuda13random_kernelIPNS_17CUDAGeneratorImplEEEvRNS_18TensorIteratorBaseET_ENKUlvE_clEvENKUlvE7_clEvEUlP25hiprandStatePhilox4_32_10E0_ZNS1_27distribution_nullary_kernelIN3c108BFloat16Ej15HIP_vector_typeIjLj4EES7_SF_ZZZNS5_IS7_EEvS9_SA_ENKSB_clEvENKSC_clEvEUljE_EEvS9_T2_RKT3_T4_EUlijE0_EEvlNS_15PhiloxCudaStateET1_SM_
		.amdhsa_group_segment_fixed_size 0
		.amdhsa_private_segment_fixed_size 0
		.amdhsa_kernarg_size 584
		.amdhsa_user_sgpr_count 6
		.amdhsa_user_sgpr_private_segment_buffer 1
		.amdhsa_user_sgpr_dispatch_ptr 0
		.amdhsa_user_sgpr_queue_ptr 0
		.amdhsa_user_sgpr_kernarg_segment_ptr 1
		.amdhsa_user_sgpr_dispatch_id 0
		.amdhsa_user_sgpr_flat_scratch_init 0
		.amdhsa_user_sgpr_kernarg_preload_length 0
		.amdhsa_user_sgpr_kernarg_preload_offset 0
		.amdhsa_user_sgpr_private_segment_size 0
		.amdhsa_uses_dynamic_stack 0
		.amdhsa_system_sgpr_private_segment_wavefront_offset 0
		.amdhsa_system_sgpr_workgroup_id_x 1
		.amdhsa_system_sgpr_workgroup_id_y 0
		.amdhsa_system_sgpr_workgroup_id_z 0
		.amdhsa_system_sgpr_workgroup_info 0
		.amdhsa_system_vgpr_workitem_id 0
		.amdhsa_next_free_vgpr 41
		.amdhsa_next_free_sgpr 69
		.amdhsa_accum_offset 44
		.amdhsa_reserve_vcc 1
		.amdhsa_reserve_flat_scratch 0
		.amdhsa_float_round_mode_32 0
		.amdhsa_float_round_mode_16_64 0
		.amdhsa_float_denorm_mode_32 3
		.amdhsa_float_denorm_mode_16_64 3
		.amdhsa_dx10_clamp 1
		.amdhsa_ieee_mode 1
		.amdhsa_fp16_overflow 0
		.amdhsa_tg_split 0
		.amdhsa_exception_fp_ieee_invalid_op 0
		.amdhsa_exception_fp_denorm_src 0
		.amdhsa_exception_fp_ieee_div_zero 0
		.amdhsa_exception_fp_ieee_overflow 0
		.amdhsa_exception_fp_ieee_underflow 0
		.amdhsa_exception_fp_ieee_inexact 0
		.amdhsa_exception_int_div_zero 0
	.end_amdhsa_kernel
	.section	.text._ZN2at6native12_GLOBAL__N_143distribution_elementwise_grid_stride_kernelIjLi4EZZZNS0_9templates4cuda13random_kernelIPNS_17CUDAGeneratorImplEEEvRNS_18TensorIteratorBaseET_ENKUlvE_clEvENKUlvE7_clEvEUlP25hiprandStatePhilox4_32_10E0_ZNS1_27distribution_nullary_kernelIN3c108BFloat16Ej15HIP_vector_typeIjLj4EES7_SF_ZZZNS5_IS7_EEvS9_SA_ENKSB_clEvENKSC_clEvEUljE_EEvS9_T2_RKT3_T4_EUlijE0_EEvlNS_15PhiloxCudaStateET1_SM_,"axG",@progbits,_ZN2at6native12_GLOBAL__N_143distribution_elementwise_grid_stride_kernelIjLi4EZZZNS0_9templates4cuda13random_kernelIPNS_17CUDAGeneratorImplEEEvRNS_18TensorIteratorBaseET_ENKUlvE_clEvENKUlvE7_clEvEUlP25hiprandStatePhilox4_32_10E0_ZNS1_27distribution_nullary_kernelIN3c108BFloat16Ej15HIP_vector_typeIjLj4EES7_SF_ZZZNS5_IS7_EEvS9_SA_ENKSB_clEvENKSC_clEvEUljE_EEvS9_T2_RKT3_T4_EUlijE0_EEvlNS_15PhiloxCudaStateET1_SM_,comdat
.Lfunc_end103:
	.size	_ZN2at6native12_GLOBAL__N_143distribution_elementwise_grid_stride_kernelIjLi4EZZZNS0_9templates4cuda13random_kernelIPNS_17CUDAGeneratorImplEEEvRNS_18TensorIteratorBaseET_ENKUlvE_clEvENKUlvE7_clEvEUlP25hiprandStatePhilox4_32_10E0_ZNS1_27distribution_nullary_kernelIN3c108BFloat16Ej15HIP_vector_typeIjLj4EES7_SF_ZZZNS5_IS7_EEvS9_SA_ENKSB_clEvENKSC_clEvEUljE_EEvS9_T2_RKT3_T4_EUlijE0_EEvlNS_15PhiloxCudaStateET1_SM_, .Lfunc_end103-_ZN2at6native12_GLOBAL__N_143distribution_elementwise_grid_stride_kernelIjLi4EZZZNS0_9templates4cuda13random_kernelIPNS_17CUDAGeneratorImplEEEvRNS_18TensorIteratorBaseET_ENKUlvE_clEvENKUlvE7_clEvEUlP25hiprandStatePhilox4_32_10E0_ZNS1_27distribution_nullary_kernelIN3c108BFloat16Ej15HIP_vector_typeIjLj4EES7_SF_ZZZNS5_IS7_EEvS9_SA_ENKSB_clEvENKSC_clEvEUljE_EEvS9_T2_RKT3_T4_EUlijE0_EEvlNS_15PhiloxCudaStateET1_SM_
                                        ; -- End function
	.section	.AMDGPU.csdata,"",@progbits
; Kernel info:
; codeLenInByte = 4520
; NumSgprs: 73
; NumVgprs: 41
; NumAgprs: 0
; TotalNumVgprs: 41
; ScratchSize: 0
; MemoryBound: 0
; FloatMode: 240
; IeeeMode: 1
; LDSByteSize: 0 bytes/workgroup (compile time only)
; SGPRBlocks: 9
; VGPRBlocks: 5
; NumSGPRsForWavesPerEU: 73
; NumVGPRsForWavesPerEU: 41
; AccumOffset: 44
; Occupancy: 8
; WaveLimiterHint : 1
; COMPUTE_PGM_RSRC2:SCRATCH_EN: 0
; COMPUTE_PGM_RSRC2:USER_SGPR: 6
; COMPUTE_PGM_RSRC2:TRAP_HANDLER: 0
; COMPUTE_PGM_RSRC2:TGID_X_EN: 1
; COMPUTE_PGM_RSRC2:TGID_Y_EN: 0
; COMPUTE_PGM_RSRC2:TGID_Z_EN: 0
; COMPUTE_PGM_RSRC2:TIDIG_COMP_CNT: 0
; COMPUTE_PGM_RSRC3_GFX90A:ACCUM_OFFSET: 10
; COMPUTE_PGM_RSRC3_GFX90A:TG_SPLIT: 0
	.section	.text._ZN2at6native12_GLOBAL__N_143distribution_elementwise_grid_stride_kernelImLi2EZZZNS0_9templates4cuda13random_kernelIPNS_17CUDAGeneratorImplEEEvRNS_18TensorIteratorBaseET_ENKUlvE_clEvENKUlvE8_clEvEUlP25hiprandStatePhilox4_32_10E_ZNS1_27distribution_nullary_kernelIbm15HIP_vector_typeIyLj2EES7_SF_ZZZNS5_IS7_EEvS9_SA_ENKSB_clEvENKSC_clEvEUlmE_EEvS9_T2_RKT3_T4_EUlimE_EEvlNS_15PhiloxCudaStateET1_SK_,"axG",@progbits,_ZN2at6native12_GLOBAL__N_143distribution_elementwise_grid_stride_kernelImLi2EZZZNS0_9templates4cuda13random_kernelIPNS_17CUDAGeneratorImplEEEvRNS_18TensorIteratorBaseET_ENKUlvE_clEvENKUlvE8_clEvEUlP25hiprandStatePhilox4_32_10E_ZNS1_27distribution_nullary_kernelIbm15HIP_vector_typeIyLj2EES7_SF_ZZZNS5_IS7_EEvS9_SA_ENKSB_clEvENKSC_clEvEUlmE_EEvS9_T2_RKT3_T4_EUlimE_EEvlNS_15PhiloxCudaStateET1_SK_,comdat
	.globl	_ZN2at6native12_GLOBAL__N_143distribution_elementwise_grid_stride_kernelImLi2EZZZNS0_9templates4cuda13random_kernelIPNS_17CUDAGeneratorImplEEEvRNS_18TensorIteratorBaseET_ENKUlvE_clEvENKUlvE8_clEvEUlP25hiprandStatePhilox4_32_10E_ZNS1_27distribution_nullary_kernelIbm15HIP_vector_typeIyLj2EES7_SF_ZZZNS5_IS7_EEvS9_SA_ENKSB_clEvENKSC_clEvEUlmE_EEvS9_T2_RKT3_T4_EUlimE_EEvlNS_15PhiloxCudaStateET1_SK_ ; -- Begin function _ZN2at6native12_GLOBAL__N_143distribution_elementwise_grid_stride_kernelImLi2EZZZNS0_9templates4cuda13random_kernelIPNS_17CUDAGeneratorImplEEEvRNS_18TensorIteratorBaseET_ENKUlvE_clEvENKUlvE8_clEvEUlP25hiprandStatePhilox4_32_10E_ZNS1_27distribution_nullary_kernelIbm15HIP_vector_typeIyLj2EES7_SF_ZZZNS5_IS7_EEvS9_SA_ENKSB_clEvENKSC_clEvEUlmE_EEvS9_T2_RKT3_T4_EUlimE_EEvlNS_15PhiloxCudaStateET1_SK_
	.p2align	8
	.type	_ZN2at6native12_GLOBAL__N_143distribution_elementwise_grid_stride_kernelImLi2EZZZNS0_9templates4cuda13random_kernelIPNS_17CUDAGeneratorImplEEEvRNS_18TensorIteratorBaseET_ENKUlvE_clEvENKUlvE8_clEvEUlP25hiprandStatePhilox4_32_10E_ZNS1_27distribution_nullary_kernelIbm15HIP_vector_typeIyLj2EES7_SF_ZZZNS5_IS7_EEvS9_SA_ENKSB_clEvENKSC_clEvEUlmE_EEvS9_T2_RKT3_T4_EUlimE_EEvlNS_15PhiloxCudaStateET1_SK_,@function
_ZN2at6native12_GLOBAL__N_143distribution_elementwise_grid_stride_kernelImLi2EZZZNS0_9templates4cuda13random_kernelIPNS_17CUDAGeneratorImplEEEvRNS_18TensorIteratorBaseET_ENKUlvE_clEvENKUlvE8_clEvEUlP25hiprandStatePhilox4_32_10E_ZNS1_27distribution_nullary_kernelIbm15HIP_vector_typeIyLj2EES7_SF_ZZZNS5_IS7_EEvS9_SA_ENKSB_clEvENKSC_clEvEUlmE_EEvS9_T2_RKT3_T4_EUlimE_EEvlNS_15PhiloxCudaStateET1_SK_: ; @_ZN2at6native12_GLOBAL__N_143distribution_elementwise_grid_stride_kernelImLi2EZZZNS0_9templates4cuda13random_kernelIPNS_17CUDAGeneratorImplEEEvRNS_18TensorIteratorBaseET_ENKUlvE_clEvENKUlvE8_clEvEUlP25hiprandStatePhilox4_32_10E_ZNS1_27distribution_nullary_kernelIbm15HIP_vector_typeIyLj2EES7_SF_ZZZNS5_IS7_EEvS9_SA_ENKSB_clEvENKSC_clEvEUlmE_EEvS9_T2_RKT3_T4_EUlimE_EEvlNS_15PhiloxCudaStateET1_SK_
; %bb.0:
	s_load_dword s7, s[4:5], 0x20
	s_load_dwordx2 s[10:11], s[4:5], 0x10
	s_load_dwordx4 s[0:3], s[4:5], 0x0
	s_mov_b32 s8, 0
	s_waitcnt lgkmcnt(0)
	s_bitcmp0_b32 s7, 0
	v_pk_mov_b32 v[2:3], s[10:11], s[10:11] op_sel:[0,1]
	v_pk_mov_b32 v[12:13], s[2:3], s[2:3] op_sel:[0,1]
	s_cbranch_scc1 .LBB104_2
; %bb.1:
	v_pk_mov_b32 v[2:3], s[10:11], s[10:11] op_sel:[0,1]
	flat_load_dwordx2 v[2:3], v[2:3]
	v_pk_mov_b32 v[4:5], s[2:3], s[2:3] op_sel:[0,1]
	flat_load_dwordx2 v[12:13], v[4:5]
	s_load_dwordx2 s[2:3], s[4:5], 0x18
	s_waitcnt lgkmcnt(0)
	v_mov_b32_e32 v1, s3
	s_waitcnt vmcnt(0)
	v_add_co_u32_e32 v2, vcc, s2, v2
	v_addc_co_u32_e32 v3, vcc, v3, v1, vcc
.LBB104_2:
	s_load_dword s2, s[4:5], 0x4c
	s_load_dword s10, s[4:5], 0x40
	s_waitcnt lgkmcnt(0)
	s_and_b32 s7, s2, 0xffff
	s_add_u32 s11, s0, -1
	s_mul_i32 s12, s10, s7
	s_addc_u32 s9, s1, -1
	s_lshl_b32 s13, s12, 1
	s_cmp_lg_u64 s[8:9], 0
	s_mov_b64 s[2:3], -1
	s_cbranch_scc0 .LBB104_23
; %bb.3:
	v_cvt_f32_u32_e32 v1, s13
	v_cvt_f32_ubyte0_e32 v4, 0
	s_sub_u32 s8, 0, s13
	s_subb_u32 s14, 0, 0
	v_madmk_f32 v1, v4, 0x4f800000, v1
	v_rcp_f32_e32 v1, v1
	v_mul_f32_e32 v1, 0x5f7ffffc, v1
	v_mul_f32_e32 v4, 0x2f800000, v1
	v_trunc_f32_e32 v4, v4
	v_madmk_f32 v1, v4, 0xcf800000, v1
	v_cvt_u32_f32_e32 v4, v4
	v_cvt_u32_f32_e32 v1, v1
	v_readfirstlane_b32 s15, v4
	v_readfirstlane_b32 s16, v1
	s_mul_i32 s17, s8, s15
	s_mul_hi_u32 s19, s8, s16
	s_mul_i32 s18, s14, s16
	s_add_i32 s17, s19, s17
	s_add_i32 s17, s17, s18
	s_mul_i32 s20, s8, s16
	s_mul_hi_u32 s18, s16, s17
	s_mul_i32 s19, s16, s17
	s_mul_hi_u32 s16, s16, s20
	s_add_u32 s16, s16, s19
	s_addc_u32 s18, 0, s18
	s_mul_hi_u32 s21, s15, s20
	s_mul_i32 s20, s15, s20
	s_add_u32 s16, s16, s20
	s_mul_hi_u32 s19, s15, s17
	s_addc_u32 s16, s18, s21
	s_addc_u32 s18, s19, 0
	s_mul_i32 s17, s15, s17
	s_add_u32 s16, s16, s17
	s_addc_u32 s17, 0, s18
	v_add_co_u32_e32 v1, vcc, s16, v1
	s_cmp_lg_u64 vcc, 0
	s_addc_u32 s15, s15, s17
	v_readfirstlane_b32 s17, v1
	s_mul_i32 s16, s8, s15
	s_mul_hi_u32 s18, s8, s17
	s_add_i32 s16, s18, s16
	s_mul_i32 s14, s14, s17
	s_add_i32 s16, s16, s14
	s_mul_i32 s8, s8, s17
	s_mul_hi_u32 s18, s15, s8
	s_mul_i32 s19, s15, s8
	s_mul_i32 s21, s17, s16
	s_mul_hi_u32 s8, s17, s8
	s_mul_hi_u32 s20, s17, s16
	s_add_u32 s8, s8, s21
	s_addc_u32 s17, 0, s20
	s_add_u32 s8, s8, s19
	s_mul_hi_u32 s14, s15, s16
	s_addc_u32 s8, s17, s18
	s_addc_u32 s14, s14, 0
	s_mul_i32 s16, s15, s16
	s_add_u32 s8, s8, s16
	s_addc_u32 s14, 0, s14
	v_add_co_u32_e32 v1, vcc, s8, v1
	s_cmp_lg_u64 vcc, 0
	s_addc_u32 s16, s15, s14
	s_ashr_i32 s14, s9, 31
	s_add_u32 s8, s11, s14
	s_mov_b32 s15, s14
	s_addc_u32 s9, s9, s14
	s_xor_b64 s[8:9], s[8:9], s[14:15]
	v_readfirstlane_b32 s19, v1
	s_mul_i32 s18, s8, s16
	s_mul_hi_u32 s20, s8, s19
	s_mul_hi_u32 s17, s8, s16
	s_add_u32 s18, s20, s18
	s_addc_u32 s17, 0, s17
	s_mul_hi_u32 s21, s9, s19
	s_mul_i32 s19, s9, s19
	s_add_u32 s18, s18, s19
	s_mul_hi_u32 s20, s9, s16
	s_addc_u32 s17, s17, s21
	s_addc_u32 s18, s20, 0
	s_mul_i32 s16, s9, s16
	s_add_u32 s16, s17, s16
	s_addc_u32 s17, 0, s18
	s_add_u32 s18, s16, 1
	s_addc_u32 s19, s17, 0
	s_add_u32 s20, s16, 2
	s_mul_i32 s22, s13, s17
	s_mul_hi_u32 s23, s13, s16
	s_addc_u32 s21, s17, 0
	s_add_i32 s23, s23, s22
	s_mul_i32 s22, s13, s16
	v_mov_b32_e32 v1, s22
	v_sub_co_u32_e32 v1, vcc, s8, v1
	s_cmp_lg_u64 vcc, 0
	s_subb_u32 s8, s9, s23
	v_subrev_co_u32_e32 v4, vcc, s13, v1
	s_cmp_lg_u64 vcc, 0
	s_subb_u32 s9, s8, 0
	v_readfirstlane_b32 s22, v4
	s_cmp_ge_u32 s22, s13
	s_cselect_b32 s22, -1, 0
	s_cmp_eq_u32 s9, 0
	s_cselect_b32 s9, s22, -1
	s_cmp_lg_u32 s9, 0
	s_cselect_b32 s9, s21, s19
	v_readfirstlane_b32 s19, v1
	s_cselect_b32 s18, s20, s18
	s_cmp_ge_u32 s19, s13
	s_cselect_b32 s19, -1, 0
	s_cmp_eq_u32 s8, 0
	s_cselect_b32 s8, s19, -1
	s_cmp_lg_u32 s8, 0
	s_cselect_b32 s9, s9, s17
	s_cselect_b32 s8, s18, s16
	s_xor_b64 s[8:9], s[8:9], s[14:15]
	s_sub_u32 s8, s8, s14
	s_subb_u32 s9, s9, s14
	s_cbranch_execnz .LBB104_5
.LBB104_4:
	v_cvt_f32_u32_e32 v1, s13
	s_sub_i32 s2, 0, s13
	s_mov_b32 s9, 0
	v_rcp_iflag_f32_e32 v1, v1
	v_mul_f32_e32 v1, 0x4f7ffffe, v1
	v_cvt_u32_f32_e32 v1, v1
	v_readfirstlane_b32 s3, v1
	s_mul_i32 s2, s2, s3
	s_mul_hi_u32 s2, s3, s2
	s_add_i32 s3, s3, s2
	s_mul_hi_u32 s2, s11, s3
	s_mul_i32 s8, s2, s13
	s_sub_i32 s8, s11, s8
	s_add_i32 s3, s2, 1
	s_sub_i32 s11, s8, s13
	s_cmp_ge_u32 s8, s13
	s_cselect_b32 s2, s3, s2
	s_cselect_b32 s8, s11, s8
	s_add_i32 s3, s2, 1
	s_cmp_ge_u32 s8, s13
	s_cselect_b32 s8, s3, s2
.LBB104_5:
	v_mov_b32_e32 v1, 0
	v_mov_b32_e32 v4, s6
	v_mad_u64_u32 v[14:15], s[2:3], s7, v4, v[0:1]
	s_add_u32 s2, s8, 1
	s_addc_u32 s3, s9, 0
	s_mul_hi_u32 s8, s10, s7
	s_mul_i32 s3, s12, s3
	s_mul_hi_u32 s9, s12, s2
	s_add_i32 s3, s9, s3
	s_mul_i32 s8, s8, s2
	s_add_i32 s3, s3, s8
	s_mul_i32 s2, s12, s2
	s_lshl_b64 s[2:3], s[2:3], 1
	v_cmp_gt_i64_e32 vcc, s[2:3], v[14:15]
	s_and_saveexec_b64 s[8:9], vcc
	s_cbranch_execz .LBB104_22
; %bb.6:
	s_load_dwordx2 s[8:9], s[4:5], 0x30
	s_load_dword s11, s[4:5], 0x38
	s_mov_b32 s4, 0x5384540f
	v_mov_b32_e32 v4, v13
	v_add_co_u32_e32 v20, vcc, s4, v12
	s_mov_b32 s4, 0x646e171e
	v_add_co_u32_e32 v21, vcc, s4, v4
	s_mov_b32 s4, 0x1715609d
	;; [unrolled: 2-line block ×6, first 2 shown]
	v_alignbit_b32 v27, v3, v2, 2
	s_mov_b32 s15, 0xd2511f53
	v_add_co_u32_e32 v26, vcc, s4, v12
	v_mad_u64_u32 v[6:7], s[4:5], v27, s15, 0
	v_xor_b32_e32 v1, v7, v13
	v_xor_b32_e32 v1, v1, v15
	s_mov_b32 s16, 0xcd9e8d57
	v_mad_u64_u32 v[8:9], s[4:5], v1, s16, 0
	v_xor_b32_e32 v1, v26, v9
	v_mad_u64_u32 v[10:11], s[4:5], v14, s16, 0
	v_and_b32_e32 v16, 3, v2
	v_xor_b32_e32 v1, v1, v10
	v_xor_b32_e32 v2, v12, v11
	v_lshrrev_b32_e32 v28, 2, v3
	v_mad_u64_u32 v[32:33], s[4:5], v1, s15, 0
	v_xor_b32_e32 v2, v2, v28
	v_xor_b32_e32 v1, v25, v33
	v_mad_u64_u32 v[2:3], s[4:5], v2, s15, 0
	v_xor_b32_e32 v1, v1, v2
	v_mad_u64_u32 v[10:11], s[4:5], v1, s16, 0
	s_mov_b32 s4, 0xbb67ae85
	v_add_co_u32_e32 v29, vcc, s4, v4
	v_xor_b32_e32 v2, v29, v3
	v_xor_b32_e32 v2, v2, v6
	v_xor_b32_e32 v1, v24, v11
	v_mad_u64_u32 v[2:3], s[4:5], v2, s16, 0
	v_xor_b32_e32 v1, v1, v2
	v_mad_u64_u32 v[6:7], s[4:5], v1, s15, 0
	s_mov_b32 s4, 0x3c6ef372
	v_add_co_u32_e32 v30, vcc, s4, v12
	v_xor_b32_e32 v2, v30, v3
	;; [unrolled: 8-line block ×6, first 2 shown]
	v_add_co_u32_e32 v19, vcc, 0xdb3d7428, v4
	v_xor_b32_e32 v2, v2, v8
	v_xor_b32_e32 v1, v19, v7
	v_mad_u64_u32 v[2:3], s[4:5], v2, s15, 0
	v_xor_b32_e32 v1, v1, v2
	v_mad_u64_u32 v[8:9], s[4:5], v1, s16, 0
	s_mov_b32 s4, 0x1fd5c5a3
	v_add_co_u32_e32 v35, vcc, s4, v4
	v_xor_b32_e32 v1, v35, v3
	v_xor_b32_e32 v1, v1, v36
	v_mad_u64_u32 v[2:3], s[4:5], v1, s16, 0
	s_mov_b32 s4, 0xf1bbcdc8
	v_add_co_u32_e32 v36, vcc, s4, v12
	v_xor_b32_e32 v1, v36, v3
	v_xor_b32_e32 v1, v1, v10
	v_mad_u64_u32 v[4:5], s[4:5], v1, s15, 0
	s_mul_i32 s4, s6, s7
	v_mov_b32_e32 v3, v4
	v_add_u32_e32 v4, s4, v0
	s_waitcnt lgkmcnt(0)
	s_mul_i32 s4, s10, s11
	s_mul_i32 s4, s4, s7
	s_lshl_b32 s17, s4, 1
	s_add_i32 s4, s6, s10
	s_mul_i32 s4, s4, s7
	s_mov_b32 s14, 0
	v_add_u32_e32 v18, 0x96a522ad, v13
	v_xor_b32_e32 v1, v5, v6
	v_add_u32_e32 v0, s4, v0
	v_add_u32_e32 v17, 0x8ff34781, v12
	v_xor_b32_e32 v2, v18, v1
	v_mov_b32_e32 v1, v8
	v_mul_lo_u32 v37, s11, v4
	v_mul_lo_u32 v38, s11, v0
	s_mov_b64 s[4:5], 0
	s_mov_b32 s18, s14
	v_mov_b32_e32 v39, v14
	v_mov_b32_e32 v40, v15
	s_branch .LBB104_8
.LBB104_7:                              ;   in Loop: Header=BB104_8 Depth=1
	s_or_b64 exec, exec, s[6:7]
	v_add_co_u32_e32 v14, vcc, s13, v14
	v_addc_co_u32_e32 v15, vcc, 0, v15, vcc
	v_mov_b32_e32 v7, v4
	s_add_i32 s18, s18, s17
	v_cmp_le_i64_e32 vcc, s[2:3], v[14:15]
	v_pk_mov_b32 v[0:1], v[4:5], v[4:5] op_sel:[0,1]
	s_or_b64 s[4:5], vcc, s[4:5]
	v_pk_mov_b32 v[2:3], v[6:7], v[6:7] op_sel:[0,1]
	s_barrier
	s_andn2_b64 exec, exec, s[4:5]
	s_cbranch_execz .LBB104_22
.LBB104_8:                              ; =>This Inner Loop Header: Depth=1
	v_add_co_u32_e32 v27, vcc, 1, v27
	v_cndmask_b32_e64 v0, 0, 1, vcc
	v_addc_co_u32_e32 v28, vcc, 0, v28, vcc
	v_cmp_eq_u32_e32 vcc, 0, v28
	v_cndmask_b32_e32 v0, 0, v0, vcc
	v_add_u32_e32 v39, v0, v39
	v_cmp_eq_u32_e32 vcc, 0, v39
	v_cndmask_b32_e32 v0, 0, v0, vcc
	v_mad_u64_u32 v[4:5], s[6:7], v27, s15, 0
	v_add_u32_e32 v40, v0, v40
	v_mad_u64_u32 v[6:7], s[6:7], v39, s16, 0
	v_xor_b32_e32 v5, v5, v13
	v_xor_b32_e32 v0, v7, v12
	v_xor_b32_e32 v5, v40, v5
	v_xor_b32_e32 v0, v28, v0
	v_mad_u64_u32 v[10:11], s[6:7], v5, s16, 0
	v_mad_u64_u32 v[8:9], s[6:7], v0, s15, 0
	v_xor_b32_e32 v0, v26, v11
	v_xor_b32_e32 v0, v0, v6
	v_xor_b32_e32 v5, v29, v9
	v_xor_b32_e32 v6, v5, v4
	v_mad_u64_u32 v[4:5], s[6:7], v0, s15, 0
	;; [unrolled: 6-line block ×9, first 2 shown]
	v_mad_u64_u32 v[4:5], s[6:7], v0, s15, 0
	v_xor_b32_e32 v0, v11, v42
	v_xor_b32_e32 v8, v17, v0
	;; [unrolled: 1-line block ×4, first 2 shown]
	v_mov_b32_e32 v5, v10
	v_mov_b32_e32 v6, v9
	v_cmp_lt_i32_e32 vcc, 1, v16
	s_and_saveexec_b64 s[6:7], vcc
	s_xor_b64 s[6:7], exec, s[6:7]
	s_cbranch_execnz .LBB104_14
; %bb.9:                                ;   in Loop: Header=BB104_8 Depth=1
	s_andn2_saveexec_b64 s[6:7], s[6:7]
	s_cbranch_execnz .LBB104_19
.LBB104_10:                             ;   in Loop: Header=BB104_8 Depth=1
	s_or_b64 exec, exec, s[6:7]
	v_cmp_gt_i64_e32 vcc, s[0:1], v[14:15]
	s_and_saveexec_b64 s[6:7], vcc
	s_cbranch_execz .LBB104_12
.LBB104_11:                             ;   in Loop: Header=BB104_8 Depth=1
	v_add_u32_e32 v0, s18, v37
	v_ashrrev_i32_e32 v2, 31, v0
	v_mov_b32_e32 v7, s9
	v_add_co_u32_e32 v8, vcc, s8, v0
	v_addc_co_u32_e32 v9, vcc, v7, v2, vcc
	v_and_b32_e32 v0, 1, v1
	global_store_byte v[8:9], v0, off
.LBB104_12:                             ;   in Loop: Header=BB104_8 Depth=1
	s_or_b64 exec, exec, s[6:7]
	v_mov_b32_e32 v1, s14
	v_add_co_u32_e32 v0, vcc, s12, v14
	v_addc_co_u32_e32 v1, vcc, v1, v15, vcc
	v_cmp_gt_i64_e32 vcc, s[0:1], v[0:1]
	s_and_saveexec_b64 s[6:7], vcc
	s_cbranch_execz .LBB104_7
; %bb.13:                               ;   in Loop: Header=BB104_8 Depth=1
	v_add_u32_e32 v0, s18, v38
	v_ashrrev_i32_e32 v1, 31, v0
	v_mov_b32_e32 v2, s9
	v_add_co_u32_e32 v0, vcc, s8, v0
	v_addc_co_u32_e32 v1, vcc, v2, v1, vcc
	v_and_b32_e32 v2, 1, v3
	global_store_byte v[0:1], v2, off
	s_branch .LBB104_7
.LBB104_14:                             ;   in Loop: Header=BB104_8 Depth=1
	v_cmp_lt_i32_e32 vcc, 2, v16
	s_and_saveexec_b64 s[10:11], vcc
	s_xor_b64 s[10:11], exec, s[10:11]
; %bb.15:                               ;   in Loop: Header=BB104_8 Depth=1
	v_mov_b32_e32 v7, v8
	v_pk_mov_b32 v[0:1], v[6:7], v[6:7] op_sel:[0,1]
	v_pk_mov_b32 v[2:3], v[8:9], v[8:9] op_sel:[0,1]
                                        ; implicit-def: $vgpr10_vgpr11
; %bb.16:                               ;   in Loop: Header=BB104_8 Depth=1
	s_andn2_saveexec_b64 s[10:11], s[10:11]
; %bb.17:                               ;   in Loop: Header=BB104_8 Depth=1
	v_mov_b32_e32 v1, v3
	v_mov_b32_e32 v3, v10
; %bb.18:                               ;   in Loop: Header=BB104_8 Depth=1
	s_or_b64 exec, exec, s[10:11]
                                        ; implicit-def: $vgpr8_vgpr9_vgpr10_vgpr11
	s_andn2_saveexec_b64 s[6:7], s[6:7]
	s_cbranch_execz .LBB104_10
.LBB104_19:                             ;   in Loop: Header=BB104_8 Depth=1
	v_cmp_eq_u32_e32 vcc, 1, v16
	s_and_saveexec_b64 s[10:11], vcc
; %bb.20:                               ;   in Loop: Header=BB104_8 Depth=1
	v_mov_b32_e32 v1, v2
	v_mov_b32_e32 v3, v8
; %bb.21:                               ;   in Loop: Header=BB104_8 Depth=1
	s_or_b64 exec, exec, s[10:11]
	s_or_b64 exec, exec, s[6:7]
	v_cmp_gt_i64_e32 vcc, s[0:1], v[14:15]
	s_and_saveexec_b64 s[6:7], vcc
	s_cbranch_execnz .LBB104_11
	s_branch .LBB104_12
.LBB104_22:
	s_endpgm
.LBB104_23:
                                        ; implicit-def: $sgpr8_sgpr9
	s_andn2_b64 vcc, exec, s[2:3]
	s_cbranch_vccz .LBB104_4
	s_branch .LBB104_5
	.section	.rodata,"a",@progbits
	.p2align	6, 0x0
	.amdhsa_kernel _ZN2at6native12_GLOBAL__N_143distribution_elementwise_grid_stride_kernelImLi2EZZZNS0_9templates4cuda13random_kernelIPNS_17CUDAGeneratorImplEEEvRNS_18TensorIteratorBaseET_ENKUlvE_clEvENKUlvE8_clEvEUlP25hiprandStatePhilox4_32_10E_ZNS1_27distribution_nullary_kernelIbm15HIP_vector_typeIyLj2EES7_SF_ZZZNS5_IS7_EEvS9_SA_ENKSB_clEvENKSC_clEvEUlmE_EEvS9_T2_RKT3_T4_EUlimE_EEvlNS_15PhiloxCudaStateET1_SK_
		.amdhsa_group_segment_fixed_size 0
		.amdhsa_private_segment_fixed_size 0
		.amdhsa_kernarg_size 320
		.amdhsa_user_sgpr_count 6
		.amdhsa_user_sgpr_private_segment_buffer 1
		.amdhsa_user_sgpr_dispatch_ptr 0
		.amdhsa_user_sgpr_queue_ptr 0
		.amdhsa_user_sgpr_kernarg_segment_ptr 1
		.amdhsa_user_sgpr_dispatch_id 0
		.amdhsa_user_sgpr_flat_scratch_init 0
		.amdhsa_user_sgpr_kernarg_preload_length 0
		.amdhsa_user_sgpr_kernarg_preload_offset 0
		.amdhsa_user_sgpr_private_segment_size 0
		.amdhsa_uses_dynamic_stack 0
		.amdhsa_system_sgpr_private_segment_wavefront_offset 0
		.amdhsa_system_sgpr_workgroup_id_x 1
		.amdhsa_system_sgpr_workgroup_id_y 0
		.amdhsa_system_sgpr_workgroup_id_z 0
		.amdhsa_system_sgpr_workgroup_info 0
		.amdhsa_system_vgpr_workitem_id 0
		.amdhsa_next_free_vgpr 44
		.amdhsa_next_free_sgpr 24
		.amdhsa_accum_offset 44
		.amdhsa_reserve_vcc 1
		.amdhsa_reserve_flat_scratch 0
		.amdhsa_float_round_mode_32 0
		.amdhsa_float_round_mode_16_64 0
		.amdhsa_float_denorm_mode_32 3
		.amdhsa_float_denorm_mode_16_64 3
		.amdhsa_dx10_clamp 1
		.amdhsa_ieee_mode 1
		.amdhsa_fp16_overflow 0
		.amdhsa_tg_split 0
		.amdhsa_exception_fp_ieee_invalid_op 0
		.amdhsa_exception_fp_denorm_src 0
		.amdhsa_exception_fp_ieee_div_zero 0
		.amdhsa_exception_fp_ieee_overflow 0
		.amdhsa_exception_fp_ieee_underflow 0
		.amdhsa_exception_fp_ieee_inexact 0
		.amdhsa_exception_int_div_zero 0
	.end_amdhsa_kernel
	.section	.text._ZN2at6native12_GLOBAL__N_143distribution_elementwise_grid_stride_kernelImLi2EZZZNS0_9templates4cuda13random_kernelIPNS_17CUDAGeneratorImplEEEvRNS_18TensorIteratorBaseET_ENKUlvE_clEvENKUlvE8_clEvEUlP25hiprandStatePhilox4_32_10E_ZNS1_27distribution_nullary_kernelIbm15HIP_vector_typeIyLj2EES7_SF_ZZZNS5_IS7_EEvS9_SA_ENKSB_clEvENKSC_clEvEUlmE_EEvS9_T2_RKT3_T4_EUlimE_EEvlNS_15PhiloxCudaStateET1_SK_,"axG",@progbits,_ZN2at6native12_GLOBAL__N_143distribution_elementwise_grid_stride_kernelImLi2EZZZNS0_9templates4cuda13random_kernelIPNS_17CUDAGeneratorImplEEEvRNS_18TensorIteratorBaseET_ENKUlvE_clEvENKUlvE8_clEvEUlP25hiprandStatePhilox4_32_10E_ZNS1_27distribution_nullary_kernelIbm15HIP_vector_typeIyLj2EES7_SF_ZZZNS5_IS7_EEvS9_SA_ENKSB_clEvENKSC_clEvEUlmE_EEvS9_T2_RKT3_T4_EUlimE_EEvlNS_15PhiloxCudaStateET1_SK_,comdat
.Lfunc_end104:
	.size	_ZN2at6native12_GLOBAL__N_143distribution_elementwise_grid_stride_kernelImLi2EZZZNS0_9templates4cuda13random_kernelIPNS_17CUDAGeneratorImplEEEvRNS_18TensorIteratorBaseET_ENKUlvE_clEvENKUlvE8_clEvEUlP25hiprandStatePhilox4_32_10E_ZNS1_27distribution_nullary_kernelIbm15HIP_vector_typeIyLj2EES7_SF_ZZZNS5_IS7_EEvS9_SA_ENKSB_clEvENKSC_clEvEUlmE_EEvS9_T2_RKT3_T4_EUlimE_EEvlNS_15PhiloxCudaStateET1_SK_, .Lfunc_end104-_ZN2at6native12_GLOBAL__N_143distribution_elementwise_grid_stride_kernelImLi2EZZZNS0_9templates4cuda13random_kernelIPNS_17CUDAGeneratorImplEEEvRNS_18TensorIteratorBaseET_ENKUlvE_clEvENKUlvE8_clEvEUlP25hiprandStatePhilox4_32_10E_ZNS1_27distribution_nullary_kernelIbm15HIP_vector_typeIyLj2EES7_SF_ZZZNS5_IS7_EEvS9_SA_ENKSB_clEvENKSC_clEvEUlmE_EEvS9_T2_RKT3_T4_EUlimE_EEvlNS_15PhiloxCudaStateET1_SK_
                                        ; -- End function
	.section	.AMDGPU.csdata,"",@progbits
; Kernel info:
; codeLenInByte = 2140
; NumSgprs: 28
; NumVgprs: 44
; NumAgprs: 0
; TotalNumVgprs: 44
; ScratchSize: 0
; MemoryBound: 0
; FloatMode: 240
; IeeeMode: 1
; LDSByteSize: 0 bytes/workgroup (compile time only)
; SGPRBlocks: 3
; VGPRBlocks: 5
; NumSGPRsForWavesPerEU: 28
; NumVGPRsForWavesPerEU: 44
; AccumOffset: 44
; Occupancy: 8
; WaveLimiterHint : 0
; COMPUTE_PGM_RSRC2:SCRATCH_EN: 0
; COMPUTE_PGM_RSRC2:USER_SGPR: 6
; COMPUTE_PGM_RSRC2:TRAP_HANDLER: 0
; COMPUTE_PGM_RSRC2:TGID_X_EN: 1
; COMPUTE_PGM_RSRC2:TGID_Y_EN: 0
; COMPUTE_PGM_RSRC2:TGID_Z_EN: 0
; COMPUTE_PGM_RSRC2:TIDIG_COMP_CNT: 0
; COMPUTE_PGM_RSRC3_GFX90A:ACCUM_OFFSET: 10
; COMPUTE_PGM_RSRC3_GFX90A:TG_SPLIT: 0
	.section	.text._ZN2at6native12_GLOBAL__N_143distribution_elementwise_grid_stride_kernelImLi2EZZZNS0_9templates4cuda13random_kernelIPNS_17CUDAGeneratorImplEEEvRNS_18TensorIteratorBaseET_ENKUlvE_clEvENKUlvE8_clEvEUlP25hiprandStatePhilox4_32_10E_ZNS1_27distribution_nullary_kernelIbm15HIP_vector_typeIyLj2EES7_SF_ZZZNS5_IS7_EEvS9_SA_ENKSB_clEvENKSC_clEvEUlmE_EEvS9_T2_RKT3_T4_EUlimE0_EEvlNS_15PhiloxCudaStateET1_SK_,"axG",@progbits,_ZN2at6native12_GLOBAL__N_143distribution_elementwise_grid_stride_kernelImLi2EZZZNS0_9templates4cuda13random_kernelIPNS_17CUDAGeneratorImplEEEvRNS_18TensorIteratorBaseET_ENKUlvE_clEvENKUlvE8_clEvEUlP25hiprandStatePhilox4_32_10E_ZNS1_27distribution_nullary_kernelIbm15HIP_vector_typeIyLj2EES7_SF_ZZZNS5_IS7_EEvS9_SA_ENKSB_clEvENKSC_clEvEUlmE_EEvS9_T2_RKT3_T4_EUlimE0_EEvlNS_15PhiloxCudaStateET1_SK_,comdat
	.globl	_ZN2at6native12_GLOBAL__N_143distribution_elementwise_grid_stride_kernelImLi2EZZZNS0_9templates4cuda13random_kernelIPNS_17CUDAGeneratorImplEEEvRNS_18TensorIteratorBaseET_ENKUlvE_clEvENKUlvE8_clEvEUlP25hiprandStatePhilox4_32_10E_ZNS1_27distribution_nullary_kernelIbm15HIP_vector_typeIyLj2EES7_SF_ZZZNS5_IS7_EEvS9_SA_ENKSB_clEvENKSC_clEvEUlmE_EEvS9_T2_RKT3_T4_EUlimE0_EEvlNS_15PhiloxCudaStateET1_SK_ ; -- Begin function _ZN2at6native12_GLOBAL__N_143distribution_elementwise_grid_stride_kernelImLi2EZZZNS0_9templates4cuda13random_kernelIPNS_17CUDAGeneratorImplEEEvRNS_18TensorIteratorBaseET_ENKUlvE_clEvENKUlvE8_clEvEUlP25hiprandStatePhilox4_32_10E_ZNS1_27distribution_nullary_kernelIbm15HIP_vector_typeIyLj2EES7_SF_ZZZNS5_IS7_EEvS9_SA_ENKSB_clEvENKSC_clEvEUlmE_EEvS9_T2_RKT3_T4_EUlimE0_EEvlNS_15PhiloxCudaStateET1_SK_
	.p2align	8
	.type	_ZN2at6native12_GLOBAL__N_143distribution_elementwise_grid_stride_kernelImLi2EZZZNS0_9templates4cuda13random_kernelIPNS_17CUDAGeneratorImplEEEvRNS_18TensorIteratorBaseET_ENKUlvE_clEvENKUlvE8_clEvEUlP25hiprandStatePhilox4_32_10E_ZNS1_27distribution_nullary_kernelIbm15HIP_vector_typeIyLj2EES7_SF_ZZZNS5_IS7_EEvS9_SA_ENKSB_clEvENKSC_clEvEUlmE_EEvS9_T2_RKT3_T4_EUlimE0_EEvlNS_15PhiloxCudaStateET1_SK_,@function
_ZN2at6native12_GLOBAL__N_143distribution_elementwise_grid_stride_kernelImLi2EZZZNS0_9templates4cuda13random_kernelIPNS_17CUDAGeneratorImplEEEvRNS_18TensorIteratorBaseET_ENKUlvE_clEvENKUlvE8_clEvEUlP25hiprandStatePhilox4_32_10E_ZNS1_27distribution_nullary_kernelIbm15HIP_vector_typeIyLj2EES7_SF_ZZZNS5_IS7_EEvS9_SA_ENKSB_clEvENKSC_clEvEUlmE_EEvS9_T2_RKT3_T4_EUlimE0_EEvlNS_15PhiloxCudaStateET1_SK_: ; @_ZN2at6native12_GLOBAL__N_143distribution_elementwise_grid_stride_kernelImLi2EZZZNS0_9templates4cuda13random_kernelIPNS_17CUDAGeneratorImplEEEvRNS_18TensorIteratorBaseET_ENKUlvE_clEvENKUlvE8_clEvEUlP25hiprandStatePhilox4_32_10E_ZNS1_27distribution_nullary_kernelIbm15HIP_vector_typeIyLj2EES7_SF_ZZZNS5_IS7_EEvS9_SA_ENKSB_clEvENKSC_clEvEUlmE_EEvS9_T2_RKT3_T4_EUlimE0_EEvlNS_15PhiloxCudaStateET1_SK_
; %bb.0:
	s_load_dword s2, s[4:5], 0x20
	s_load_dwordx2 s[0:1], s[4:5], 0x10
	s_load_dwordx4 s[24:27], s[4:5], 0x0
	s_waitcnt lgkmcnt(0)
	s_bitcmp0_b32 s2, 0
	s_mov_b32 s2, 0
	v_pk_mov_b32 v[2:3], s[0:1], s[0:1] op_sel:[0,1]
	v_pk_mov_b32 v[12:13], s[26:27], s[26:27] op_sel:[0,1]
	s_cbranch_scc1 .LBB105_2
; %bb.1:
	v_pk_mov_b32 v[2:3], s[0:1], s[0:1] op_sel:[0,1]
	flat_load_dwordx2 v[2:3], v[2:3]
	v_pk_mov_b32 v[4:5], s[26:27], s[26:27] op_sel:[0,1]
	flat_load_dwordx2 v[12:13], v[4:5]
	s_load_dwordx2 s[0:1], s[4:5], 0x18
	s_waitcnt lgkmcnt(0)
	v_mov_b32_e32 v1, s1
	s_waitcnt vmcnt(0)
	v_add_co_u32_e32 v2, vcc, s0, v2
	v_addc_co_u32_e32 v3, vcc, v3, v1, vcc
.LBB105_2:
	s_load_dword s0, s[4:5], 0x154
	s_load_dword s7, s[4:5], 0x148
	s_waitcnt lgkmcnt(0)
	s_and_b32 s8, s0, 0xffff
	s_add_u32 s9, s24, -1
	s_mul_i32 s33, s7, s8
	s_addc_u32 s3, s25, -1
	s_lshl_b32 s58, s33, 1
	s_cmp_lg_u64 s[2:3], 0
	s_mov_b64 s[0:1], -1
	s_cbranch_scc0 .LBB105_51
; %bb.3:
	v_cvt_f32_u32_e32 v1, s58
	v_cvt_f32_ubyte0_e32 v4, 0
	s_sub_u32 s2, 0, s58
	s_subb_u32 s10, 0, 0
	v_madmk_f32 v1, v4, 0x4f800000, v1
	v_rcp_f32_e32 v1, v1
	v_mul_f32_e32 v1, 0x5f7ffffc, v1
	v_mul_f32_e32 v4, 0x2f800000, v1
	v_trunc_f32_e32 v4, v4
	v_madmk_f32 v1, v4, 0xcf800000, v1
	v_cvt_u32_f32_e32 v4, v4
	v_cvt_u32_f32_e32 v1, v1
	v_readfirstlane_b32 s11, v4
	v_readfirstlane_b32 s12, v1
	s_mul_i32 s13, s2, s11
	s_mul_hi_u32 s15, s2, s12
	s_mul_i32 s14, s10, s12
	s_add_i32 s13, s15, s13
	s_add_i32 s13, s13, s14
	s_mul_i32 s16, s2, s12
	s_mul_hi_u32 s14, s12, s13
	s_mul_i32 s15, s12, s13
	s_mul_hi_u32 s12, s12, s16
	s_add_u32 s12, s12, s15
	s_addc_u32 s14, 0, s14
	s_mul_hi_u32 s17, s11, s16
	s_mul_i32 s16, s11, s16
	s_add_u32 s12, s12, s16
	s_mul_hi_u32 s15, s11, s13
	s_addc_u32 s12, s14, s17
	s_addc_u32 s14, s15, 0
	s_mul_i32 s13, s11, s13
	s_add_u32 s12, s12, s13
	s_addc_u32 s13, 0, s14
	v_add_co_u32_e32 v1, vcc, s12, v1
	s_cmp_lg_u64 vcc, 0
	s_addc_u32 s11, s11, s13
	v_readfirstlane_b32 s13, v1
	s_mul_i32 s12, s2, s11
	s_mul_hi_u32 s14, s2, s13
	s_add_i32 s12, s14, s12
	s_mul_i32 s10, s10, s13
	s_add_i32 s12, s12, s10
	s_mul_i32 s2, s2, s13
	s_mul_hi_u32 s14, s11, s2
	s_mul_i32 s15, s11, s2
	s_mul_i32 s17, s13, s12
	s_mul_hi_u32 s2, s13, s2
	s_mul_hi_u32 s16, s13, s12
	s_add_u32 s2, s2, s17
	s_addc_u32 s13, 0, s16
	s_add_u32 s2, s2, s15
	s_mul_hi_u32 s10, s11, s12
	s_addc_u32 s2, s13, s14
	s_addc_u32 s10, s10, 0
	s_mul_i32 s12, s11, s12
	s_add_u32 s2, s2, s12
	s_addc_u32 s10, 0, s10
	v_add_co_u32_e32 v1, vcc, s2, v1
	s_cmp_lg_u64 vcc, 0
	s_addc_u32 s12, s11, s10
	s_ashr_i32 s10, s3, 31
	s_add_u32 s2, s9, s10
	s_mov_b32 s11, s10
	s_addc_u32 s3, s3, s10
	s_xor_b64 s[2:3], s[2:3], s[10:11]
	v_readfirstlane_b32 s15, v1
	s_mul_i32 s14, s2, s12
	s_mul_hi_u32 s16, s2, s15
	s_mul_hi_u32 s13, s2, s12
	s_add_u32 s14, s16, s14
	s_addc_u32 s13, 0, s13
	s_mul_hi_u32 s17, s3, s15
	s_mul_i32 s15, s3, s15
	s_add_u32 s14, s14, s15
	s_mul_hi_u32 s16, s3, s12
	s_addc_u32 s13, s13, s17
	s_addc_u32 s14, s16, 0
	s_mul_i32 s12, s3, s12
	s_add_u32 s12, s13, s12
	s_addc_u32 s13, 0, s14
	s_add_u32 s14, s12, 1
	s_addc_u32 s15, s13, 0
	s_add_u32 s16, s12, 2
	s_mul_i32 s18, s58, s13
	s_mul_hi_u32 s19, s58, s12
	s_addc_u32 s17, s13, 0
	s_add_i32 s19, s19, s18
	s_mul_i32 s18, s58, s12
	v_mov_b32_e32 v1, s18
	v_sub_co_u32_e32 v1, vcc, s2, v1
	s_cmp_lg_u64 vcc, 0
	s_subb_u32 s2, s3, s19
	v_subrev_co_u32_e32 v4, vcc, s58, v1
	s_cmp_lg_u64 vcc, 0
	s_subb_u32 s3, s2, 0
	v_readfirstlane_b32 s18, v4
	s_cmp_ge_u32 s18, s58
	s_cselect_b32 s18, -1, 0
	s_cmp_eq_u32 s3, 0
	s_cselect_b32 s3, s18, -1
	s_cmp_lg_u32 s3, 0
	s_cselect_b32 s3, s17, s15
	v_readfirstlane_b32 s15, v1
	s_cselect_b32 s14, s16, s14
	s_cmp_ge_u32 s15, s58
	s_cselect_b32 s15, -1, 0
	s_cmp_eq_u32 s2, 0
	s_cselect_b32 s2, s15, -1
	s_cmp_lg_u32 s2, 0
	s_cselect_b32 s3, s3, s13
	s_cselect_b32 s2, s14, s12
	s_xor_b64 s[2:3], s[2:3], s[10:11]
	s_sub_u32 s2, s2, s10
	s_subb_u32 s3, s3, s10
	s_cbranch_execnz .LBB105_5
.LBB105_4:
	v_cvt_f32_u32_e32 v1, s58
	s_sub_i32 s0, 0, s58
	s_mov_b32 s3, 0
	v_rcp_iflag_f32_e32 v1, v1
	v_mul_f32_e32 v1, 0x4f7ffffe, v1
	v_cvt_u32_f32_e32 v1, v1
	v_readfirstlane_b32 s1, v1
	s_mul_i32 s0, s0, s1
	s_mul_hi_u32 s0, s1, s0
	s_add_i32 s1, s1, s0
	s_mul_hi_u32 s0, s9, s1
	s_mul_i32 s2, s0, s58
	s_sub_i32 s2, s9, s2
	s_add_i32 s1, s0, 1
	s_sub_i32 s9, s2, s58
	s_cmp_ge_u32 s2, s58
	s_cselect_b32 s0, s1, s0
	s_cselect_b32 s2, s9, s2
	s_add_i32 s1, s0, 1
	s_cmp_ge_u32 s2, s58
	s_cselect_b32 s2, s1, s0
.LBB105_5:
	v_mov_b32_e32 v1, 0
	v_mov_b32_e32 v4, s6
	v_mad_u64_u32 v[14:15], s[0:1], s8, v4, v[0:1]
	s_add_u32 s0, s2, 1
	s_addc_u32 s1, s3, 0
	s_mul_hi_u32 s2, s7, s8
	s_mul_i32 s1, s33, s1
	s_mul_hi_u32 s3, s33, s0
	s_add_i32 s1, s3, s1
	s_mul_i32 s2, s2, s0
	s_add_i32 s1, s1, s2
	s_mul_i32 s0, s33, s0
	s_lshl_b64 s[26:27], s[0:1], 1
	v_cmp_gt_i64_e32 vcc, s[26:27], v[14:15]
	s_and_saveexec_b64 s[0:1], vcc
	s_cbranch_execz .LBB105_50
; %bb.6:
	s_mov_b32 s0, 0x5384540f
	v_mov_b32_e32 v0, v13
	v_add_co_u32_e32 v20, vcc, s0, v12
	s_mov_b32 s0, 0x646e171e
	v_add_co_u32_e32 v21, vcc, s0, v0
	s_mov_b32 s0, 0x1715609d
	;; [unrolled: 2-line block ×6, first 2 shown]
	v_alignbit_b32 v27, v3, v2, 2
	s_mov_b32 s60, 0xd2511f53
	v_add_co_u32_e32 v26, vcc, s0, v12
	v_mad_u64_u32 v[4:5], s[0:1], v27, s60, 0
	v_xor_b32_e32 v1, v5, v13
	v_xor_b32_e32 v1, v1, v15
	s_mov_b32 s61, 0xcd9e8d57
	v_mad_u64_u32 v[6:7], s[0:1], v1, s61, 0
	v_xor_b32_e32 v1, v26, v7
	v_mad_u64_u32 v[8:9], s[0:1], v14, s61, 0
	v_and_b32_e32 v16, 3, v2
	v_xor_b32_e32 v1, v1, v8
	v_xor_b32_e32 v2, v12, v9
	v_lshrrev_b32_e32 v28, 2, v3
	v_mad_u64_u32 v[10:11], s[0:1], v1, s60, 0
	v_xor_b32_e32 v2, v2, v28
	v_xor_b32_e32 v1, v25, v11
	v_mad_u64_u32 v[2:3], s[0:1], v2, s60, 0
	v_xor_b32_e32 v1, v1, v2
	v_mad_u64_u32 v[8:9], s[0:1], v1, s61, 0
	s_mov_b32 s0, 0xbb67ae85
	v_add_co_u32_e32 v29, vcc, s0, v0
	v_xor_b32_e32 v2, v29, v3
	v_xor_b32_e32 v2, v2, v4
	v_xor_b32_e32 v1, v24, v9
	v_mad_u64_u32 v[2:3], s[0:1], v2, s61, 0
	v_xor_b32_e32 v1, v1, v2
	v_mad_u64_u32 v[4:5], s[0:1], v1, s60, 0
	s_mov_b32 s0, 0x3c6ef372
	v_add_co_u32_e32 v30, vcc, s0, v12
	v_xor_b32_e32 v2, v30, v3
	;; [unrolled: 8-line block ×6, first 2 shown]
	v_add_co_u32_e32 v19, vcc, 0xdb3d7428, v0
	v_xor_b32_e32 v2, v2, v6
	v_xor_b32_e32 v1, v19, v5
	v_mad_u64_u32 v[2:3], s[0:1], v2, s60, 0
	v_xor_b32_e32 v1, v1, v2
	v_mad_u64_u32 v[6:7], s[0:1], v1, s61, 0
	s_mov_b32 s0, 0x1fd5c5a3
	v_add_co_u32_e32 v35, vcc, s0, v0
	v_xor_b32_e32 v0, v35, v3
	v_xor_b32_e32 v0, v0, v10
	v_mad_u64_u32 v[0:1], s[0:1], v0, s61, 0
	s_mov_b32 s0, 0xf1bbcdc8
	s_load_dwordx8 s[8:15], s[4:5], 0x30
	v_add_co_u32_e32 v36, vcc, s0, v12
	v_xor_b32_e32 v0, v36, v1
	v_xor_b32_e32 v0, v0, v8
	s_add_u32 s34, s4, 48
	v_mad_u64_u32 v[0:1], s[0:1], v0, s60, 0
	s_addc_u32 s35, s5, 0
	s_waitcnt lgkmcnt(0)
	s_add_i32 s0, s8, -1
	s_cmp_gt_u32 s0, 1
	s_cselect_b64 s[36:37], -1, 0
	s_cmp_lg_u32 s8, 0
	s_cselect_b64 s[38:39], -1, 0
	s_add_u32 s40, s4, 0xf4
	s_addc_u32 s41, s5, 0
	s_min_u32 s1, s0, 15
	s_cmp_gt_u32 s8, 1
	s_cselect_b64 s[42:43], -1, 0
	s_add_i32 s1, s1, 1
	s_mov_b32 s8, s13
	s_load_dwordx2 s[44:45], s[4:5], 0xf4
	s_load_dwordx2 s[46:47], s[4:5], 0x138
	s_and_b32 s13, s1, 3
	s_cmp_lg_u32 s0, 2
	s_cselect_b64 s[48:49], -1, 0
	s_and_b32 s15, s1, 28
	v_add_u32_e32 v18, 0x96a522ad, v13
	v_xor_b32_e32 v1, v1, v4
	s_cmp_lg_u32 s13, 0
	s_mov_b32 s59, 0
	v_add_u32_e32 v17, 0x8ff34781, v12
	v_xor_b32_e32 v2, v18, v1
	v_mov_b32_e32 v1, v6
	v_mov_b32_e32 v3, v0
	s_mov_b64 s[50:51], 0
	s_cselect_b64 s[52:53], -1, 0
	v_mov_b32_e32 v37, v14
	v_mov_b32_e32 v38, v15
	s_branch .LBB105_9
.LBB105_7:                              ;   in Loop: Header=BB105_9 Depth=1
	v_and_b32_e32 v0, 1, v3
	s_waitcnt lgkmcnt(0)
	global_store_byte v8, v0, s[46:47]
.LBB105_8:                              ;   in Loop: Header=BB105_9 Depth=1
	s_or_b64 exec, exec, s[28:29]
	v_add_co_u32_e32 v14, vcc, s58, v14
	v_addc_co_u32_e32 v15, vcc, 0, v15, vcc
	v_mov_b32_e32 v7, v4
	v_cmp_le_i64_e32 vcc, s[26:27], v[14:15]
	v_pk_mov_b32 v[0:1], v[4:5], v[4:5] op_sel:[0,1]
	s_or_b64 s[50:51], vcc, s[50:51]
	v_pk_mov_b32 v[2:3], v[6:7], v[6:7] op_sel:[0,1]
	s_waitcnt lgkmcnt(0)
	s_barrier
	s_andn2_b64 exec, exec, s[50:51]
	s_cbranch_execz .LBB105_50
.LBB105_9:                              ; =>This Loop Header: Depth=1
                                        ;     Child Loop BB105_24 Depth 2
                                        ;     Child Loop BB105_30 Depth 2
	;; [unrolled: 1-line block ×4, first 2 shown]
	v_add_co_u32_e32 v27, vcc, 1, v27
	v_cndmask_b32_e64 v0, 0, 1, vcc
	v_addc_co_u32_e32 v28, vcc, 0, v28, vcc
	v_cmp_eq_u32_e32 vcc, 0, v28
	v_cndmask_b32_e32 v0, 0, v0, vcc
	v_add_u32_e32 v37, v0, v37
	v_cmp_eq_u32_e32 vcc, 0, v37
	v_cndmask_b32_e32 v0, 0, v0, vcc
	v_mad_u64_u32 v[4:5], s[0:1], v27, s60, 0
	v_add_u32_e32 v38, v0, v38
	v_mad_u64_u32 v[6:7], s[0:1], v37, s61, 0
	v_xor_b32_e32 v5, v5, v13
	v_xor_b32_e32 v0, v7, v12
	v_xor_b32_e32 v5, v38, v5
	v_xor_b32_e32 v0, v28, v0
	v_mad_u64_u32 v[10:11], s[0:1], v5, s61, 0
	v_mad_u64_u32 v[8:9], s[0:1], v0, s60, 0
	v_xor_b32_e32 v0, v26, v11
	v_xor_b32_e32 v0, v0, v6
	v_xor_b32_e32 v5, v29, v9
	v_xor_b32_e32 v6, v5, v4
	v_mad_u64_u32 v[4:5], s[0:1], v0, s60, 0
	;; [unrolled: 6-line block ×9, first 2 shown]
	v_mad_u64_u32 v[4:5], s[0:1], v0, s60, 0
	v_xor_b32_e32 v0, v11, v40
	v_xor_b32_e32 v8, v17, v0
	;; [unrolled: 1-line block ×4, first 2 shown]
	v_mov_b32_e32 v5, v10
	v_mov_b32_e32 v6, v9
	v_cmp_lt_i32_e32 vcc, 1, v16
	s_and_saveexec_b64 s[0:1], vcc
	s_xor_b64 s[0:1], exec, s[0:1]
	s_cbranch_execz .LBB105_15
; %bb.10:                               ;   in Loop: Header=BB105_9 Depth=1
	v_cmp_lt_i32_e32 vcc, 2, v16
	s_and_saveexec_b64 s[2:3], vcc
	s_xor_b64 s[2:3], exec, s[2:3]
; %bb.11:                               ;   in Loop: Header=BB105_9 Depth=1
	v_mov_b32_e32 v7, v8
	v_pk_mov_b32 v[0:1], v[6:7], v[6:7] op_sel:[0,1]
	v_pk_mov_b32 v[2:3], v[8:9], v[8:9] op_sel:[0,1]
                                        ; implicit-def: $vgpr10_vgpr11
; %bb.12:                               ;   in Loop: Header=BB105_9 Depth=1
	s_andn2_saveexec_b64 s[2:3], s[2:3]
; %bb.13:                               ;   in Loop: Header=BB105_9 Depth=1
	v_mov_b32_e32 v1, v3
	v_mov_b32_e32 v3, v10
; %bb.14:                               ;   in Loop: Header=BB105_9 Depth=1
	s_or_b64 exec, exec, s[2:3]
                                        ; implicit-def: $vgpr8_vgpr9_vgpr10_vgpr11
.LBB105_15:                             ;   in Loop: Header=BB105_9 Depth=1
	s_andn2_saveexec_b64 s[0:1], s[0:1]
	s_cbranch_execz .LBB105_19
; %bb.16:                               ;   in Loop: Header=BB105_9 Depth=1
	v_cmp_eq_u32_e32 vcc, 1, v16
	s_and_saveexec_b64 s[2:3], vcc
; %bb.17:                               ;   in Loop: Header=BB105_9 Depth=1
	v_mov_b32_e32 v1, v2
	v_mov_b32_e32 v3, v8
; %bb.18:                               ;   in Loop: Header=BB105_9 Depth=1
	s_or_b64 exec, exec, s[2:3]
.LBB105_19:                             ;   in Loop: Header=BB105_9 Depth=1
	s_or_b64 exec, exec, s[0:1]
	v_cndmask_b32_e64 v0, 0, 1, s[36:37]
	v_cmp_gt_i64_e32 vcc, s[24:25], v[14:15]
	v_cmp_ne_u32_e64 s[0:1], 1, v0
	s_and_saveexec_b64 s[2:3], vcc
	s_cbranch_execz .LBB105_35
; %bb.20:                               ;   in Loop: Header=BB105_9 Depth=1
	s_and_b64 vcc, exec, s[0:1]
	s_cbranch_vccnz .LBB105_26
; %bb.21:                               ;   in Loop: Header=BB105_9 Depth=1
	s_andn2_b64 vcc, exec, s[38:39]
	s_cbranch_vccnz .LBB105_27
; %bb.22:                               ;   in Loop: Header=BB105_9 Depth=1
	s_mov_b32 s6, 0
	s_andn2_b64 vcc, exec, s[48:49]
	v_mov_b32_e32 v8, 0
	s_cbranch_vccnz .LBB105_28
; %bb.23:                               ;   in Loop: Header=BB105_9 Depth=1
	s_mov_b32 s62, 0
	v_mov_b32_e32 v8, 0
	s_mov_b64 s[54:55], s[34:35]
	s_mov_b64 s[56:57], s[40:41]
	v_mov_b32_e32 v0, v14
.LBB105_24:                             ;   Parent Loop BB105_9 Depth=1
                                        ; =>  This Inner Loop Header: Depth=2
	s_load_dwordx8 s[16:23], s[54:55], 0x4
	s_load_dwordx4 s[4:7], s[54:55], 0x24
	s_load_dwordx4 s[28:31], s[56:57], 0x0
	s_add_u32 s54, s54, 48
	s_addc_u32 s55, s55, 0
	s_waitcnt lgkmcnt(0)
	v_mul_hi_u32 v2, s17, v0
	v_add_u32_e32 v2, v0, v2
	v_lshrrev_b32_e32 v2, s18, v2
	v_mul_lo_u32 v7, v2, s16
	v_mul_hi_u32 v9, s20, v2
	v_sub_u32_e32 v0, v0, v7
	v_add_u32_e32 v7, v2, v9
	v_lshrrev_b32_e32 v7, s21, v7
	v_mul_lo_u32 v9, v7, s19
	v_mul_hi_u32 v10, s23, v7
	v_sub_u32_e32 v2, v2, v9
	v_add_u32_e32 v9, v7, v10
	v_mul_lo_u32 v0, v0, s28
	v_mul_lo_u32 v2, v2, s29
	v_lshrrev_b32_e32 v9, s4, v9
	v_add3_u32 v2, v0, v8, v2
	v_mul_lo_u32 v0, v9, s22
	v_mul_hi_u32 v8, s6, v9
	v_sub_u32_e32 v0, v7, v0
	v_add_u32_e32 v7, v9, v8
	v_mul_lo_u32 v8, v0, s30
	v_lshrrev_b32_e32 v0, s7, v7
	s_add_i32 s62, s62, 4
	v_mul_lo_u32 v7, v0, s5
	s_add_u32 s56, s56, 16
	v_sub_u32_e32 v7, v9, v7
	s_addc_u32 s57, s57, 0
	v_mul_lo_u32 v7, v7, s31
	s_cmp_lg_u32 s15, s62
	v_add3_u32 v8, v8, v2, v7
	s_cbranch_scc1 .LBB105_24
; %bb.25:                               ;   in Loop: Header=BB105_9 Depth=1
	s_mov_b32 s6, s15
	s_andn2_b64 vcc, exec, s[52:53]
	s_cbranch_vccz .LBB105_29
	s_branch .LBB105_31
.LBB105_26:                             ;   in Loop: Header=BB105_9 Depth=1
                                        ; implicit-def: $vgpr8
	s_branch .LBB105_32
.LBB105_27:                             ;   in Loop: Header=BB105_9 Depth=1
	v_mov_b32_e32 v8, 0
	s_branch .LBB105_31
.LBB105_28:                             ;   in Loop: Header=BB105_9 Depth=1
	v_mov_b32_e32 v0, v14
	s_andn2_b64 vcc, exec, s[52:53]
	s_cbranch_vccnz .LBB105_31
.LBB105_29:                             ;   in Loop: Header=BB105_9 Depth=1
	s_lshl_b32 s4, s6, 2
	s_add_u32 s4, s40, s4
	s_addc_u32 s5, s41, 0
	s_mul_i32 s6, s6, 12
	s_add_u32 s6, s34, s6
	s_addc_u32 s7, s35, 0
	s_mov_b32 s16, s13
.LBB105_30:                             ;   Parent Loop BB105_9 Depth=1
                                        ; =>  This Inner Loop Header: Depth=2
	s_load_dwordx2 s[18:19], s[6:7], 0x4
	s_load_dword s17, s[6:7], 0xc
	s_load_dword s20, s[4:5], 0x0
	s_add_u32 s6, s6, 12
	s_addc_u32 s7, s7, 0
	s_waitcnt lgkmcnt(0)
	v_mul_hi_u32 v2, s19, v0
	v_add_u32_e32 v2, v0, v2
	v_lshrrev_b32_e32 v2, s17, v2
	s_add_u32 s4, s4, 4
	v_mul_lo_u32 v7, v2, s18
	s_addc_u32 s5, s5, 0
	s_add_i32 s16, s16, -1
	v_sub_u32_e32 v7, v0, v7
	s_cmp_lg_u32 s16, 0
	v_mov_b32_e32 v0, v2
	v_mad_u64_u32 v[8:9], s[18:19], v7, s20, v[8:9]
	s_cbranch_scc1 .LBB105_30
.LBB105_31:                             ;   in Loop: Header=BB105_9 Depth=1
	s_cbranch_execnz .LBB105_34
.LBB105_32:                             ;   in Loop: Header=BB105_9 Depth=1
	v_mul_hi_u32 v0, v14, s10
	v_add_u32_e32 v0, v0, v14
	v_lshrrev_b32_e32 v0, s11, v0
	v_mul_lo_u32 v2, v0, s9
	v_sub_u32_e32 v2, v14, v2
	s_andn2_b64 vcc, exec, s[42:43]
	s_waitcnt lgkmcnt(0)
	v_mul_lo_u32 v8, v2, s44
	s_cbranch_vccnz .LBB105_34
; %bb.33:                               ;   in Loop: Header=BB105_9 Depth=1
	v_mul_hi_u32 v2, s8, v0
	v_add_u32_e32 v2, v0, v2
	v_lshrrev_b32_e32 v2, s14, v2
	v_mul_lo_u32 v2, v2, s12
	v_sub_u32_e32 v0, v0, v2
	v_mad_u64_u32 v[8:9], s[4:5], v0, s45, v[8:9]
.LBB105_34:                             ;   in Loop: Header=BB105_9 Depth=1
	v_and_b32_e32 v0, 1, v1
	s_waitcnt lgkmcnt(0)
	global_store_byte v8, v0, s[46:47]
.LBB105_35:                             ;   in Loop: Header=BB105_9 Depth=1
	s_or_b64 exec, exec, s[2:3]
	v_mov_b32_e32 v1, s59
	v_add_co_u32_e32 v0, vcc, s33, v14
	v_addc_co_u32_e32 v1, vcc, v15, v1, vcc
	v_cmp_gt_i64_e32 vcc, s[24:25], v[0:1]
	s_and_saveexec_b64 s[28:29], vcc
	s_cbranch_execz .LBB105_8
; %bb.36:                               ;   in Loop: Header=BB105_9 Depth=1
	s_and_b64 vcc, exec, s[0:1]
	s_cbranch_vccnz .LBB105_42
; %bb.37:                               ;   in Loop: Header=BB105_9 Depth=1
	s_andn2_b64 vcc, exec, s[38:39]
	s_cbranch_vccnz .LBB105_43
; %bb.38:                               ;   in Loop: Header=BB105_9 Depth=1
	s_mov_b32 s2, 0
	s_andn2_b64 vcc, exec, s[48:49]
	v_mov_b32_e32 v8, 0
	s_cbranch_vccnz .LBB105_44
; %bb.39:                               ;   in Loop: Header=BB105_9 Depth=1
	s_mov_b32 s56, 0
	v_mov_b32_e32 v8, 0
	s_mov_b64 s[30:31], s[34:35]
	s_mov_b64 s[54:55], s[40:41]
	v_mov_b32_e32 v1, v0
.LBB105_40:                             ;   Parent Loop BB105_9 Depth=1
                                        ; =>  This Inner Loop Header: Depth=2
	s_load_dwordx8 s[0:7], s[30:31], 0x4
	s_load_dwordx4 s[16:19], s[30:31], 0x24
	s_load_dwordx4 s[20:23], s[54:55], 0x0
	s_add_u32 s30, s30, 48
	s_addc_u32 s31, s31, 0
	s_waitcnt lgkmcnt(0)
	v_mul_hi_u32 v2, s1, v1
	v_add_u32_e32 v2, v1, v2
	v_lshrrev_b32_e32 v2, s2, v2
	v_mul_lo_u32 v7, v2, s0
	v_mul_hi_u32 v9, s4, v2
	v_sub_u32_e32 v1, v1, v7
	v_add_u32_e32 v7, v2, v9
	v_lshrrev_b32_e32 v7, s5, v7
	v_mul_lo_u32 v9, v7, s3
	v_mul_hi_u32 v10, s7, v7
	v_sub_u32_e32 v2, v2, v9
	v_add_u32_e32 v9, v7, v10
	v_mul_lo_u32 v1, v1, s20
	v_mul_lo_u32 v2, v2, s21
	v_lshrrev_b32_e32 v9, s16, v9
	v_add3_u32 v2, v1, v8, v2
	v_mul_lo_u32 v1, v9, s6
	v_mul_hi_u32 v8, s18, v9
	v_sub_u32_e32 v1, v7, v1
	v_add_u32_e32 v7, v9, v8
	v_mul_lo_u32 v8, v1, s22
	v_lshrrev_b32_e32 v1, s19, v7
	s_add_i32 s56, s56, 4
	v_mul_lo_u32 v7, v1, s17
	s_add_u32 s54, s54, 16
	v_sub_u32_e32 v7, v9, v7
	s_addc_u32 s55, s55, 0
	v_mul_lo_u32 v7, v7, s23
	s_cmp_eq_u32 s15, s56
	v_add3_u32 v8, v8, v2, v7
	s_cbranch_scc0 .LBB105_40
; %bb.41:                               ;   in Loop: Header=BB105_9 Depth=1
	s_mov_b32 s2, s15
	s_andn2_b64 vcc, exec, s[52:53]
	s_cbranch_vccz .LBB105_45
	s_branch .LBB105_47
.LBB105_42:                             ;   in Loop: Header=BB105_9 Depth=1
                                        ; implicit-def: $vgpr8
	s_branch .LBB105_48
.LBB105_43:                             ;   in Loop: Header=BB105_9 Depth=1
	v_mov_b32_e32 v8, 0
	s_branch .LBB105_47
.LBB105_44:                             ;   in Loop: Header=BB105_9 Depth=1
	v_mov_b32_e32 v1, v0
	s_andn2_b64 vcc, exec, s[52:53]
	s_cbranch_vccnz .LBB105_47
.LBB105_45:                             ;   in Loop: Header=BB105_9 Depth=1
	s_lshl_b32 s0, s2, 2
	s_add_u32 s0, s40, s0
	s_addc_u32 s1, s41, 0
	s_mul_i32 s2, s2, 12
	s_add_u32 s2, s34, s2
	s_addc_u32 s3, s35, 0
	s_mov_b32 s4, s13
.LBB105_46:                             ;   Parent Loop BB105_9 Depth=1
                                        ; =>  This Inner Loop Header: Depth=2
	s_load_dwordx2 s[6:7], s[2:3], 0x4
	s_load_dword s5, s[2:3], 0xc
	s_load_dword s16, s[0:1], 0x0
	s_add_u32 s2, s2, 12
	s_addc_u32 s3, s3, 0
	s_waitcnt lgkmcnt(0)
	v_mul_hi_u32 v2, s7, v1
	v_add_u32_e32 v2, v1, v2
	v_lshrrev_b32_e32 v2, s5, v2
	s_add_u32 s0, s0, 4
	v_mul_lo_u32 v7, v2, s6
	s_addc_u32 s1, s1, 0
	s_add_i32 s4, s4, -1
	v_sub_u32_e32 v7, v1, v7
	s_cmp_lg_u32 s4, 0
	v_mov_b32_e32 v1, v2
	v_mad_u64_u32 v[8:9], s[6:7], v7, s16, v[8:9]
	s_cbranch_scc1 .LBB105_46
.LBB105_47:                             ;   in Loop: Header=BB105_9 Depth=1
	s_cbranch_execnz .LBB105_7
.LBB105_48:                             ;   in Loop: Header=BB105_9 Depth=1
	v_mul_hi_u32 v1, v0, s10
	v_add_u32_e32 v1, v1, v0
	v_lshrrev_b32_e32 v1, s11, v1
	v_mul_lo_u32 v2, v1, s9
	v_sub_u32_e32 v0, v0, v2
	s_andn2_b64 vcc, exec, s[42:43]
	s_waitcnt lgkmcnt(0)
	v_mul_lo_u32 v8, v0, s44
	s_cbranch_vccnz .LBB105_7
; %bb.49:                               ;   in Loop: Header=BB105_9 Depth=1
	v_mul_hi_u32 v0, s8, v1
	v_add_u32_e32 v0, v1, v0
	v_lshrrev_b32_e32 v0, s14, v0
	v_mul_lo_u32 v0, v0, s12
	v_sub_u32_e32 v0, v1, v0
	v_mad_u64_u32 v[8:9], s[0:1], v0, s45, v[8:9]
	s_branch .LBB105_7
.LBB105_50:
	s_endpgm
.LBB105_51:
                                        ; implicit-def: $sgpr2_sgpr3
	s_andn2_b64 vcc, exec, s[0:1]
	s_cbranch_vccz .LBB105_4
	s_branch .LBB105_5
	.section	.rodata,"a",@progbits
	.p2align	6, 0x0
	.amdhsa_kernel _ZN2at6native12_GLOBAL__N_143distribution_elementwise_grid_stride_kernelImLi2EZZZNS0_9templates4cuda13random_kernelIPNS_17CUDAGeneratorImplEEEvRNS_18TensorIteratorBaseET_ENKUlvE_clEvENKUlvE8_clEvEUlP25hiprandStatePhilox4_32_10E_ZNS1_27distribution_nullary_kernelIbm15HIP_vector_typeIyLj2EES7_SF_ZZZNS5_IS7_EEvS9_SA_ENKSB_clEvENKSC_clEvEUlmE_EEvS9_T2_RKT3_T4_EUlimE0_EEvlNS_15PhiloxCudaStateET1_SK_
		.amdhsa_group_segment_fixed_size 0
		.amdhsa_private_segment_fixed_size 0
		.amdhsa_kernarg_size 584
		.amdhsa_user_sgpr_count 6
		.amdhsa_user_sgpr_private_segment_buffer 1
		.amdhsa_user_sgpr_dispatch_ptr 0
		.amdhsa_user_sgpr_queue_ptr 0
		.amdhsa_user_sgpr_kernarg_segment_ptr 1
		.amdhsa_user_sgpr_dispatch_id 0
		.amdhsa_user_sgpr_flat_scratch_init 0
		.amdhsa_user_sgpr_kernarg_preload_length 0
		.amdhsa_user_sgpr_kernarg_preload_offset 0
		.amdhsa_user_sgpr_private_segment_size 0
		.amdhsa_uses_dynamic_stack 0
		.amdhsa_system_sgpr_private_segment_wavefront_offset 0
		.amdhsa_system_sgpr_workgroup_id_x 1
		.amdhsa_system_sgpr_workgroup_id_y 0
		.amdhsa_system_sgpr_workgroup_id_z 0
		.amdhsa_system_sgpr_workgroup_info 0
		.amdhsa_system_vgpr_workitem_id 0
		.amdhsa_next_free_vgpr 42
		.amdhsa_next_free_sgpr 63
		.amdhsa_accum_offset 44
		.amdhsa_reserve_vcc 1
		.amdhsa_reserve_flat_scratch 0
		.amdhsa_float_round_mode_32 0
		.amdhsa_float_round_mode_16_64 0
		.amdhsa_float_denorm_mode_32 3
		.amdhsa_float_denorm_mode_16_64 3
		.amdhsa_dx10_clamp 1
		.amdhsa_ieee_mode 1
		.amdhsa_fp16_overflow 0
		.amdhsa_tg_split 0
		.amdhsa_exception_fp_ieee_invalid_op 0
		.amdhsa_exception_fp_denorm_src 0
		.amdhsa_exception_fp_ieee_div_zero 0
		.amdhsa_exception_fp_ieee_overflow 0
		.amdhsa_exception_fp_ieee_underflow 0
		.amdhsa_exception_fp_ieee_inexact 0
		.amdhsa_exception_int_div_zero 0
	.end_amdhsa_kernel
	.section	.text._ZN2at6native12_GLOBAL__N_143distribution_elementwise_grid_stride_kernelImLi2EZZZNS0_9templates4cuda13random_kernelIPNS_17CUDAGeneratorImplEEEvRNS_18TensorIteratorBaseET_ENKUlvE_clEvENKUlvE8_clEvEUlP25hiprandStatePhilox4_32_10E_ZNS1_27distribution_nullary_kernelIbm15HIP_vector_typeIyLj2EES7_SF_ZZZNS5_IS7_EEvS9_SA_ENKSB_clEvENKSC_clEvEUlmE_EEvS9_T2_RKT3_T4_EUlimE0_EEvlNS_15PhiloxCudaStateET1_SK_,"axG",@progbits,_ZN2at6native12_GLOBAL__N_143distribution_elementwise_grid_stride_kernelImLi2EZZZNS0_9templates4cuda13random_kernelIPNS_17CUDAGeneratorImplEEEvRNS_18TensorIteratorBaseET_ENKUlvE_clEvENKUlvE8_clEvEUlP25hiprandStatePhilox4_32_10E_ZNS1_27distribution_nullary_kernelIbm15HIP_vector_typeIyLj2EES7_SF_ZZZNS5_IS7_EEvS9_SA_ENKSB_clEvENKSC_clEvEUlmE_EEvS9_T2_RKT3_T4_EUlimE0_EEvlNS_15PhiloxCudaStateET1_SK_,comdat
.Lfunc_end105:
	.size	_ZN2at6native12_GLOBAL__N_143distribution_elementwise_grid_stride_kernelImLi2EZZZNS0_9templates4cuda13random_kernelIPNS_17CUDAGeneratorImplEEEvRNS_18TensorIteratorBaseET_ENKUlvE_clEvENKUlvE8_clEvEUlP25hiprandStatePhilox4_32_10E_ZNS1_27distribution_nullary_kernelIbm15HIP_vector_typeIyLj2EES7_SF_ZZZNS5_IS7_EEvS9_SA_ENKSB_clEvENKSC_clEvEUlmE_EEvS9_T2_RKT3_T4_EUlimE0_EEvlNS_15PhiloxCudaStateET1_SK_, .Lfunc_end105-_ZN2at6native12_GLOBAL__N_143distribution_elementwise_grid_stride_kernelImLi2EZZZNS0_9templates4cuda13random_kernelIPNS_17CUDAGeneratorImplEEEvRNS_18TensorIteratorBaseET_ENKUlvE_clEvENKUlvE8_clEvEUlP25hiprandStatePhilox4_32_10E_ZNS1_27distribution_nullary_kernelIbm15HIP_vector_typeIyLj2EES7_SF_ZZZNS5_IS7_EEvS9_SA_ENKSB_clEvENKSC_clEvEUlmE_EEvS9_T2_RKT3_T4_EUlimE0_EEvlNS_15PhiloxCudaStateET1_SK_
                                        ; -- End function
	.section	.AMDGPU.csdata,"",@progbits
; Kernel info:
; codeLenInByte = 3176
; NumSgprs: 67
; NumVgprs: 42
; NumAgprs: 0
; TotalNumVgprs: 42
; ScratchSize: 0
; MemoryBound: 0
; FloatMode: 240
; IeeeMode: 1
; LDSByteSize: 0 bytes/workgroup (compile time only)
; SGPRBlocks: 8
; VGPRBlocks: 5
; NumSGPRsForWavesPerEU: 67
; NumVGPRsForWavesPerEU: 42
; AccumOffset: 44
; Occupancy: 8
; WaveLimiterHint : 1
; COMPUTE_PGM_RSRC2:SCRATCH_EN: 0
; COMPUTE_PGM_RSRC2:USER_SGPR: 6
; COMPUTE_PGM_RSRC2:TRAP_HANDLER: 0
; COMPUTE_PGM_RSRC2:TGID_X_EN: 1
; COMPUTE_PGM_RSRC2:TGID_Y_EN: 0
; COMPUTE_PGM_RSRC2:TGID_Z_EN: 0
; COMPUTE_PGM_RSRC2:TIDIG_COMP_CNT: 0
; COMPUTE_PGM_RSRC3_GFX90A:ACCUM_OFFSET: 10
; COMPUTE_PGM_RSRC3_GFX90A:TG_SPLIT: 0
	.section	.text._ZN2at6native12_GLOBAL__N_143distribution_elementwise_grid_stride_kernelIjLi4EZZZNS0_9templates4cuda13random_kernelIPNS_17CUDAGeneratorImplEEEvRNS_18TensorIteratorBaseET_ENKUlvE_clEvENKUlvE8_clEvEUlP25hiprandStatePhilox4_32_10E0_ZNS1_27distribution_nullary_kernelIbj15HIP_vector_typeIjLj4EES7_SF_ZZZNS5_IS7_EEvS9_SA_ENKSB_clEvENKSC_clEvEUljE_EEvS9_T2_RKT3_T4_EUlijE_EEvlNS_15PhiloxCudaStateET1_SK_,"axG",@progbits,_ZN2at6native12_GLOBAL__N_143distribution_elementwise_grid_stride_kernelIjLi4EZZZNS0_9templates4cuda13random_kernelIPNS_17CUDAGeneratorImplEEEvRNS_18TensorIteratorBaseET_ENKUlvE_clEvENKUlvE8_clEvEUlP25hiprandStatePhilox4_32_10E0_ZNS1_27distribution_nullary_kernelIbj15HIP_vector_typeIjLj4EES7_SF_ZZZNS5_IS7_EEvS9_SA_ENKSB_clEvENKSC_clEvEUljE_EEvS9_T2_RKT3_T4_EUlijE_EEvlNS_15PhiloxCudaStateET1_SK_,comdat
	.globl	_ZN2at6native12_GLOBAL__N_143distribution_elementwise_grid_stride_kernelIjLi4EZZZNS0_9templates4cuda13random_kernelIPNS_17CUDAGeneratorImplEEEvRNS_18TensorIteratorBaseET_ENKUlvE_clEvENKUlvE8_clEvEUlP25hiprandStatePhilox4_32_10E0_ZNS1_27distribution_nullary_kernelIbj15HIP_vector_typeIjLj4EES7_SF_ZZZNS5_IS7_EEvS9_SA_ENKSB_clEvENKSC_clEvEUljE_EEvS9_T2_RKT3_T4_EUlijE_EEvlNS_15PhiloxCudaStateET1_SK_ ; -- Begin function _ZN2at6native12_GLOBAL__N_143distribution_elementwise_grid_stride_kernelIjLi4EZZZNS0_9templates4cuda13random_kernelIPNS_17CUDAGeneratorImplEEEvRNS_18TensorIteratorBaseET_ENKUlvE_clEvENKUlvE8_clEvEUlP25hiprandStatePhilox4_32_10E0_ZNS1_27distribution_nullary_kernelIbj15HIP_vector_typeIjLj4EES7_SF_ZZZNS5_IS7_EEvS9_SA_ENKSB_clEvENKSC_clEvEUljE_EEvS9_T2_RKT3_T4_EUlijE_EEvlNS_15PhiloxCudaStateET1_SK_
	.p2align	8
	.type	_ZN2at6native12_GLOBAL__N_143distribution_elementwise_grid_stride_kernelIjLi4EZZZNS0_9templates4cuda13random_kernelIPNS_17CUDAGeneratorImplEEEvRNS_18TensorIteratorBaseET_ENKUlvE_clEvENKUlvE8_clEvEUlP25hiprandStatePhilox4_32_10E0_ZNS1_27distribution_nullary_kernelIbj15HIP_vector_typeIjLj4EES7_SF_ZZZNS5_IS7_EEvS9_SA_ENKSB_clEvENKSC_clEvEUljE_EEvS9_T2_RKT3_T4_EUlijE_EEvlNS_15PhiloxCudaStateET1_SK_,@function
_ZN2at6native12_GLOBAL__N_143distribution_elementwise_grid_stride_kernelIjLi4EZZZNS0_9templates4cuda13random_kernelIPNS_17CUDAGeneratorImplEEEvRNS_18TensorIteratorBaseET_ENKUlvE_clEvENKUlvE8_clEvEUlP25hiprandStatePhilox4_32_10E0_ZNS1_27distribution_nullary_kernelIbj15HIP_vector_typeIjLj4EES7_SF_ZZZNS5_IS7_EEvS9_SA_ENKSB_clEvENKSC_clEvEUljE_EEvS9_T2_RKT3_T4_EUlijE_EEvlNS_15PhiloxCudaStateET1_SK_: ; @_ZN2at6native12_GLOBAL__N_143distribution_elementwise_grid_stride_kernelIjLi4EZZZNS0_9templates4cuda13random_kernelIPNS_17CUDAGeneratorImplEEEvRNS_18TensorIteratorBaseET_ENKUlvE_clEvENKUlvE8_clEvEUlP25hiprandStatePhilox4_32_10E0_ZNS1_27distribution_nullary_kernelIbj15HIP_vector_typeIjLj4EES7_SF_ZZZNS5_IS7_EEvS9_SA_ENKSB_clEvENKSC_clEvEUljE_EEvS9_T2_RKT3_T4_EUlijE_EEvlNS_15PhiloxCudaStateET1_SK_
; %bb.0:
	s_load_dword s7, s[4:5], 0x20
	s_load_dwordx2 s[10:11], s[4:5], 0x10
	s_load_dwordx4 s[0:3], s[4:5], 0x0
	s_mov_b32 s8, 0
	s_waitcnt lgkmcnt(0)
	s_bitcmp0_b32 s7, 0
	v_pk_mov_b32 v[2:3], s[10:11], s[10:11] op_sel:[0,1]
	v_pk_mov_b32 v[14:15], s[2:3], s[2:3] op_sel:[0,1]
	s_cbranch_scc1 .LBB106_2
; %bb.1:
	v_pk_mov_b32 v[2:3], s[10:11], s[10:11] op_sel:[0,1]
	flat_load_dwordx2 v[2:3], v[2:3]
	v_pk_mov_b32 v[4:5], s[2:3], s[2:3] op_sel:[0,1]
	flat_load_dwordx2 v[14:15], v[4:5]
	s_load_dwordx2 s[2:3], s[4:5], 0x18
	s_waitcnt lgkmcnt(0)
	v_mov_b32_e32 v1, s3
	s_waitcnt vmcnt(0)
	v_add_co_u32_e32 v2, vcc, s2, v2
	v_addc_co_u32_e32 v3, vcc, v3, v1, vcc
.LBB106_2:
	s_load_dword s2, s[4:5], 0x4c
	s_load_dword s10, s[4:5], 0x40
	s_waitcnt lgkmcnt(0)
	s_and_b32 s7, s2, 0xffff
	s_add_u32 s11, s0, -1
	s_mul_i32 s12, s10, s7
	s_addc_u32 s9, s1, -1
	s_lshl_b32 s13, s12, 2
	s_cmp_lg_u64 s[8:9], 0
	s_mov_b64 s[2:3], -1
	s_cbranch_scc0 .LBB106_27
; %bb.3:
	v_cvt_f32_u32_e32 v1, s13
	v_cvt_f32_ubyte0_e32 v4, 0
	s_sub_u32 s8, 0, s13
	s_subb_u32 s14, 0, 0
	v_madmk_f32 v1, v4, 0x4f800000, v1
	v_rcp_f32_e32 v1, v1
	v_mul_f32_e32 v1, 0x5f7ffffc, v1
	v_mul_f32_e32 v4, 0x2f800000, v1
	v_trunc_f32_e32 v4, v4
	v_madmk_f32 v1, v4, 0xcf800000, v1
	v_cvt_u32_f32_e32 v4, v4
	v_cvt_u32_f32_e32 v1, v1
	v_readfirstlane_b32 s15, v4
	v_readfirstlane_b32 s16, v1
	s_mul_i32 s17, s8, s15
	s_mul_hi_u32 s19, s8, s16
	s_mul_i32 s18, s14, s16
	s_add_i32 s17, s19, s17
	s_add_i32 s17, s17, s18
	s_mul_i32 s20, s8, s16
	s_mul_hi_u32 s18, s16, s17
	s_mul_i32 s19, s16, s17
	s_mul_hi_u32 s16, s16, s20
	s_add_u32 s16, s16, s19
	s_addc_u32 s18, 0, s18
	s_mul_hi_u32 s21, s15, s20
	s_mul_i32 s20, s15, s20
	s_add_u32 s16, s16, s20
	s_mul_hi_u32 s19, s15, s17
	s_addc_u32 s16, s18, s21
	s_addc_u32 s18, s19, 0
	s_mul_i32 s17, s15, s17
	s_add_u32 s16, s16, s17
	s_addc_u32 s17, 0, s18
	v_add_co_u32_e32 v1, vcc, s16, v1
	s_cmp_lg_u64 vcc, 0
	s_addc_u32 s15, s15, s17
	v_readfirstlane_b32 s17, v1
	s_mul_i32 s16, s8, s15
	s_mul_hi_u32 s18, s8, s17
	s_add_i32 s16, s18, s16
	s_mul_i32 s14, s14, s17
	s_add_i32 s16, s16, s14
	s_mul_i32 s8, s8, s17
	s_mul_hi_u32 s18, s15, s8
	s_mul_i32 s19, s15, s8
	s_mul_i32 s21, s17, s16
	s_mul_hi_u32 s8, s17, s8
	s_mul_hi_u32 s20, s17, s16
	s_add_u32 s8, s8, s21
	s_addc_u32 s17, 0, s20
	s_add_u32 s8, s8, s19
	s_mul_hi_u32 s14, s15, s16
	s_addc_u32 s8, s17, s18
	s_addc_u32 s14, s14, 0
	s_mul_i32 s16, s15, s16
	s_add_u32 s8, s8, s16
	s_addc_u32 s14, 0, s14
	v_add_co_u32_e32 v1, vcc, s8, v1
	s_cmp_lg_u64 vcc, 0
	s_addc_u32 s16, s15, s14
	s_ashr_i32 s14, s9, 31
	s_add_u32 s8, s11, s14
	s_mov_b32 s15, s14
	s_addc_u32 s9, s9, s14
	s_xor_b64 s[8:9], s[8:9], s[14:15]
	v_readfirstlane_b32 s19, v1
	s_mul_i32 s18, s8, s16
	s_mul_hi_u32 s20, s8, s19
	s_mul_hi_u32 s17, s8, s16
	s_add_u32 s18, s20, s18
	s_addc_u32 s17, 0, s17
	s_mul_hi_u32 s21, s9, s19
	s_mul_i32 s19, s9, s19
	s_add_u32 s18, s18, s19
	s_mul_hi_u32 s20, s9, s16
	s_addc_u32 s17, s17, s21
	s_addc_u32 s18, s20, 0
	s_mul_i32 s16, s9, s16
	s_add_u32 s16, s17, s16
	s_addc_u32 s17, 0, s18
	s_add_u32 s18, s16, 1
	s_addc_u32 s19, s17, 0
	s_add_u32 s20, s16, 2
	s_mul_i32 s22, s13, s17
	s_mul_hi_u32 s23, s13, s16
	s_addc_u32 s21, s17, 0
	s_add_i32 s23, s23, s22
	s_mul_i32 s22, s13, s16
	v_mov_b32_e32 v1, s22
	v_sub_co_u32_e32 v1, vcc, s8, v1
	s_cmp_lg_u64 vcc, 0
	s_subb_u32 s8, s9, s23
	v_subrev_co_u32_e32 v4, vcc, s13, v1
	s_cmp_lg_u64 vcc, 0
	s_subb_u32 s9, s8, 0
	v_readfirstlane_b32 s22, v4
	s_cmp_ge_u32 s22, s13
	s_cselect_b32 s22, -1, 0
	s_cmp_eq_u32 s9, 0
	s_cselect_b32 s9, s22, -1
	s_cmp_lg_u32 s9, 0
	s_cselect_b32 s9, s21, s19
	v_readfirstlane_b32 s19, v1
	s_cselect_b32 s18, s20, s18
	s_cmp_ge_u32 s19, s13
	s_cselect_b32 s19, -1, 0
	s_cmp_eq_u32 s8, 0
	s_cselect_b32 s8, s19, -1
	s_cmp_lg_u32 s8, 0
	s_cselect_b32 s9, s9, s17
	s_cselect_b32 s8, s18, s16
	s_xor_b64 s[8:9], s[8:9], s[14:15]
	s_sub_u32 s8, s8, s14
	s_subb_u32 s9, s9, s14
	s_cbranch_execnz .LBB106_5
.LBB106_4:
	v_cvt_f32_u32_e32 v1, s13
	s_sub_i32 s2, 0, s13
	s_mov_b32 s9, 0
	v_rcp_iflag_f32_e32 v1, v1
	v_mul_f32_e32 v1, 0x4f7ffffe, v1
	v_cvt_u32_f32_e32 v1, v1
	v_readfirstlane_b32 s3, v1
	s_mul_i32 s2, s2, s3
	s_mul_hi_u32 s2, s3, s2
	s_add_i32 s3, s3, s2
	s_mul_hi_u32 s2, s11, s3
	s_mul_i32 s8, s2, s13
	s_sub_i32 s8, s11, s8
	s_add_i32 s3, s2, 1
	s_sub_i32 s11, s8, s13
	s_cmp_ge_u32 s8, s13
	s_cselect_b32 s2, s3, s2
	s_cselect_b32 s8, s11, s8
	s_add_i32 s3, s2, 1
	s_cmp_ge_u32 s8, s13
	s_cselect_b32 s8, s3, s2
.LBB106_5:
	v_mov_b32_e32 v1, 0
	v_mov_b32_e32 v4, s6
	v_mad_u64_u32 v[16:17], s[2:3], s7, v4, v[0:1]
	s_add_u32 s2, s8, 1
	s_addc_u32 s3, s9, 0
	s_mul_hi_u32 s8, s10, s7
	s_mul_i32 s3, s12, s3
	s_mul_hi_u32 s9, s12, s2
	s_add_i32 s3, s9, s3
	s_mul_i32 s8, s8, s2
	s_add_i32 s3, s3, s8
	s_mul_i32 s2, s12, s2
	s_lshl_b64 s[2:3], s[2:3], 2
	v_cmp_gt_i64_e32 vcc, s[2:3], v[16:17]
	s_and_saveexec_b64 s[8:9], vcc
	s_cbranch_execz .LBB106_26
; %bb.6:
	s_load_dwordx2 s[8:9], s[4:5], 0x30
	s_load_dword s11, s[4:5], 0x38
	s_mov_b32 s4, 0x5384540f
	v_mov_b32_e32 v4, v15
	v_add_co_u32_e32 v22, vcc, s4, v14
	s_mov_b32 s4, 0x646e171e
	v_add_co_u32_e32 v23, vcc, s4, v4
	s_mov_b32 s4, 0x1715609d
	;; [unrolled: 2-line block ×6, first 2 shown]
	v_alignbit_b32 v29, v3, v2, 2
	s_mov_b32 s15, 0xd2511f53
	v_add_co_u32_e32 v28, vcc, s4, v14
	v_mad_u64_u32 v[6:7], s[4:5], v29, s15, 0
	v_xor_b32_e32 v1, v7, v15
	v_xor_b32_e32 v1, v1, v17
	s_mov_b32 s16, 0xcd9e8d57
	v_mad_u64_u32 v[8:9], s[4:5], v1, s16, 0
	v_xor_b32_e32 v1, v28, v9
	v_mad_u64_u32 v[10:11], s[4:5], v16, s16, 0
	v_and_b32_e32 v18, 3, v2
	v_xor_b32_e32 v1, v1, v10
	v_xor_b32_e32 v2, v14, v11
	v_lshrrev_b32_e32 v30, 2, v3
	v_mad_u64_u32 v[12:13], s[4:5], v1, s15, 0
	v_xor_b32_e32 v2, v2, v30
	v_xor_b32_e32 v1, v27, v13
	v_mad_u64_u32 v[2:3], s[4:5], v2, s15, 0
	v_xor_b32_e32 v1, v1, v2
	v_mad_u64_u32 v[10:11], s[4:5], v1, s16, 0
	s_mov_b32 s4, 0xbb67ae85
	v_add_co_u32_e32 v31, vcc, s4, v4
	v_xor_b32_e32 v2, v31, v3
	v_xor_b32_e32 v2, v2, v6
	v_xor_b32_e32 v1, v26, v11
	v_mad_u64_u32 v[2:3], s[4:5], v2, s16, 0
	v_xor_b32_e32 v1, v1, v2
	v_mad_u64_u32 v[6:7], s[4:5], v1, s15, 0
	s_mov_b32 s4, 0x3c6ef372
	v_add_co_u32_e32 v32, vcc, s4, v14
	v_xor_b32_e32 v2, v32, v3
	;; [unrolled: 8-line block ×6, first 2 shown]
	v_add_co_u32_e32 v21, vcc, 0xdb3d7428, v4
	v_xor_b32_e32 v2, v2, v8
	v_xor_b32_e32 v1, v21, v7
	v_mad_u64_u32 v[2:3], s[4:5], v2, s15, 0
	v_xor_b32_e32 v1, v1, v2
	v_mad_u64_u32 v[8:9], s[4:5], v1, s16, 0
	s_mov_b32 s4, 0x1fd5c5a3
	v_add_co_u32_e32 v37, vcc, s4, v4
	v_xor_b32_e32 v1, v37, v3
	v_xor_b32_e32 v1, v1, v12
	v_mad_u64_u32 v[2:3], s[4:5], v1, s16, 0
	s_mov_b32 s4, 0xf1bbcdc8
	v_add_u32_e32 v19, 0x8ff34781, v14
	v_xor_b32_e32 v1, v9, v2
	v_add_co_u32_e32 v38, vcc, s4, v14
	v_xor_b32_e32 v2, v19, v1
	v_xor_b32_e32 v1, v38, v3
	;; [unrolled: 1-line block ×3, first 2 shown]
	v_mad_u64_u32 v[10:11], s[4:5], v1, s15, 0
	v_add_u32_e32 v20, 0x96a522ad, v15
	v_xor_b32_e32 v1, v11, v6
	s_mul_i32 s4, s6, s7
	v_xor_b32_e32 v4, v20, v1
	v_add_u32_e32 v1, s4, v0
	s_waitcnt lgkmcnt(0)
	s_mul_i32 s4, s10, s11
	s_mul_i32 s4, s4, s7
	s_lshl_b32 s21, s4, 2
	s_mul_i32 s4, s10, 3
	s_add_i32 s4, s6, s4
	s_mul_i32 s4, s4, s7
	v_mul_lo_u32 v39, s11, v1
	v_add_u32_e32 v1, s4, v0
	s_lshl_b32 s4, s10, 1
	s_add_i32 s4, s6, s4
	s_mul_i32 s4, s4, s7
	v_mul_lo_u32 v40, s11, v1
	v_add_u32_e32 v1, s4, v0
	s_add_i32 s4, s6, s10
	s_mul_i32 s4, s4, s7
	s_mov_b32 s14, 0
	v_add_u32_e32 v0, s4, v0
	v_mov_b32_e32 v3, v8
	v_mov_b32_e32 v5, v10
	s_lshl_b32 s17, s12, 1
	s_mov_b32 s18, s14
	s_mul_i32 s19, s12, 3
	s_mov_b32 s20, s14
	v_mul_lo_u32 v41, s11, v1
	v_mul_lo_u32 v42, s11, v0
	s_mov_b64 s[4:5], 0
	s_mov_b32 s22, s14
	v_mov_b32_e32 v43, v16
	v_mov_b32_e32 v44, v17
	s_branch .LBB106_8
.LBB106_7:                              ;   in Loop: Header=BB106_8 Depth=1
	s_or_b64 exec, exec, s[6:7]
	v_add_co_u32_e32 v16, vcc, s13, v16
	v_addc_co_u32_e32 v17, vcc, 0, v17, vcc
	v_mov_b32_e32 v9, v0
	s_add_i32 s22, s22, s21
	v_cmp_le_i64_e32 vcc, s[2:3], v[16:17]
	v_pk_mov_b32 v[2:3], v[6:7], v[6:7] op_sel:[0,1]
	s_or_b64 s[4:5], vcc, s[4:5]
	v_pk_mov_b32 v[4:5], v[8:9], v[8:9] op_sel:[0,1]
	s_barrier
	s_andn2_b64 exec, exec, s[4:5]
	s_cbranch_execz .LBB106_26
.LBB106_8:                              ; =>This Inner Loop Header: Depth=1
	v_add_co_u32_e32 v29, vcc, 1, v29
	v_cndmask_b32_e64 v0, 0, 1, vcc
	v_addc_co_u32_e32 v30, vcc, 0, v30, vcc
	v_cmp_eq_u32_e32 vcc, 0, v30
	v_cndmask_b32_e32 v0, 0, v0, vcc
	v_add_u32_e32 v43, v0, v43
	v_cmp_eq_u32_e32 vcc, 0, v43
	v_cndmask_b32_e32 v0, 0, v0, vcc
	v_add_u32_e32 v44, v0, v44
	v_mad_u64_u32 v[0:1], s[6:7], v29, s15, 0
	v_mad_u64_u32 v[6:7], s[6:7], v43, s16, 0
	v_xor_b32_e32 v1, v1, v15
	v_xor_b32_e32 v7, v7, v14
	v_xor_b32_e32 v1, v44, v1
	v_xor_b32_e32 v7, v30, v7
	v_mad_u64_u32 v[10:11], s[6:7], v1, s16, 0
	v_mad_u64_u32 v[8:9], s[6:7], v7, s15, 0
	v_xor_b32_e32 v1, v28, v11
	v_xor_b32_e32 v1, v1, v6
	v_xor_b32_e32 v6, v31, v9
	v_xor_b32_e32 v6, v6, v0
	;; [unrolled: 6-line block ×10, first 2 shown]
	v_mov_b32_e32 v7, v12
	v_mov_b32_e32 v8, v13
	v_cmp_lt_i32_e32 vcc, 1, v18
	s_and_saveexec_b64 s[6:7], vcc
	s_xor_b64 s[6:7], exec, s[6:7]
	s_cbranch_execnz .LBB106_18
; %bb.9:                                ;   in Loop: Header=BB106_8 Depth=1
	s_andn2_saveexec_b64 s[6:7], s[6:7]
	s_cbranch_execnz .LBB106_23
.LBB106_10:                             ;   in Loop: Header=BB106_8 Depth=1
	s_or_b64 exec, exec, s[6:7]
	v_cmp_gt_i64_e32 vcc, s[0:1], v[16:17]
	s_and_saveexec_b64 s[6:7], vcc
	s_cbranch_execz .LBB106_12
.LBB106_11:                             ;   in Loop: Header=BB106_8 Depth=1
	v_add_u32_e32 v1, s22, v39
	v_ashrrev_i32_e32 v9, 31, v1
	v_mov_b32_e32 v11, s9
	v_add_co_u32_e32 v10, vcc, s8, v1
	v_addc_co_u32_e32 v11, vcc, v11, v9, vcc
	v_and_b32_e32 v1, 1, v2
	global_store_byte v[10:11], v1, off
.LBB106_12:                             ;   in Loop: Header=BB106_8 Depth=1
	s_or_b64 exec, exec, s[6:7]
	v_mov_b32_e32 v1, s14
	v_add_co_u32_e32 v10, vcc, s12, v16
	v_addc_co_u32_e32 v11, vcc, v1, v17, vcc
	v_cmp_gt_i64_e32 vcc, s[0:1], v[10:11]
	s_and_saveexec_b64 s[6:7], vcc
	s_cbranch_execz .LBB106_14
; %bb.13:                               ;   in Loop: Header=BB106_8 Depth=1
	v_add_u32_e32 v1, s22, v42
	v_ashrrev_i32_e32 v2, 31, v1
	v_mov_b32_e32 v9, s9
	v_add_co_u32_e32 v10, vcc, s8, v1
	v_addc_co_u32_e32 v11, vcc, v9, v2, vcc
	v_and_b32_e32 v1, 1, v3
	global_store_byte v[10:11], v1, off
.LBB106_14:                             ;   in Loop: Header=BB106_8 Depth=1
	s_or_b64 exec, exec, s[6:7]
	v_mov_b32_e32 v1, s18
	v_add_co_u32_e32 v2, vcc, s17, v16
	v_addc_co_u32_e32 v3, vcc, v1, v17, vcc
	v_cmp_gt_i64_e32 vcc, s[0:1], v[2:3]
	s_and_saveexec_b64 s[6:7], vcc
	s_cbranch_execz .LBB106_16
; %bb.15:                               ;   in Loop: Header=BB106_8 Depth=1
	v_add_u32_e32 v1, s22, v41
	v_ashrrev_i32_e32 v3, 31, v1
	v_mov_b32_e32 v9, s9
	v_add_co_u32_e32 v2, vcc, s8, v1
	v_addc_co_u32_e32 v3, vcc, v9, v3, vcc
	v_and_b32_e32 v1, 1, v4
	global_store_byte v[2:3], v1, off
.LBB106_16:                             ;   in Loop: Header=BB106_8 Depth=1
	s_or_b64 exec, exec, s[6:7]
	v_mov_b32_e32 v1, s20
	v_add_co_u32_e32 v2, vcc, s19, v16
	v_addc_co_u32_e32 v3, vcc, v1, v17, vcc
	v_cmp_gt_i64_e32 vcc, s[0:1], v[2:3]
	s_and_saveexec_b64 s[6:7], vcc
	s_cbranch_execz .LBB106_7
; %bb.17:                               ;   in Loop: Header=BB106_8 Depth=1
	v_add_u32_e32 v1, s22, v40
	v_ashrrev_i32_e32 v3, 31, v1
	v_mov_b32_e32 v4, s9
	v_add_co_u32_e32 v2, vcc, s8, v1
	v_addc_co_u32_e32 v3, vcc, v4, v3, vcc
	v_and_b32_e32 v1, 1, v5
	global_store_byte v[2:3], v1, off
	s_branch .LBB106_7
.LBB106_18:                             ;   in Loop: Header=BB106_8 Depth=1
	v_cmp_lt_i32_e32 vcc, 2, v18
	s_and_saveexec_b64 s[10:11], vcc
	s_xor_b64 s[10:11], exec, s[10:11]
; %bb.19:                               ;   in Loop: Header=BB106_8 Depth=1
	v_mov_b32_e32 v10, v5
	v_mov_b32_e32 v11, v6
	v_pk_mov_b32 v[2:3], v[10:11], v[10:11] op_sel:[0,1]
	v_pk_mov_b32 v[4:5], v[12:13], v[12:13] op_sel:[0,1]
                                        ; implicit-def: $vgpr12_vgpr13
; %bb.20:                               ;   in Loop: Header=BB106_8 Depth=1
	s_andn2_saveexec_b64 s[10:11], s[10:11]
; %bb.21:                               ;   in Loop: Header=BB106_8 Depth=1
	v_mov_b32_e32 v2, v4
	v_mov_b32_e32 v3, v5
	;; [unrolled: 1-line block ×4, first 2 shown]
; %bb.22:                               ;   in Loop: Header=BB106_8 Depth=1
	s_or_b64 exec, exec, s[10:11]
	s_andn2_saveexec_b64 s[6:7], s[6:7]
	s_cbranch_execz .LBB106_10
.LBB106_23:                             ;   in Loop: Header=BB106_8 Depth=1
	v_cmp_eq_u32_e32 vcc, 1, v18
	s_and_saveexec_b64 s[10:11], vcc
; %bb.24:                               ;   in Loop: Header=BB106_8 Depth=1
	v_mov_b32_e32 v2, v3
	v_mov_b32_e32 v3, v4
	;; [unrolled: 1-line block ×4, first 2 shown]
; %bb.25:                               ;   in Loop: Header=BB106_8 Depth=1
	s_or_b64 exec, exec, s[10:11]
	s_or_b64 exec, exec, s[6:7]
	v_cmp_gt_i64_e32 vcc, s[0:1], v[16:17]
	s_and_saveexec_b64 s[6:7], vcc
	s_cbranch_execnz .LBB106_11
	s_branch .LBB106_12
.LBB106_26:
	s_endpgm
.LBB106_27:
                                        ; implicit-def: $sgpr8_sgpr9
	s_andn2_b64 vcc, exec, s[2:3]
	s_cbranch_vccz .LBB106_4
	s_branch .LBB106_5
	.section	.rodata,"a",@progbits
	.p2align	6, 0x0
	.amdhsa_kernel _ZN2at6native12_GLOBAL__N_143distribution_elementwise_grid_stride_kernelIjLi4EZZZNS0_9templates4cuda13random_kernelIPNS_17CUDAGeneratorImplEEEvRNS_18TensorIteratorBaseET_ENKUlvE_clEvENKUlvE8_clEvEUlP25hiprandStatePhilox4_32_10E0_ZNS1_27distribution_nullary_kernelIbj15HIP_vector_typeIjLj4EES7_SF_ZZZNS5_IS7_EEvS9_SA_ENKSB_clEvENKSC_clEvEUljE_EEvS9_T2_RKT3_T4_EUlijE_EEvlNS_15PhiloxCudaStateET1_SK_
		.amdhsa_group_segment_fixed_size 0
		.amdhsa_private_segment_fixed_size 0
		.amdhsa_kernarg_size 320
		.amdhsa_user_sgpr_count 6
		.amdhsa_user_sgpr_private_segment_buffer 1
		.amdhsa_user_sgpr_dispatch_ptr 0
		.amdhsa_user_sgpr_queue_ptr 0
		.amdhsa_user_sgpr_kernarg_segment_ptr 1
		.amdhsa_user_sgpr_dispatch_id 0
		.amdhsa_user_sgpr_flat_scratch_init 0
		.amdhsa_user_sgpr_kernarg_preload_length 0
		.amdhsa_user_sgpr_kernarg_preload_offset 0
		.amdhsa_user_sgpr_private_segment_size 0
		.amdhsa_uses_dynamic_stack 0
		.amdhsa_system_sgpr_private_segment_wavefront_offset 0
		.amdhsa_system_sgpr_workgroup_id_x 1
		.amdhsa_system_sgpr_workgroup_id_y 0
		.amdhsa_system_sgpr_workgroup_id_z 0
		.amdhsa_system_sgpr_workgroup_info 0
		.amdhsa_system_vgpr_workitem_id 0
		.amdhsa_next_free_vgpr 48
		.amdhsa_next_free_sgpr 24
		.amdhsa_accum_offset 48
		.amdhsa_reserve_vcc 1
		.amdhsa_reserve_flat_scratch 0
		.amdhsa_float_round_mode_32 0
		.amdhsa_float_round_mode_16_64 0
		.amdhsa_float_denorm_mode_32 3
		.amdhsa_float_denorm_mode_16_64 3
		.amdhsa_dx10_clamp 1
		.amdhsa_ieee_mode 1
		.amdhsa_fp16_overflow 0
		.amdhsa_tg_split 0
		.amdhsa_exception_fp_ieee_invalid_op 0
		.amdhsa_exception_fp_denorm_src 0
		.amdhsa_exception_fp_ieee_div_zero 0
		.amdhsa_exception_fp_ieee_overflow 0
		.amdhsa_exception_fp_ieee_underflow 0
		.amdhsa_exception_fp_ieee_inexact 0
		.amdhsa_exception_int_div_zero 0
	.end_amdhsa_kernel
	.section	.text._ZN2at6native12_GLOBAL__N_143distribution_elementwise_grid_stride_kernelIjLi4EZZZNS0_9templates4cuda13random_kernelIPNS_17CUDAGeneratorImplEEEvRNS_18TensorIteratorBaseET_ENKUlvE_clEvENKUlvE8_clEvEUlP25hiprandStatePhilox4_32_10E0_ZNS1_27distribution_nullary_kernelIbj15HIP_vector_typeIjLj4EES7_SF_ZZZNS5_IS7_EEvS9_SA_ENKSB_clEvENKSC_clEvEUljE_EEvS9_T2_RKT3_T4_EUlijE_EEvlNS_15PhiloxCudaStateET1_SK_,"axG",@progbits,_ZN2at6native12_GLOBAL__N_143distribution_elementwise_grid_stride_kernelIjLi4EZZZNS0_9templates4cuda13random_kernelIPNS_17CUDAGeneratorImplEEEvRNS_18TensorIteratorBaseET_ENKUlvE_clEvENKUlvE8_clEvEUlP25hiprandStatePhilox4_32_10E0_ZNS1_27distribution_nullary_kernelIbj15HIP_vector_typeIjLj4EES7_SF_ZZZNS5_IS7_EEvS9_SA_ENKSB_clEvENKSC_clEvEUljE_EEvS9_T2_RKT3_T4_EUlijE_EEvlNS_15PhiloxCudaStateET1_SK_,comdat
.Lfunc_end106:
	.size	_ZN2at6native12_GLOBAL__N_143distribution_elementwise_grid_stride_kernelIjLi4EZZZNS0_9templates4cuda13random_kernelIPNS_17CUDAGeneratorImplEEEvRNS_18TensorIteratorBaseET_ENKUlvE_clEvENKUlvE8_clEvEUlP25hiprandStatePhilox4_32_10E0_ZNS1_27distribution_nullary_kernelIbj15HIP_vector_typeIjLj4EES7_SF_ZZZNS5_IS7_EEvS9_SA_ENKSB_clEvENKSC_clEvEUljE_EEvS9_T2_RKT3_T4_EUlijE_EEvlNS_15PhiloxCudaStateET1_SK_, .Lfunc_end106-_ZN2at6native12_GLOBAL__N_143distribution_elementwise_grid_stride_kernelIjLi4EZZZNS0_9templates4cuda13random_kernelIPNS_17CUDAGeneratorImplEEEvRNS_18TensorIteratorBaseET_ENKUlvE_clEvENKUlvE8_clEvEUlP25hiprandStatePhilox4_32_10E0_ZNS1_27distribution_nullary_kernelIbj15HIP_vector_typeIjLj4EES7_SF_ZZZNS5_IS7_EEvS9_SA_ENKSB_clEvENKSC_clEvEUljE_EEvS9_T2_RKT3_T4_EUlijE_EEvlNS_15PhiloxCudaStateET1_SK_
                                        ; -- End function
	.section	.AMDGPU.csdata,"",@progbits
; Kernel info:
; codeLenInByte = 2352
; NumSgprs: 28
; NumVgprs: 48
; NumAgprs: 0
; TotalNumVgprs: 48
; ScratchSize: 0
; MemoryBound: 0
; FloatMode: 240
; IeeeMode: 1
; LDSByteSize: 0 bytes/workgroup (compile time only)
; SGPRBlocks: 3
; VGPRBlocks: 5
; NumSGPRsForWavesPerEU: 28
; NumVGPRsForWavesPerEU: 48
; AccumOffset: 48
; Occupancy: 8
; WaveLimiterHint : 0
; COMPUTE_PGM_RSRC2:SCRATCH_EN: 0
; COMPUTE_PGM_RSRC2:USER_SGPR: 6
; COMPUTE_PGM_RSRC2:TRAP_HANDLER: 0
; COMPUTE_PGM_RSRC2:TGID_X_EN: 1
; COMPUTE_PGM_RSRC2:TGID_Y_EN: 0
; COMPUTE_PGM_RSRC2:TGID_Z_EN: 0
; COMPUTE_PGM_RSRC2:TIDIG_COMP_CNT: 0
; COMPUTE_PGM_RSRC3_GFX90A:ACCUM_OFFSET: 11
; COMPUTE_PGM_RSRC3_GFX90A:TG_SPLIT: 0
	.section	.text._ZN2at6native12_GLOBAL__N_143distribution_elementwise_grid_stride_kernelIjLi4EZZZNS0_9templates4cuda13random_kernelIPNS_17CUDAGeneratorImplEEEvRNS_18TensorIteratorBaseET_ENKUlvE_clEvENKUlvE8_clEvEUlP25hiprandStatePhilox4_32_10E0_ZNS1_27distribution_nullary_kernelIbj15HIP_vector_typeIjLj4EES7_SF_ZZZNS5_IS7_EEvS9_SA_ENKSB_clEvENKSC_clEvEUljE_EEvS9_T2_RKT3_T4_EUlijE0_EEvlNS_15PhiloxCudaStateET1_SK_,"axG",@progbits,_ZN2at6native12_GLOBAL__N_143distribution_elementwise_grid_stride_kernelIjLi4EZZZNS0_9templates4cuda13random_kernelIPNS_17CUDAGeneratorImplEEEvRNS_18TensorIteratorBaseET_ENKUlvE_clEvENKUlvE8_clEvEUlP25hiprandStatePhilox4_32_10E0_ZNS1_27distribution_nullary_kernelIbj15HIP_vector_typeIjLj4EES7_SF_ZZZNS5_IS7_EEvS9_SA_ENKSB_clEvENKSC_clEvEUljE_EEvS9_T2_RKT3_T4_EUlijE0_EEvlNS_15PhiloxCudaStateET1_SK_,comdat
	.globl	_ZN2at6native12_GLOBAL__N_143distribution_elementwise_grid_stride_kernelIjLi4EZZZNS0_9templates4cuda13random_kernelIPNS_17CUDAGeneratorImplEEEvRNS_18TensorIteratorBaseET_ENKUlvE_clEvENKUlvE8_clEvEUlP25hiprandStatePhilox4_32_10E0_ZNS1_27distribution_nullary_kernelIbj15HIP_vector_typeIjLj4EES7_SF_ZZZNS5_IS7_EEvS9_SA_ENKSB_clEvENKSC_clEvEUljE_EEvS9_T2_RKT3_T4_EUlijE0_EEvlNS_15PhiloxCudaStateET1_SK_ ; -- Begin function _ZN2at6native12_GLOBAL__N_143distribution_elementwise_grid_stride_kernelIjLi4EZZZNS0_9templates4cuda13random_kernelIPNS_17CUDAGeneratorImplEEEvRNS_18TensorIteratorBaseET_ENKUlvE_clEvENKUlvE8_clEvEUlP25hiprandStatePhilox4_32_10E0_ZNS1_27distribution_nullary_kernelIbj15HIP_vector_typeIjLj4EES7_SF_ZZZNS5_IS7_EEvS9_SA_ENKSB_clEvENKSC_clEvEUljE_EEvS9_T2_RKT3_T4_EUlijE0_EEvlNS_15PhiloxCudaStateET1_SK_
	.p2align	8
	.type	_ZN2at6native12_GLOBAL__N_143distribution_elementwise_grid_stride_kernelIjLi4EZZZNS0_9templates4cuda13random_kernelIPNS_17CUDAGeneratorImplEEEvRNS_18TensorIteratorBaseET_ENKUlvE_clEvENKUlvE8_clEvEUlP25hiprandStatePhilox4_32_10E0_ZNS1_27distribution_nullary_kernelIbj15HIP_vector_typeIjLj4EES7_SF_ZZZNS5_IS7_EEvS9_SA_ENKSB_clEvENKSC_clEvEUljE_EEvS9_T2_RKT3_T4_EUlijE0_EEvlNS_15PhiloxCudaStateET1_SK_,@function
_ZN2at6native12_GLOBAL__N_143distribution_elementwise_grid_stride_kernelIjLi4EZZZNS0_9templates4cuda13random_kernelIPNS_17CUDAGeneratorImplEEEvRNS_18TensorIteratorBaseET_ENKUlvE_clEvENKUlvE8_clEvEUlP25hiprandStatePhilox4_32_10E0_ZNS1_27distribution_nullary_kernelIbj15HIP_vector_typeIjLj4EES7_SF_ZZZNS5_IS7_EEvS9_SA_ENKSB_clEvENKSC_clEvEUljE_EEvS9_T2_RKT3_T4_EUlijE0_EEvlNS_15PhiloxCudaStateET1_SK_: ; @_ZN2at6native12_GLOBAL__N_143distribution_elementwise_grid_stride_kernelIjLi4EZZZNS0_9templates4cuda13random_kernelIPNS_17CUDAGeneratorImplEEEvRNS_18TensorIteratorBaseET_ENKUlvE_clEvENKUlvE8_clEvEUlP25hiprandStatePhilox4_32_10E0_ZNS1_27distribution_nullary_kernelIbj15HIP_vector_typeIjLj4EES7_SF_ZZZNS5_IS7_EEvS9_SA_ENKSB_clEvENKSC_clEvEUljE_EEvS9_T2_RKT3_T4_EUlijE0_EEvlNS_15PhiloxCudaStateET1_SK_
; %bb.0:
	s_load_dword s2, s[4:5], 0x20
	s_load_dwordx2 s[0:1], s[4:5], 0x10
	s_load_dwordx4 s[24:27], s[4:5], 0x0
	s_waitcnt lgkmcnt(0)
	s_bitcmp0_b32 s2, 0
	s_mov_b32 s2, 0
	v_pk_mov_b32 v[2:3], s[0:1], s[0:1] op_sel:[0,1]
	v_pk_mov_b32 v[12:13], s[26:27], s[26:27] op_sel:[0,1]
	s_cbranch_scc1 .LBB107_2
; %bb.1:
	v_pk_mov_b32 v[2:3], s[0:1], s[0:1] op_sel:[0,1]
	flat_load_dwordx2 v[2:3], v[2:3]
	v_pk_mov_b32 v[4:5], s[26:27], s[26:27] op_sel:[0,1]
	flat_load_dwordx2 v[12:13], v[4:5]
	s_load_dwordx2 s[0:1], s[4:5], 0x18
	s_waitcnt lgkmcnt(0)
	v_mov_b32_e32 v1, s1
	s_waitcnt vmcnt(0)
	v_add_co_u32_e32 v2, vcc, s0, v2
	v_addc_co_u32_e32 v3, vcc, v3, v1, vcc
.LBB107_2:
	s_load_dword s0, s[4:5], 0x154
	s_load_dword s7, s[4:5], 0x148
	s_waitcnt lgkmcnt(0)
	s_and_b32 s8, s0, 0xffff
	s_add_u32 s9, s24, -1
	s_mul_i32 s33, s7, s8
	s_addc_u32 s3, s25, -1
	s_lshl_b32 s58, s33, 2
	s_cmp_lg_u64 s[2:3], 0
	s_mov_b64 s[0:1], -1
	s_cbranch_scc0 .LBB107_83
; %bb.3:
	v_cvt_f32_u32_e32 v1, s58
	v_cvt_f32_ubyte0_e32 v4, 0
	s_sub_u32 s2, 0, s58
	s_subb_u32 s10, 0, 0
	v_madmk_f32 v1, v4, 0x4f800000, v1
	v_rcp_f32_e32 v1, v1
	v_mul_f32_e32 v1, 0x5f7ffffc, v1
	v_mul_f32_e32 v4, 0x2f800000, v1
	v_trunc_f32_e32 v4, v4
	v_madmk_f32 v1, v4, 0xcf800000, v1
	v_cvt_u32_f32_e32 v4, v4
	v_cvt_u32_f32_e32 v1, v1
	v_readfirstlane_b32 s11, v4
	v_readfirstlane_b32 s12, v1
	s_mul_i32 s13, s2, s11
	s_mul_hi_u32 s15, s2, s12
	s_mul_i32 s14, s10, s12
	s_add_i32 s13, s15, s13
	s_add_i32 s13, s13, s14
	s_mul_i32 s16, s2, s12
	s_mul_hi_u32 s14, s12, s13
	s_mul_i32 s15, s12, s13
	s_mul_hi_u32 s12, s12, s16
	s_add_u32 s12, s12, s15
	s_addc_u32 s14, 0, s14
	s_mul_hi_u32 s17, s11, s16
	s_mul_i32 s16, s11, s16
	s_add_u32 s12, s12, s16
	s_mul_hi_u32 s15, s11, s13
	s_addc_u32 s12, s14, s17
	s_addc_u32 s14, s15, 0
	s_mul_i32 s13, s11, s13
	s_add_u32 s12, s12, s13
	s_addc_u32 s13, 0, s14
	v_add_co_u32_e32 v1, vcc, s12, v1
	s_cmp_lg_u64 vcc, 0
	s_addc_u32 s11, s11, s13
	v_readfirstlane_b32 s13, v1
	s_mul_i32 s12, s2, s11
	s_mul_hi_u32 s14, s2, s13
	s_add_i32 s12, s14, s12
	s_mul_i32 s10, s10, s13
	s_add_i32 s12, s12, s10
	s_mul_i32 s2, s2, s13
	s_mul_hi_u32 s14, s11, s2
	s_mul_i32 s15, s11, s2
	s_mul_i32 s17, s13, s12
	s_mul_hi_u32 s2, s13, s2
	s_mul_hi_u32 s16, s13, s12
	s_add_u32 s2, s2, s17
	s_addc_u32 s13, 0, s16
	s_add_u32 s2, s2, s15
	s_mul_hi_u32 s10, s11, s12
	s_addc_u32 s2, s13, s14
	s_addc_u32 s10, s10, 0
	s_mul_i32 s12, s11, s12
	s_add_u32 s2, s2, s12
	s_addc_u32 s10, 0, s10
	v_add_co_u32_e32 v1, vcc, s2, v1
	s_cmp_lg_u64 vcc, 0
	s_addc_u32 s12, s11, s10
	s_ashr_i32 s10, s3, 31
	s_add_u32 s2, s9, s10
	s_mov_b32 s11, s10
	s_addc_u32 s3, s3, s10
	s_xor_b64 s[2:3], s[2:3], s[10:11]
	v_readfirstlane_b32 s15, v1
	s_mul_i32 s14, s2, s12
	s_mul_hi_u32 s16, s2, s15
	s_mul_hi_u32 s13, s2, s12
	s_add_u32 s14, s16, s14
	s_addc_u32 s13, 0, s13
	s_mul_hi_u32 s17, s3, s15
	s_mul_i32 s15, s3, s15
	s_add_u32 s14, s14, s15
	s_mul_hi_u32 s16, s3, s12
	s_addc_u32 s13, s13, s17
	s_addc_u32 s14, s16, 0
	s_mul_i32 s12, s3, s12
	s_add_u32 s12, s13, s12
	s_addc_u32 s13, 0, s14
	s_add_u32 s14, s12, 1
	s_addc_u32 s15, s13, 0
	s_add_u32 s16, s12, 2
	s_mul_i32 s18, s58, s13
	s_mul_hi_u32 s19, s58, s12
	s_addc_u32 s17, s13, 0
	s_add_i32 s19, s19, s18
	s_mul_i32 s18, s58, s12
	v_mov_b32_e32 v1, s18
	v_sub_co_u32_e32 v1, vcc, s2, v1
	s_cmp_lg_u64 vcc, 0
	s_subb_u32 s2, s3, s19
	v_subrev_co_u32_e32 v4, vcc, s58, v1
	s_cmp_lg_u64 vcc, 0
	s_subb_u32 s3, s2, 0
	v_readfirstlane_b32 s18, v4
	s_cmp_ge_u32 s18, s58
	s_cselect_b32 s18, -1, 0
	s_cmp_eq_u32 s3, 0
	s_cselect_b32 s3, s18, -1
	s_cmp_lg_u32 s3, 0
	s_cselect_b32 s3, s17, s15
	v_readfirstlane_b32 s15, v1
	s_cselect_b32 s14, s16, s14
	s_cmp_ge_u32 s15, s58
	s_cselect_b32 s15, -1, 0
	s_cmp_eq_u32 s2, 0
	s_cselect_b32 s2, s15, -1
	s_cmp_lg_u32 s2, 0
	s_cselect_b32 s3, s3, s13
	s_cselect_b32 s2, s14, s12
	s_xor_b64 s[2:3], s[2:3], s[10:11]
	s_sub_u32 s2, s2, s10
	s_subb_u32 s3, s3, s10
	s_cbranch_execnz .LBB107_5
.LBB107_4:
	v_cvt_f32_u32_e32 v1, s58
	s_sub_i32 s0, 0, s58
	s_mov_b32 s3, 0
	v_rcp_iflag_f32_e32 v1, v1
	v_mul_f32_e32 v1, 0x4f7ffffe, v1
	v_cvt_u32_f32_e32 v1, v1
	v_readfirstlane_b32 s1, v1
	s_mul_i32 s0, s0, s1
	s_mul_hi_u32 s0, s1, s0
	s_add_i32 s1, s1, s0
	s_mul_hi_u32 s0, s9, s1
	s_mul_i32 s2, s0, s58
	s_sub_i32 s2, s9, s2
	s_add_i32 s1, s0, 1
	s_sub_i32 s9, s2, s58
	s_cmp_ge_u32 s2, s58
	s_cselect_b32 s0, s1, s0
	s_cselect_b32 s2, s9, s2
	s_add_i32 s1, s0, 1
	s_cmp_ge_u32 s2, s58
	s_cselect_b32 s2, s1, s0
.LBB107_5:
	v_mov_b32_e32 v1, 0
	v_mov_b32_e32 v4, s6
	v_mad_u64_u32 v[14:15], s[0:1], s8, v4, v[0:1]
	s_add_u32 s0, s2, 1
	s_addc_u32 s1, s3, 0
	s_mul_hi_u32 s2, s7, s8
	s_mul_i32 s1, s33, s1
	s_mul_hi_u32 s3, s33, s0
	s_add_i32 s1, s3, s1
	s_mul_i32 s2, s2, s0
	s_add_i32 s1, s1, s2
	s_mul_i32 s0, s33, s0
	s_lshl_b64 s[26:27], s[0:1], 2
	v_cmp_gt_i64_e32 vcc, s[26:27], v[14:15]
	s_and_saveexec_b64 s[0:1], vcc
	s_cbranch_execz .LBB107_82
; %bb.6:
	s_mov_b32 s0, 0x5384540f
	v_mov_b32_e32 v0, v13
	v_add_co_u32_e32 v22, vcc, s0, v12
	s_mov_b32 s0, 0x646e171e
	v_add_co_u32_e32 v23, vcc, s0, v0
	s_mov_b32 s0, 0x1715609d
	v_add_co_u32_e32 v24, vcc, s0, v12
	s_mov_b32 s0, 0xed9eba14
	v_add_co_u32_e32 v25, vcc, s0, v0
	s_mov_b32 s0, 0xdaa66d2b
	v_add_co_u32_e32 v26, vcc, s0, v12
	s_mov_b32 s0, 0x76cf5d0a
	v_add_co_u32_e32 v27, vcc, s0, v0
	s_mov_b32 s0, 0x9e3779b9
	v_alignbit_b32 v29, v3, v2, 2
	s_mov_b32 s60, 0xd2511f53
	v_add_co_u32_e32 v28, vcc, s0, v12
	v_mad_u64_u32 v[4:5], s[0:1], v29, s60, 0
	v_xor_b32_e32 v1, v5, v13
	v_xor_b32_e32 v1, v1, v15
	s_mov_b32 s61, 0xcd9e8d57
	v_mad_u64_u32 v[6:7], s[0:1], v1, s61, 0
	v_xor_b32_e32 v1, v28, v7
	v_mad_u64_u32 v[8:9], s[0:1], v14, s61, 0
	v_and_b32_e32 v18, 3, v2
	v_xor_b32_e32 v1, v1, v8
	v_xor_b32_e32 v2, v12, v9
	v_lshrrev_b32_e32 v30, 2, v3
	v_mad_u64_u32 v[10:11], s[0:1], v1, s60, 0
	v_xor_b32_e32 v2, v2, v30
	v_xor_b32_e32 v1, v27, v11
	v_mad_u64_u32 v[2:3], s[0:1], v2, s60, 0
	v_xor_b32_e32 v1, v1, v2
	v_mad_u64_u32 v[8:9], s[0:1], v1, s61, 0
	s_mov_b32 s0, 0xbb67ae85
	v_add_co_u32_e32 v31, vcc, s0, v0
	v_xor_b32_e32 v2, v31, v3
	v_xor_b32_e32 v2, v2, v4
	v_xor_b32_e32 v1, v26, v9
	v_mad_u64_u32 v[2:3], s[0:1], v2, s61, 0
	v_xor_b32_e32 v1, v1, v2
	v_mad_u64_u32 v[4:5], s[0:1], v1, s60, 0
	s_mov_b32 s0, 0x3c6ef372
	v_add_co_u32_e32 v32, vcc, s0, v12
	v_xor_b32_e32 v2, v32, v3
	;; [unrolled: 8-line block ×6, first 2 shown]
	v_add_co_u32_e32 v21, vcc, 0xdb3d7428, v0
	v_xor_b32_e32 v2, v2, v6
	v_xor_b32_e32 v1, v21, v5
	v_mad_u64_u32 v[2:3], s[0:1], v2, s60, 0
	v_xor_b32_e32 v1, v1, v2
	v_mad_u64_u32 v[6:7], s[0:1], v1, s61, 0
	s_mov_b32 s0, 0x1fd5c5a3
	v_add_co_u32_e32 v37, vcc, s0, v0
	v_xor_b32_e32 v0, v37, v3
	v_xor_b32_e32 v0, v0, v10
	v_mad_u64_u32 v[0:1], s[0:1], v0, s61, 0
	s_mov_b32 s0, 0xf1bbcdc8
	s_load_dwordx8 s[8:15], s[4:5], 0x30
	v_add_co_u32_e32 v38, vcc, s0, v12
	v_xor_b32_e32 v1, v38, v1
	v_xor_b32_e32 v1, v1, v8
	s_add_u32 s34, s4, 48
	v_mad_u64_u32 v[8:9], s[0:1], v1, s60, 0
	s_addc_u32 s35, s5, 0
	s_waitcnt lgkmcnt(0)
	s_add_i32 s0, s8, -1
	s_cmp_gt_u32 s0, 1
	s_cselect_b64 s[36:37], -1, 0
	s_cmp_lg_u32 s8, 0
	s_cselect_b64 s[38:39], -1, 0
	s_add_u32 s40, s4, 0xf4
	s_addc_u32 s41, s5, 0
	s_min_u32 s1, s0, 15
	s_cmp_gt_u32 s8, 1
	s_cselect_b64 s[42:43], -1, 0
	s_add_i32 s1, s1, 1
	s_mov_b32 s8, s13
	s_load_dwordx2 s[44:45], s[4:5], 0xf4
	s_load_dwordx2 s[46:47], s[4:5], 0x138
	s_lshl_b32 s13, s33, 1
	s_and_b32 s64, s1, 3
	s_cmp_lg_u32 s0, 2
	s_cselect_b64 s[48:49], -1, 0
	s_and_b32 s65, s1, 28
	s_mov_b32 s59, 0
	v_add_u32_e32 v19, 0x8ff34781, v12
	v_add_u32_e32 v20, 0x96a522ad, v13
	v_xor_b32_e32 v0, v7, v0
	v_xor_b32_e32 v1, v9, v4
	s_cmp_lg_u32 s64, 0
	v_xor_b32_e32 v0, v19, v0
	v_xor_b32_e32 v2, v20, v1
	v_mov_b32_e32 v1, v6
	v_mov_b32_e32 v3, v8
	s_mov_b32 s15, s59
	s_mul_i32 s62, s33, 3
	s_mov_b32 s63, s59
	s_mov_b64 s[50:51], 0
	s_cselect_b64 s[52:53], -1, 0
	v_mov_b32_e32 v39, v14
	v_mov_b32_e32 v40, v15
	s_branch .LBB107_9
.LBB107_7:                              ;   in Loop: Header=BB107_9 Depth=1
	v_and_b32_e32 v0, 1, v3
	s_waitcnt lgkmcnt(0)
	global_store_byte v8, v0, s[46:47]
.LBB107_8:                              ;   in Loop: Header=BB107_9 Depth=1
	s_or_b64 exec, exec, s[28:29]
	v_add_co_u32_e32 v14, vcc, s58, v14
	v_addc_co_u32_e32 v15, vcc, 0, v15, vcc
	v_mov_b32_e32 v7, v16
	v_cmp_le_i64_e32 vcc, s[26:27], v[14:15]
	v_pk_mov_b32 v[0:1], v[4:5], v[4:5] op_sel:[0,1]
	s_or_b64 s[50:51], vcc, s[50:51]
	v_pk_mov_b32 v[2:3], v[6:7], v[6:7] op_sel:[0,1]
	s_waitcnt lgkmcnt(0)
	s_barrier
	s_andn2_b64 exec, exec, s[50:51]
	s_cbranch_execz .LBB107_82
.LBB107_9:                              ; =>This Loop Header: Depth=1
                                        ;     Child Loop BB107_24 Depth 2
                                        ;     Child Loop BB107_30 Depth 2
	;; [unrolled: 1-line block ×8, first 2 shown]
	v_add_co_u32_e32 v29, vcc, 1, v29
	v_cndmask_b32_e64 v4, 0, 1, vcc
	v_addc_co_u32_e32 v30, vcc, 0, v30, vcc
	v_cmp_eq_u32_e32 vcc, 0, v30
	v_cndmask_b32_e32 v4, 0, v4, vcc
	v_add_u32_e32 v39, v4, v39
	v_cmp_eq_u32_e32 vcc, 0, v39
	v_cndmask_b32_e32 v4, 0, v4, vcc
	v_add_u32_e32 v40, v4, v40
	v_mad_u64_u32 v[4:5], s[0:1], v29, s60, 0
	v_mad_u64_u32 v[6:7], s[0:1], v39, s61, 0
	v_xor_b32_e32 v5, v5, v13
	v_xor_b32_e32 v7, v7, v12
	v_xor_b32_e32 v5, v40, v5
	v_xor_b32_e32 v7, v30, v7
	v_mad_u64_u32 v[10:11], s[0:1], v5, s61, 0
	v_mad_u64_u32 v[8:9], s[0:1], v7, s60, 0
	v_xor_b32_e32 v5, v28, v11
	v_xor_b32_e32 v5, v5, v6
	v_xor_b32_e32 v6, v31, v9
	v_xor_b32_e32 v6, v6, v4
	;; [unrolled: 6-line block ×10, first 2 shown]
	v_mov_b32_e32 v5, v10
	v_mov_b32_e32 v6, v11
	v_cmp_lt_i32_e32 vcc, 1, v18
	s_and_saveexec_b64 s[0:1], vcc
	s_xor_b64 s[0:1], exec, s[0:1]
	s_cbranch_execz .LBB107_15
; %bb.10:                               ;   in Loop: Header=BB107_9 Depth=1
	v_cmp_lt_i32_e32 vcc, 2, v18
	s_and_saveexec_b64 s[2:3], vcc
	s_xor_b64 s[2:3], exec, s[2:3]
; %bb.11:                               ;   in Loop: Header=BB107_9 Depth=1
	v_mov_b32_e32 v8, v3
	v_mov_b32_e32 v9, v4
	v_pk_mov_b32 v[0:1], v[8:9], v[8:9] op_sel:[0,1]
	v_pk_mov_b32 v[2:3], v[10:11], v[10:11] op_sel:[0,1]
                                        ; implicit-def: $vgpr10_vgpr11
; %bb.12:                               ;   in Loop: Header=BB107_9 Depth=1
	s_andn2_saveexec_b64 s[2:3], s[2:3]
; %bb.13:                               ;   in Loop: Header=BB107_9 Depth=1
	v_mov_b32_e32 v0, v2
	v_mov_b32_e32 v1, v3
	;; [unrolled: 1-line block ×4, first 2 shown]
; %bb.14:                               ;   in Loop: Header=BB107_9 Depth=1
	s_or_b64 exec, exec, s[2:3]
.LBB107_15:                             ;   in Loop: Header=BB107_9 Depth=1
	s_andn2_saveexec_b64 s[0:1], s[0:1]
	s_cbranch_execz .LBB107_19
; %bb.16:                               ;   in Loop: Header=BB107_9 Depth=1
	v_cmp_eq_u32_e32 vcc, 1, v18
	s_and_saveexec_b64 s[2:3], vcc
; %bb.17:                               ;   in Loop: Header=BB107_9 Depth=1
	v_mov_b32_e32 v0, v1
	v_mov_b32_e32 v1, v2
	;; [unrolled: 1-line block ×4, first 2 shown]
; %bb.18:                               ;   in Loop: Header=BB107_9 Depth=1
	s_or_b64 exec, exec, s[2:3]
.LBB107_19:                             ;   in Loop: Header=BB107_9 Depth=1
	s_or_b64 exec, exec, s[0:1]
	v_cndmask_b32_e64 v7, 0, 1, s[36:37]
	v_cmp_gt_i64_e32 vcc, s[24:25], v[14:15]
	v_cmp_ne_u32_e64 s[0:1], 1, v7
	s_and_saveexec_b64 s[2:3], vcc
	s_cbranch_execz .LBB107_35
; %bb.20:                               ;   in Loop: Header=BB107_9 Depth=1
	s_and_b64 vcc, exec, s[0:1]
	s_cbranch_vccnz .LBB107_26
; %bb.21:                               ;   in Loop: Header=BB107_9 Depth=1
	s_andn2_b64 vcc, exec, s[38:39]
	s_cbranch_vccnz .LBB107_27
; %bb.22:                               ;   in Loop: Header=BB107_9 Depth=1
	s_mov_b32 s6, 0
	s_andn2_b64 vcc, exec, s[48:49]
	v_mov_b32_e32 v8, 0
	s_cbranch_vccnz .LBB107_28
; %bb.23:                               ;   in Loop: Header=BB107_9 Depth=1
	s_mov_b32 s66, 0
	v_mov_b32_e32 v8, 0
	s_mov_b64 s[54:55], s[34:35]
	s_mov_b64 s[56:57], s[40:41]
	v_mov_b32_e32 v7, v14
.LBB107_24:                             ;   Parent Loop BB107_9 Depth=1
                                        ; =>  This Inner Loop Header: Depth=2
	s_load_dwordx8 s[16:23], s[54:55], 0x4
	s_load_dwordx4 s[4:7], s[54:55], 0x24
	s_load_dwordx4 s[28:31], s[56:57], 0x0
	s_add_u32 s54, s54, 48
	s_addc_u32 s55, s55, 0
	s_waitcnt lgkmcnt(0)
	v_mul_hi_u32 v9, s17, v7
	v_add_u32_e32 v9, v7, v9
	v_lshrrev_b32_e32 v9, s18, v9
	v_mul_lo_u32 v10, v9, s16
	v_mul_hi_u32 v11, s20, v9
	v_sub_u32_e32 v7, v7, v10
	v_add_u32_e32 v10, v9, v11
	v_lshrrev_b32_e32 v10, s21, v10
	v_mul_lo_u32 v11, v10, s19
	v_mul_hi_u32 v17, s23, v10
	v_sub_u32_e32 v9, v9, v11
	v_add_u32_e32 v11, v10, v17
	v_mul_lo_u32 v7, v7, s28
	v_mul_lo_u32 v9, v9, s29
	v_lshrrev_b32_e32 v11, s4, v11
	v_add3_u32 v8, v7, v8, v9
	v_mul_lo_u32 v7, v11, s22
	v_mul_hi_u32 v9, s6, v11
	v_sub_u32_e32 v7, v10, v7
	v_add_u32_e32 v9, v11, v9
	v_mul_lo_u32 v10, v7, s30
	v_lshrrev_b32_e32 v7, s7, v9
	s_add_i32 s66, s66, 4
	v_mul_lo_u32 v9, v7, s5
	s_add_u32 s56, s56, 16
	v_sub_u32_e32 v9, v11, v9
	s_addc_u32 s57, s57, 0
	v_mul_lo_u32 v9, v9, s31
	s_cmp_lg_u32 s65, s66
	v_add3_u32 v8, v10, v8, v9
	s_cbranch_scc1 .LBB107_24
; %bb.25:                               ;   in Loop: Header=BB107_9 Depth=1
	s_mov_b32 s6, s65
	s_andn2_b64 vcc, exec, s[52:53]
	s_cbranch_vccz .LBB107_29
	s_branch .LBB107_31
.LBB107_26:                             ;   in Loop: Header=BB107_9 Depth=1
                                        ; implicit-def: $vgpr8
	s_branch .LBB107_32
.LBB107_27:                             ;   in Loop: Header=BB107_9 Depth=1
	v_mov_b32_e32 v8, 0
	s_branch .LBB107_31
.LBB107_28:                             ;   in Loop: Header=BB107_9 Depth=1
	v_mov_b32_e32 v7, v14
	s_andn2_b64 vcc, exec, s[52:53]
	s_cbranch_vccnz .LBB107_31
.LBB107_29:                             ;   in Loop: Header=BB107_9 Depth=1
	s_lshl_b32 s4, s6, 2
	s_add_u32 s4, s40, s4
	s_addc_u32 s5, s41, 0
	s_mul_i32 s6, s6, 12
	s_add_u32 s6, s34, s6
	s_addc_u32 s7, s35, 0
	s_mov_b32 s16, s64
.LBB107_30:                             ;   Parent Loop BB107_9 Depth=1
                                        ; =>  This Inner Loop Header: Depth=2
	s_load_dwordx2 s[18:19], s[6:7], 0x4
	s_load_dword s17, s[6:7], 0xc
	s_load_dword s20, s[4:5], 0x0
	s_add_u32 s6, s6, 12
	s_addc_u32 s7, s7, 0
	s_waitcnt lgkmcnt(0)
	v_mul_hi_u32 v9, s19, v7
	v_add_u32_e32 v9, v7, v9
	v_lshrrev_b32_e32 v9, s17, v9
	s_add_u32 s4, s4, 4
	v_mul_lo_u32 v10, v9, s18
	s_addc_u32 s5, s5, 0
	s_add_i32 s16, s16, -1
	v_sub_u32_e32 v10, v7, v10
	s_cmp_lg_u32 s16, 0
	v_mov_b32_e32 v7, v9
	v_mad_u64_u32 v[8:9], s[18:19], v10, s20, v[8:9]
	s_cbranch_scc1 .LBB107_30
.LBB107_31:                             ;   in Loop: Header=BB107_9 Depth=1
	s_cbranch_execnz .LBB107_34
.LBB107_32:                             ;   in Loop: Header=BB107_9 Depth=1
	v_mul_hi_u32 v7, v14, s10
	v_add_u32_e32 v7, v7, v14
	v_lshrrev_b32_e32 v7, s11, v7
	v_mul_lo_u32 v8, v7, s9
	v_sub_u32_e32 v8, v14, v8
	s_andn2_b64 vcc, exec, s[42:43]
	s_waitcnt lgkmcnt(0)
	v_mul_lo_u32 v8, v8, s44
	s_cbranch_vccnz .LBB107_34
; %bb.33:                               ;   in Loop: Header=BB107_9 Depth=1
	v_mul_hi_u32 v9, s8, v7
	v_add_u32_e32 v9, v7, v9
	v_lshrrev_b32_e32 v9, s14, v9
	v_mul_lo_u32 v9, v9, s12
	v_sub_u32_e32 v7, v7, v9
	v_mad_u64_u32 v[8:9], s[4:5], v7, s45, v[8:9]
.LBB107_34:                             ;   in Loop: Header=BB107_9 Depth=1
	v_and_b32_e32 v0, 1, v0
	s_waitcnt lgkmcnt(0)
	global_store_byte v8, v0, s[46:47]
.LBB107_35:                             ;   in Loop: Header=BB107_9 Depth=1
	s_or_b64 exec, exec, s[2:3]
	v_mov_b32_e32 v0, s59
	v_add_co_u32_e32 v8, vcc, s33, v14
	v_addc_co_u32_e32 v9, vcc, v15, v0, vcc
	v_cmp_gt_i64_e32 vcc, s[24:25], v[8:9]
	s_and_saveexec_b64 s[2:3], vcc
	s_cbranch_execz .LBB107_51
; %bb.36:                               ;   in Loop: Header=BB107_9 Depth=1
	s_and_b64 vcc, exec, s[0:1]
	s_cbranch_vccnz .LBB107_42
; %bb.37:                               ;   in Loop: Header=BB107_9 Depth=1
	s_andn2_b64 vcc, exec, s[38:39]
	s_cbranch_vccnz .LBB107_43
; %bb.38:                               ;   in Loop: Header=BB107_9 Depth=1
	s_mov_b32 s6, 0
	s_andn2_b64 vcc, exec, s[48:49]
	v_mov_b32_e32 v10, 0
	s_cbranch_vccnz .LBB107_44
; %bb.39:                               ;   in Loop: Header=BB107_9 Depth=1
	s_mov_b32 s66, 0
	v_mov_b32_e32 v10, 0
	s_mov_b64 s[54:55], s[34:35]
	s_mov_b64 s[56:57], s[40:41]
	v_mov_b32_e32 v0, v8
.LBB107_40:                             ;   Parent Loop BB107_9 Depth=1
                                        ; =>  This Inner Loop Header: Depth=2
	s_load_dwordx8 s[16:23], s[54:55], 0x4
	s_load_dwordx4 s[4:7], s[54:55], 0x24
	s_load_dwordx4 s[28:31], s[56:57], 0x0
	s_add_u32 s54, s54, 48
	s_addc_u32 s55, s55, 0
	s_waitcnt lgkmcnt(0)
	v_mul_hi_u32 v7, s17, v0
	v_add_u32_e32 v7, v0, v7
	v_lshrrev_b32_e32 v7, s18, v7
	v_mul_lo_u32 v9, v7, s16
	v_mul_hi_u32 v11, s20, v7
	v_sub_u32_e32 v0, v0, v9
	v_add_u32_e32 v9, v7, v11
	v_lshrrev_b32_e32 v9, s21, v9
	v_mul_lo_u32 v11, v9, s19
	v_mul_hi_u32 v17, s23, v9
	v_sub_u32_e32 v7, v7, v11
	v_add_u32_e32 v11, v9, v17
	v_mul_lo_u32 v0, v0, s28
	v_mul_lo_u32 v7, v7, s29
	v_lshrrev_b32_e32 v11, s4, v11
	v_add3_u32 v7, v0, v10, v7
	v_mul_lo_u32 v0, v11, s22
	v_mul_hi_u32 v10, s6, v11
	v_sub_u32_e32 v0, v9, v0
	v_add_u32_e32 v9, v11, v10
	v_mul_lo_u32 v10, v0, s30
	v_lshrrev_b32_e32 v0, s7, v9
	s_add_i32 s66, s66, 4
	v_mul_lo_u32 v9, v0, s5
	s_add_u32 s56, s56, 16
	v_sub_u32_e32 v9, v11, v9
	s_addc_u32 s57, s57, 0
	v_mul_lo_u32 v9, v9, s31
	s_cmp_eq_u32 s65, s66
	v_add3_u32 v10, v10, v7, v9
	s_cbranch_scc0 .LBB107_40
; %bb.41:                               ;   in Loop: Header=BB107_9 Depth=1
	s_mov_b32 s6, s65
	s_andn2_b64 vcc, exec, s[52:53]
	s_cbranch_vccz .LBB107_45
	s_branch .LBB107_47
.LBB107_42:                             ;   in Loop: Header=BB107_9 Depth=1
                                        ; implicit-def: $vgpr10
	s_branch .LBB107_48
.LBB107_43:                             ;   in Loop: Header=BB107_9 Depth=1
	v_mov_b32_e32 v10, 0
	s_branch .LBB107_47
.LBB107_44:                             ;   in Loop: Header=BB107_9 Depth=1
	v_mov_b32_e32 v0, v8
	s_andn2_b64 vcc, exec, s[52:53]
	s_cbranch_vccnz .LBB107_47
.LBB107_45:                             ;   in Loop: Header=BB107_9 Depth=1
	s_lshl_b32 s4, s6, 2
	s_add_u32 s4, s40, s4
	s_addc_u32 s5, s41, 0
	s_mul_i32 s6, s6, 12
	s_add_u32 s6, s34, s6
	s_addc_u32 s7, s35, 0
	s_mov_b32 s16, s64
.LBB107_46:                             ;   Parent Loop BB107_9 Depth=1
                                        ; =>  This Inner Loop Header: Depth=2
	s_load_dwordx2 s[18:19], s[6:7], 0x4
	s_load_dword s17, s[6:7], 0xc
	s_load_dword s20, s[4:5], 0x0
	s_add_u32 s6, s6, 12
	s_addc_u32 s7, s7, 0
	s_waitcnt lgkmcnt(0)
	v_mul_hi_u32 v7, s19, v0
	v_add_u32_e32 v7, v0, v7
	v_lshrrev_b32_e32 v7, s17, v7
	s_add_u32 s4, s4, 4
	v_mul_lo_u32 v9, v7, s18
	s_addc_u32 s5, s5, 0
	s_add_i32 s16, s16, -1
	v_sub_u32_e32 v9, v0, v9
	s_cmp_lg_u32 s16, 0
	v_mov_b32_e32 v0, v7
	v_mad_u64_u32 v[10:11], s[18:19], v9, s20, v[10:11]
	s_cbranch_scc1 .LBB107_46
.LBB107_47:                             ;   in Loop: Header=BB107_9 Depth=1
	s_cbranch_execnz .LBB107_50
.LBB107_48:                             ;   in Loop: Header=BB107_9 Depth=1
	v_mul_hi_u32 v0, v8, s10
	v_add_u32_e32 v0, v0, v8
	v_lshrrev_b32_e32 v0, s11, v0
	v_mul_lo_u32 v7, v0, s9
	v_sub_u32_e32 v7, v8, v7
	s_andn2_b64 vcc, exec, s[42:43]
	s_waitcnt lgkmcnt(0)
	v_mul_lo_u32 v10, v7, s44
	s_cbranch_vccnz .LBB107_50
; %bb.49:                               ;   in Loop: Header=BB107_9 Depth=1
	v_mul_hi_u32 v7, s8, v0
	v_add_u32_e32 v7, v0, v7
	v_lshrrev_b32_e32 v7, s14, v7
	v_mul_lo_u32 v7, v7, s12
	v_sub_u32_e32 v0, v0, v7
	v_mad_u64_u32 v[10:11], s[4:5], v0, s45, v[10:11]
.LBB107_50:                             ;   in Loop: Header=BB107_9 Depth=1
	v_and_b32_e32 v0, 1, v1
	s_waitcnt lgkmcnt(0)
	global_store_byte v10, v0, s[46:47]
.LBB107_51:                             ;   in Loop: Header=BB107_9 Depth=1
	s_or_b64 exec, exec, s[2:3]
	v_mov_b32_e32 v1, s15
	v_add_co_u32_e32 v0, vcc, s13, v14
	v_addc_co_u32_e32 v1, vcc, v15, v1, vcc
	v_cmp_gt_i64_e32 vcc, s[24:25], v[0:1]
	s_and_saveexec_b64 s[2:3], vcc
	s_cbranch_execz .LBB107_67
; %bb.52:                               ;   in Loop: Header=BB107_9 Depth=1
	s_and_b64 vcc, exec, s[0:1]
	s_cbranch_vccnz .LBB107_58
; %bb.53:                               ;   in Loop: Header=BB107_9 Depth=1
	s_andn2_b64 vcc, exec, s[38:39]
	s_cbranch_vccnz .LBB107_59
; %bb.54:                               ;   in Loop: Header=BB107_9 Depth=1
	s_mov_b32 s6, 0
	s_andn2_b64 vcc, exec, s[48:49]
	v_mov_b32_e32 v8, 0
	s_cbranch_vccnz .LBB107_60
; %bb.55:                               ;   in Loop: Header=BB107_9 Depth=1
	s_mov_b32 s66, 0
	v_mov_b32_e32 v8, 0
	s_mov_b64 s[54:55], s[34:35]
	s_mov_b64 s[56:57], s[40:41]
	v_mov_b32_e32 v1, v0
.LBB107_56:                             ;   Parent Loop BB107_9 Depth=1
                                        ; =>  This Inner Loop Header: Depth=2
	s_load_dwordx8 s[16:23], s[54:55], 0x4
	s_load_dwordx4 s[4:7], s[54:55], 0x24
	s_load_dwordx4 s[28:31], s[56:57], 0x0
	s_add_u32 s54, s54, 48
	s_addc_u32 s55, s55, 0
	s_waitcnt lgkmcnt(0)
	v_mul_hi_u32 v7, s17, v1
	v_add_u32_e32 v7, v1, v7
	v_lshrrev_b32_e32 v7, s18, v7
	v_mul_lo_u32 v9, v7, s16
	v_mul_hi_u32 v10, s20, v7
	v_sub_u32_e32 v1, v1, v9
	v_add_u32_e32 v9, v7, v10
	v_lshrrev_b32_e32 v9, s21, v9
	v_mul_lo_u32 v10, v9, s19
	v_mul_hi_u32 v11, s23, v9
	v_sub_u32_e32 v7, v7, v10
	v_add_u32_e32 v10, v9, v11
	v_mul_lo_u32 v1, v1, s28
	v_mul_lo_u32 v7, v7, s29
	v_lshrrev_b32_e32 v10, s4, v10
	v_add3_u32 v7, v1, v8, v7
	v_mul_lo_u32 v1, v10, s22
	v_mul_hi_u32 v8, s6, v10
	v_sub_u32_e32 v1, v9, v1
	v_add_u32_e32 v8, v10, v8
	v_mul_lo_u32 v9, v1, s30
	v_lshrrev_b32_e32 v1, s7, v8
	s_add_i32 s66, s66, 4
	v_mul_lo_u32 v8, v1, s5
	s_add_u32 s56, s56, 16
	v_sub_u32_e32 v8, v10, v8
	s_addc_u32 s57, s57, 0
	v_mul_lo_u32 v8, v8, s31
	s_cmp_eq_u32 s65, s66
	v_add3_u32 v8, v9, v7, v8
	s_cbranch_scc0 .LBB107_56
; %bb.57:                               ;   in Loop: Header=BB107_9 Depth=1
	s_mov_b32 s6, s65
	s_andn2_b64 vcc, exec, s[52:53]
	s_cbranch_vccz .LBB107_61
	s_branch .LBB107_63
.LBB107_58:                             ;   in Loop: Header=BB107_9 Depth=1
                                        ; implicit-def: $vgpr8
	s_branch .LBB107_64
.LBB107_59:                             ;   in Loop: Header=BB107_9 Depth=1
	v_mov_b32_e32 v8, 0
	s_branch .LBB107_63
.LBB107_60:                             ;   in Loop: Header=BB107_9 Depth=1
	v_mov_b32_e32 v1, v0
	s_andn2_b64 vcc, exec, s[52:53]
	s_cbranch_vccnz .LBB107_63
.LBB107_61:                             ;   in Loop: Header=BB107_9 Depth=1
	s_lshl_b32 s4, s6, 2
	s_add_u32 s4, s40, s4
	s_addc_u32 s5, s41, 0
	s_mul_i32 s6, s6, 12
	s_add_u32 s6, s34, s6
	s_addc_u32 s7, s35, 0
	s_mov_b32 s16, s64
.LBB107_62:                             ;   Parent Loop BB107_9 Depth=1
                                        ; =>  This Inner Loop Header: Depth=2
	s_load_dwordx2 s[18:19], s[6:7], 0x4
	s_load_dword s17, s[6:7], 0xc
	s_load_dword s20, s[4:5], 0x0
	s_add_u32 s6, s6, 12
	s_addc_u32 s7, s7, 0
	s_waitcnt lgkmcnt(0)
	v_mul_hi_u32 v7, s19, v1
	v_add_u32_e32 v7, v1, v7
	v_lshrrev_b32_e32 v7, s17, v7
	s_add_u32 s4, s4, 4
	v_mul_lo_u32 v9, v7, s18
	s_addc_u32 s5, s5, 0
	s_add_i32 s16, s16, -1
	v_sub_u32_e32 v9, v1, v9
	s_cmp_lg_u32 s16, 0
	v_mov_b32_e32 v1, v7
	v_mad_u64_u32 v[8:9], s[18:19], v9, s20, v[8:9]
	s_cbranch_scc1 .LBB107_62
.LBB107_63:                             ;   in Loop: Header=BB107_9 Depth=1
	s_cbranch_execnz .LBB107_66
.LBB107_64:                             ;   in Loop: Header=BB107_9 Depth=1
	v_mul_hi_u32 v1, v0, s10
	v_add_u32_e32 v1, v1, v0
	v_lshrrev_b32_e32 v1, s11, v1
	v_mul_lo_u32 v7, v1, s9
	v_sub_u32_e32 v0, v0, v7
	s_andn2_b64 vcc, exec, s[42:43]
	s_waitcnt lgkmcnt(0)
	v_mul_lo_u32 v8, v0, s44
	s_cbranch_vccnz .LBB107_66
; %bb.65:                               ;   in Loop: Header=BB107_9 Depth=1
	v_mul_hi_u32 v0, s8, v1
	v_add_u32_e32 v0, v1, v0
	v_lshrrev_b32_e32 v0, s14, v0
	v_mul_lo_u32 v0, v0, s12
	v_sub_u32_e32 v0, v1, v0
	v_mad_u64_u32 v[8:9], s[4:5], v0, s45, v[8:9]
.LBB107_66:                             ;   in Loop: Header=BB107_9 Depth=1
	v_and_b32_e32 v0, 1, v2
	s_waitcnt lgkmcnt(0)
	global_store_byte v8, v0, s[46:47]
.LBB107_67:                             ;   in Loop: Header=BB107_9 Depth=1
	s_or_b64 exec, exec, s[2:3]
	v_mov_b32_e32 v1, s63
	v_add_co_u32_e32 v0, vcc, s62, v14
	v_addc_co_u32_e32 v1, vcc, v15, v1, vcc
	v_cmp_gt_i64_e32 vcc, s[24:25], v[0:1]
	s_and_saveexec_b64 s[28:29], vcc
	s_cbranch_execz .LBB107_8
; %bb.68:                               ;   in Loop: Header=BB107_9 Depth=1
	s_and_b64 vcc, exec, s[0:1]
	s_cbranch_vccnz .LBB107_74
; %bb.69:                               ;   in Loop: Header=BB107_9 Depth=1
	s_andn2_b64 vcc, exec, s[38:39]
	s_cbranch_vccnz .LBB107_75
; %bb.70:                               ;   in Loop: Header=BB107_9 Depth=1
	s_mov_b32 s2, 0
	s_andn2_b64 vcc, exec, s[48:49]
	v_mov_b32_e32 v8, 0
	s_cbranch_vccnz .LBB107_76
; %bb.71:                               ;   in Loop: Header=BB107_9 Depth=1
	s_mov_b32 s56, 0
	v_mov_b32_e32 v8, 0
	s_mov_b64 s[30:31], s[34:35]
	s_mov_b64 s[54:55], s[40:41]
	v_mov_b32_e32 v1, v0
.LBB107_72:                             ;   Parent Loop BB107_9 Depth=1
                                        ; =>  This Inner Loop Header: Depth=2
	s_load_dwordx8 s[0:7], s[30:31], 0x4
	s_load_dwordx4 s[16:19], s[30:31], 0x24
	s_load_dwordx4 s[20:23], s[54:55], 0x0
	s_add_u32 s30, s30, 48
	s_addc_u32 s31, s31, 0
	s_waitcnt lgkmcnt(0)
	v_mul_hi_u32 v2, s1, v1
	v_add_u32_e32 v2, v1, v2
	v_lshrrev_b32_e32 v2, s2, v2
	v_mul_lo_u32 v7, v2, s0
	v_mul_hi_u32 v9, s4, v2
	v_sub_u32_e32 v1, v1, v7
	v_add_u32_e32 v7, v2, v9
	v_lshrrev_b32_e32 v7, s5, v7
	v_mul_lo_u32 v9, v7, s3
	v_mul_hi_u32 v10, s7, v7
	v_sub_u32_e32 v2, v2, v9
	v_add_u32_e32 v9, v7, v10
	v_mul_lo_u32 v1, v1, s20
	v_mul_lo_u32 v2, v2, s21
	v_lshrrev_b32_e32 v9, s16, v9
	v_add3_u32 v2, v1, v8, v2
	v_mul_lo_u32 v1, v9, s6
	v_mul_hi_u32 v8, s18, v9
	v_sub_u32_e32 v1, v7, v1
	v_add_u32_e32 v7, v9, v8
	v_mul_lo_u32 v8, v1, s22
	v_lshrrev_b32_e32 v1, s19, v7
	s_add_i32 s56, s56, 4
	v_mul_lo_u32 v7, v1, s17
	s_add_u32 s54, s54, 16
	v_sub_u32_e32 v7, v9, v7
	s_addc_u32 s55, s55, 0
	v_mul_lo_u32 v7, v7, s23
	s_cmp_eq_u32 s65, s56
	v_add3_u32 v8, v8, v2, v7
	s_cbranch_scc0 .LBB107_72
; %bb.73:                               ;   in Loop: Header=BB107_9 Depth=1
	s_mov_b32 s2, s65
	s_andn2_b64 vcc, exec, s[52:53]
	s_cbranch_vccz .LBB107_77
	s_branch .LBB107_79
.LBB107_74:                             ;   in Loop: Header=BB107_9 Depth=1
                                        ; implicit-def: $vgpr8
	s_branch .LBB107_80
.LBB107_75:                             ;   in Loop: Header=BB107_9 Depth=1
	v_mov_b32_e32 v8, 0
	s_branch .LBB107_79
.LBB107_76:                             ;   in Loop: Header=BB107_9 Depth=1
	v_mov_b32_e32 v1, v0
	s_andn2_b64 vcc, exec, s[52:53]
	s_cbranch_vccnz .LBB107_79
.LBB107_77:                             ;   in Loop: Header=BB107_9 Depth=1
	s_lshl_b32 s0, s2, 2
	s_add_u32 s0, s40, s0
	s_addc_u32 s1, s41, 0
	s_mul_i32 s2, s2, 12
	s_add_u32 s2, s34, s2
	s_addc_u32 s3, s35, 0
	s_mov_b32 s4, s64
.LBB107_78:                             ;   Parent Loop BB107_9 Depth=1
                                        ; =>  This Inner Loop Header: Depth=2
	s_load_dwordx2 s[6:7], s[2:3], 0x4
	s_load_dword s5, s[2:3], 0xc
	s_load_dword s16, s[0:1], 0x0
	s_add_u32 s2, s2, 12
	s_addc_u32 s3, s3, 0
	s_waitcnt lgkmcnt(0)
	v_mul_hi_u32 v2, s7, v1
	v_add_u32_e32 v2, v1, v2
	v_lshrrev_b32_e32 v2, s5, v2
	s_add_u32 s0, s0, 4
	v_mul_lo_u32 v7, v2, s6
	s_addc_u32 s1, s1, 0
	s_add_i32 s4, s4, -1
	v_sub_u32_e32 v7, v1, v7
	s_cmp_lg_u32 s4, 0
	v_mov_b32_e32 v1, v2
	v_mad_u64_u32 v[8:9], s[6:7], v7, s16, v[8:9]
	s_cbranch_scc1 .LBB107_78
.LBB107_79:                             ;   in Loop: Header=BB107_9 Depth=1
	s_cbranch_execnz .LBB107_7
.LBB107_80:                             ;   in Loop: Header=BB107_9 Depth=1
	v_mul_hi_u32 v1, v0, s10
	v_add_u32_e32 v1, v1, v0
	v_lshrrev_b32_e32 v1, s11, v1
	v_mul_lo_u32 v2, v1, s9
	v_sub_u32_e32 v0, v0, v2
	s_andn2_b64 vcc, exec, s[42:43]
	s_waitcnt lgkmcnt(0)
	v_mul_lo_u32 v8, v0, s44
	s_cbranch_vccnz .LBB107_7
; %bb.81:                               ;   in Loop: Header=BB107_9 Depth=1
	v_mul_hi_u32 v0, s8, v1
	v_add_u32_e32 v0, v1, v0
	v_lshrrev_b32_e32 v0, s14, v0
	v_mul_lo_u32 v0, v0, s12
	v_sub_u32_e32 v0, v1, v0
	v_mad_u64_u32 v[8:9], s[0:1], v0, s45, v[8:9]
	s_branch .LBB107_7
.LBB107_82:
	s_endpgm
.LBB107_83:
                                        ; implicit-def: $sgpr2_sgpr3
	s_andn2_b64 vcc, exec, s[0:1]
	s_cbranch_vccz .LBB107_4
	s_branch .LBB107_5
	.section	.rodata,"a",@progbits
	.p2align	6, 0x0
	.amdhsa_kernel _ZN2at6native12_GLOBAL__N_143distribution_elementwise_grid_stride_kernelIjLi4EZZZNS0_9templates4cuda13random_kernelIPNS_17CUDAGeneratorImplEEEvRNS_18TensorIteratorBaseET_ENKUlvE_clEvENKUlvE8_clEvEUlP25hiprandStatePhilox4_32_10E0_ZNS1_27distribution_nullary_kernelIbj15HIP_vector_typeIjLj4EES7_SF_ZZZNS5_IS7_EEvS9_SA_ENKSB_clEvENKSC_clEvEUljE_EEvS9_T2_RKT3_T4_EUlijE0_EEvlNS_15PhiloxCudaStateET1_SK_
		.amdhsa_group_segment_fixed_size 0
		.amdhsa_private_segment_fixed_size 0
		.amdhsa_kernarg_size 584
		.amdhsa_user_sgpr_count 6
		.amdhsa_user_sgpr_private_segment_buffer 1
		.amdhsa_user_sgpr_dispatch_ptr 0
		.amdhsa_user_sgpr_queue_ptr 0
		.amdhsa_user_sgpr_kernarg_segment_ptr 1
		.amdhsa_user_sgpr_dispatch_id 0
		.amdhsa_user_sgpr_flat_scratch_init 0
		.amdhsa_user_sgpr_kernarg_preload_length 0
		.amdhsa_user_sgpr_kernarg_preload_offset 0
		.amdhsa_user_sgpr_private_segment_size 0
		.amdhsa_uses_dynamic_stack 0
		.amdhsa_system_sgpr_private_segment_wavefront_offset 0
		.amdhsa_system_sgpr_workgroup_id_x 1
		.amdhsa_system_sgpr_workgroup_id_y 0
		.amdhsa_system_sgpr_workgroup_id_z 0
		.amdhsa_system_sgpr_workgroup_info 0
		.amdhsa_system_vgpr_workitem_id 0
		.amdhsa_next_free_vgpr 41
		.amdhsa_next_free_sgpr 67
		.amdhsa_accum_offset 44
		.amdhsa_reserve_vcc 1
		.amdhsa_reserve_flat_scratch 0
		.amdhsa_float_round_mode_32 0
		.amdhsa_float_round_mode_16_64 0
		.amdhsa_float_denorm_mode_32 3
		.amdhsa_float_denorm_mode_16_64 3
		.amdhsa_dx10_clamp 1
		.amdhsa_ieee_mode 1
		.amdhsa_fp16_overflow 0
		.amdhsa_tg_split 0
		.amdhsa_exception_fp_ieee_invalid_op 0
		.amdhsa_exception_fp_denorm_src 0
		.amdhsa_exception_fp_ieee_div_zero 0
		.amdhsa_exception_fp_ieee_overflow 0
		.amdhsa_exception_fp_ieee_underflow 0
		.amdhsa_exception_fp_ieee_inexact 0
		.amdhsa_exception_int_div_zero 0
	.end_amdhsa_kernel
	.section	.text._ZN2at6native12_GLOBAL__N_143distribution_elementwise_grid_stride_kernelIjLi4EZZZNS0_9templates4cuda13random_kernelIPNS_17CUDAGeneratorImplEEEvRNS_18TensorIteratorBaseET_ENKUlvE_clEvENKUlvE8_clEvEUlP25hiprandStatePhilox4_32_10E0_ZNS1_27distribution_nullary_kernelIbj15HIP_vector_typeIjLj4EES7_SF_ZZZNS5_IS7_EEvS9_SA_ENKSB_clEvENKSC_clEvEUljE_EEvS9_T2_RKT3_T4_EUlijE0_EEvlNS_15PhiloxCudaStateET1_SK_,"axG",@progbits,_ZN2at6native12_GLOBAL__N_143distribution_elementwise_grid_stride_kernelIjLi4EZZZNS0_9templates4cuda13random_kernelIPNS_17CUDAGeneratorImplEEEvRNS_18TensorIteratorBaseET_ENKUlvE_clEvENKUlvE8_clEvEUlP25hiprandStatePhilox4_32_10E0_ZNS1_27distribution_nullary_kernelIbj15HIP_vector_typeIjLj4EES7_SF_ZZZNS5_IS7_EEvS9_SA_ENKSB_clEvENKSC_clEvEUljE_EEvS9_T2_RKT3_T4_EUlijE0_EEvlNS_15PhiloxCudaStateET1_SK_,comdat
.Lfunc_end107:
	.size	_ZN2at6native12_GLOBAL__N_143distribution_elementwise_grid_stride_kernelIjLi4EZZZNS0_9templates4cuda13random_kernelIPNS_17CUDAGeneratorImplEEEvRNS_18TensorIteratorBaseET_ENKUlvE_clEvENKUlvE8_clEvEUlP25hiprandStatePhilox4_32_10E0_ZNS1_27distribution_nullary_kernelIbj15HIP_vector_typeIjLj4EES7_SF_ZZZNS5_IS7_EEvS9_SA_ENKSB_clEvENKSC_clEvEUljE_EEvS9_T2_RKT3_T4_EUlijE0_EEvlNS_15PhiloxCudaStateET1_SK_, .Lfunc_end107-_ZN2at6native12_GLOBAL__N_143distribution_elementwise_grid_stride_kernelIjLi4EZZZNS0_9templates4cuda13random_kernelIPNS_17CUDAGeneratorImplEEEvRNS_18TensorIteratorBaseET_ENKUlvE_clEvENKUlvE8_clEvEUlP25hiprandStatePhilox4_32_10E0_ZNS1_27distribution_nullary_kernelIbj15HIP_vector_typeIjLj4EES7_SF_ZZZNS5_IS7_EEvS9_SA_ENKSB_clEvENKSC_clEvEUljE_EEvS9_T2_RKT3_T4_EUlijE0_EEvlNS_15PhiloxCudaStateET1_SK_
                                        ; -- End function
	.section	.AMDGPU.csdata,"",@progbits
; Kernel info:
; codeLenInByte = 4348
; NumSgprs: 71
; NumVgprs: 41
; NumAgprs: 0
; TotalNumVgprs: 41
; ScratchSize: 0
; MemoryBound: 0
; FloatMode: 240
; IeeeMode: 1
; LDSByteSize: 0 bytes/workgroup (compile time only)
; SGPRBlocks: 8
; VGPRBlocks: 5
; NumSGPRsForWavesPerEU: 71
; NumVGPRsForWavesPerEU: 41
; AccumOffset: 44
; Occupancy: 8
; WaveLimiterHint : 1
; COMPUTE_PGM_RSRC2:SCRATCH_EN: 0
; COMPUTE_PGM_RSRC2:USER_SGPR: 6
; COMPUTE_PGM_RSRC2:TRAP_HANDLER: 0
; COMPUTE_PGM_RSRC2:TGID_X_EN: 1
; COMPUTE_PGM_RSRC2:TGID_Y_EN: 0
; COMPUTE_PGM_RSRC2:TGID_Z_EN: 0
; COMPUTE_PGM_RSRC2:TIDIG_COMP_CNT: 0
; COMPUTE_PGM_RSRC3_GFX90A:ACCUM_OFFSET: 10
; COMPUTE_PGM_RSRC3_GFX90A:TG_SPLIT: 0
	.text
	.p2alignl 6, 3212836864
	.fill 256, 4, 3212836864
	.type	__hip_cuid_d8dd7088882904c1,@object ; @__hip_cuid_d8dd7088882904c1
	.section	.bss,"aw",@nobits
	.globl	__hip_cuid_d8dd7088882904c1
__hip_cuid_d8dd7088882904c1:
	.byte	0                               ; 0x0
	.size	__hip_cuid_d8dd7088882904c1, 1

	.ident	"AMD clang version 19.0.0git (https://github.com/RadeonOpenCompute/llvm-project roc-6.4.0 25133 c7fe45cf4b819c5991fe208aaa96edf142730f1d)"
	.section	".note.GNU-stack","",@progbits
	.addrsig
	.addrsig_sym __hip_cuid_d8dd7088882904c1
	.amdgpu_metadata
---
amdhsa.kernels:
  - .agpr_count:     0
    .args:
      - .offset:         0
        .size:           8
        .value_kind:     by_value
      - .offset:         8
        .size:           32
        .value_kind:     by_value
      - .offset:         40
        .size:           1
        .value_kind:     by_value
      - .offset:         48
        .size:           32
        .value_kind:     by_value
      - .offset:         80
        .size:           4
        .value_kind:     hidden_block_count_x
      - .offset:         84
        .size:           4
        .value_kind:     hidden_block_count_y
      - .offset:         88
        .size:           4
        .value_kind:     hidden_block_count_z
      - .offset:         92
        .size:           2
        .value_kind:     hidden_group_size_x
      - .offset:         94
        .size:           2
        .value_kind:     hidden_group_size_y
      - .offset:         96
        .size:           2
        .value_kind:     hidden_group_size_z
      - .offset:         98
        .size:           2
        .value_kind:     hidden_remainder_x
      - .offset:         100
        .size:           2
        .value_kind:     hidden_remainder_y
      - .offset:         102
        .size:           2
        .value_kind:     hidden_remainder_z
      - .offset:         120
        .size:           8
        .value_kind:     hidden_global_offset_x
      - .offset:         128
        .size:           8
        .value_kind:     hidden_global_offset_y
      - .offset:         136
        .size:           8
        .value_kind:     hidden_global_offset_z
      - .offset:         144
        .size:           2
        .value_kind:     hidden_grid_dims
    .group_segment_fixed_size: 0
    .kernarg_segment_align: 8
    .kernarg_segment_size: 336
    .language:       OpenCL C
    .language_version:
      - 2
      - 0
    .max_flat_workgroup_size: 256
    .name:           _ZN2at6native12_GLOBAL__N_143distribution_elementwise_grid_stride_kernelImLi2EZZZNS0_9templates4cuda21random_from_to_kernelIPNS_17CUDAGeneratorImplEEEvRNS_18TensorIteratorBaseEmlT_ENKUlvE_clEvENKUlvE_clEvEUlP25hiprandStatePhilox4_32_10E_ZNS1_27distribution_nullary_kernelIhm15HIP_vector_typeIyLj2EES7_SF_ZZZNS5_IS7_EEvS9_mlSA_ENKSB_clEvENKSC_clEvEUlmE_EEvS9_T2_RKT3_T4_EUlimE_EEvlNS_15PhiloxCudaStateET1_SK_
    .private_segment_fixed_size: 0
    .sgpr_count:     28
    .sgpr_spill_count: 0
    .symbol:         _ZN2at6native12_GLOBAL__N_143distribution_elementwise_grid_stride_kernelImLi2EZZZNS0_9templates4cuda21random_from_to_kernelIPNS_17CUDAGeneratorImplEEEvRNS_18TensorIteratorBaseEmlT_ENKUlvE_clEvENKUlvE_clEvEUlP25hiprandStatePhilox4_32_10E_ZNS1_27distribution_nullary_kernelIhm15HIP_vector_typeIyLj2EES7_SF_ZZZNS5_IS7_EEvS9_mlSA_ENKSB_clEvENKSC_clEvEUlmE_EEvS9_T2_RKT3_T4_EUlimE_EEvlNS_15PhiloxCudaStateET1_SK_.kd
    .uniform_work_group_size: 1
    .uses_dynamic_stack: false
    .vgpr_count:     48
    .vgpr_spill_count: 0
    .wavefront_size: 64
  - .agpr_count:     0
    .args:
      - .offset:         0
        .size:           8
        .value_kind:     by_value
      - .offset:         8
        .size:           32
        .value_kind:     by_value
      - .offset:         40
        .size:           1
        .value_kind:     by_value
      - .offset:         48
        .size:           288
        .value_kind:     by_value
      - .offset:         336
        .size:           4
        .value_kind:     hidden_block_count_x
      - .offset:         340
        .size:           4
        .value_kind:     hidden_block_count_y
      - .offset:         344
        .size:           4
        .value_kind:     hidden_block_count_z
      - .offset:         348
        .size:           2
        .value_kind:     hidden_group_size_x
      - .offset:         350
        .size:           2
        .value_kind:     hidden_group_size_y
      - .offset:         352
        .size:           2
        .value_kind:     hidden_group_size_z
      - .offset:         354
        .size:           2
        .value_kind:     hidden_remainder_x
      - .offset:         356
        .size:           2
        .value_kind:     hidden_remainder_y
      - .offset:         358
        .size:           2
        .value_kind:     hidden_remainder_z
      - .offset:         376
        .size:           8
        .value_kind:     hidden_global_offset_x
      - .offset:         384
        .size:           8
        .value_kind:     hidden_global_offset_y
      - .offset:         392
        .size:           8
        .value_kind:     hidden_global_offset_z
      - .offset:         400
        .size:           2
        .value_kind:     hidden_grid_dims
    .group_segment_fixed_size: 0
    .kernarg_segment_align: 8
    .kernarg_segment_size: 592
    .language:       OpenCL C
    .language_version:
      - 2
      - 0
    .max_flat_workgroup_size: 256
    .name:           _ZN2at6native12_GLOBAL__N_143distribution_elementwise_grid_stride_kernelImLi2EZZZNS0_9templates4cuda21random_from_to_kernelIPNS_17CUDAGeneratorImplEEEvRNS_18TensorIteratorBaseEmlT_ENKUlvE_clEvENKUlvE_clEvEUlP25hiprandStatePhilox4_32_10E_ZNS1_27distribution_nullary_kernelIhm15HIP_vector_typeIyLj2EES7_SF_ZZZNS5_IS7_EEvS9_mlSA_ENKSB_clEvENKSC_clEvEUlmE_EEvS9_T2_RKT3_T4_EUlimE0_EEvlNS_15PhiloxCudaStateET1_SK_
    .private_segment_fixed_size: 0
    .sgpr_count:     70
    .sgpr_spill_count: 0
    .symbol:         _ZN2at6native12_GLOBAL__N_143distribution_elementwise_grid_stride_kernelImLi2EZZZNS0_9templates4cuda21random_from_to_kernelIPNS_17CUDAGeneratorImplEEEvRNS_18TensorIteratorBaseEmlT_ENKUlvE_clEvENKUlvE_clEvEUlP25hiprandStatePhilox4_32_10E_ZNS1_27distribution_nullary_kernelIhm15HIP_vector_typeIyLj2EES7_SF_ZZZNS5_IS7_EEvS9_mlSA_ENKSB_clEvENKSC_clEvEUlmE_EEvS9_T2_RKT3_T4_EUlimE0_EEvlNS_15PhiloxCudaStateET1_SK_.kd
    .uniform_work_group_size: 1
    .uses_dynamic_stack: false
    .vgpr_count:     46
    .vgpr_spill_count: 0
    .wavefront_size: 64
  - .agpr_count:     0
    .args:
      - .offset:         0
        .size:           8
        .value_kind:     by_value
      - .offset:         8
        .size:           32
        .value_kind:     by_value
      - .offset:         40
        .size:           1
        .value_kind:     by_value
      - .offset:         48
        .size:           32
        .value_kind:     by_value
      - .offset:         80
        .size:           4
        .value_kind:     hidden_block_count_x
      - .offset:         84
        .size:           4
        .value_kind:     hidden_block_count_y
      - .offset:         88
        .size:           4
        .value_kind:     hidden_block_count_z
      - .offset:         92
        .size:           2
        .value_kind:     hidden_group_size_x
      - .offset:         94
        .size:           2
        .value_kind:     hidden_group_size_y
      - .offset:         96
        .size:           2
        .value_kind:     hidden_group_size_z
      - .offset:         98
        .size:           2
        .value_kind:     hidden_remainder_x
      - .offset:         100
        .size:           2
        .value_kind:     hidden_remainder_y
      - .offset:         102
        .size:           2
        .value_kind:     hidden_remainder_z
      - .offset:         120
        .size:           8
        .value_kind:     hidden_global_offset_x
      - .offset:         128
        .size:           8
        .value_kind:     hidden_global_offset_y
      - .offset:         136
        .size:           8
        .value_kind:     hidden_global_offset_z
      - .offset:         144
        .size:           2
        .value_kind:     hidden_grid_dims
    .group_segment_fixed_size: 0
    .kernarg_segment_align: 8
    .kernarg_segment_size: 336
    .language:       OpenCL C
    .language_version:
      - 2
      - 0
    .max_flat_workgroup_size: 256
    .name:           _ZN2at6native12_GLOBAL__N_143distribution_elementwise_grid_stride_kernelIjLi4EZZZNS0_9templates4cuda21random_from_to_kernelIPNS_17CUDAGeneratorImplEEEvRNS_18TensorIteratorBaseEmlT_ENKUlvE_clEvENKUlvE_clEvEUlP25hiprandStatePhilox4_32_10E0_ZNS1_27distribution_nullary_kernelIhj15HIP_vector_typeIjLj4EES7_SF_ZZZNS5_IS7_EEvS9_mlSA_ENKSB_clEvENKSC_clEvEUljE_EEvS9_T2_RKT3_T4_EUlijE_EEvlNS_15PhiloxCudaStateET1_SK_
    .private_segment_fixed_size: 0
    .sgpr_count:     31
    .sgpr_spill_count: 0
    .symbol:         _ZN2at6native12_GLOBAL__N_143distribution_elementwise_grid_stride_kernelIjLi4EZZZNS0_9templates4cuda21random_from_to_kernelIPNS_17CUDAGeneratorImplEEEvRNS_18TensorIteratorBaseEmlT_ENKUlvE_clEvENKUlvE_clEvEUlP25hiprandStatePhilox4_32_10E0_ZNS1_27distribution_nullary_kernelIhj15HIP_vector_typeIjLj4EES7_SF_ZZZNS5_IS7_EEvS9_mlSA_ENKSB_clEvENKSC_clEvEUljE_EEvS9_T2_RKT3_T4_EUlijE_EEvlNS_15PhiloxCudaStateET1_SK_.kd
    .uniform_work_group_size: 1
    .uses_dynamic_stack: false
    .vgpr_count:     47
    .vgpr_spill_count: 0
    .wavefront_size: 64
  - .agpr_count:     0
    .args:
      - .offset:         0
        .size:           8
        .value_kind:     by_value
      - .offset:         8
        .size:           32
        .value_kind:     by_value
      - .offset:         40
        .size:           1
        .value_kind:     by_value
      - .offset:         48
        .size:           288
        .value_kind:     by_value
      - .offset:         336
        .size:           4
        .value_kind:     hidden_block_count_x
      - .offset:         340
        .size:           4
        .value_kind:     hidden_block_count_y
      - .offset:         344
        .size:           4
        .value_kind:     hidden_block_count_z
      - .offset:         348
        .size:           2
        .value_kind:     hidden_group_size_x
      - .offset:         350
        .size:           2
        .value_kind:     hidden_group_size_y
      - .offset:         352
        .size:           2
        .value_kind:     hidden_group_size_z
      - .offset:         354
        .size:           2
        .value_kind:     hidden_remainder_x
      - .offset:         356
        .size:           2
        .value_kind:     hidden_remainder_y
      - .offset:         358
        .size:           2
        .value_kind:     hidden_remainder_z
      - .offset:         376
        .size:           8
        .value_kind:     hidden_global_offset_x
      - .offset:         384
        .size:           8
        .value_kind:     hidden_global_offset_y
      - .offset:         392
        .size:           8
        .value_kind:     hidden_global_offset_z
      - .offset:         400
        .size:           2
        .value_kind:     hidden_grid_dims
    .group_segment_fixed_size: 0
    .kernarg_segment_align: 8
    .kernarg_segment_size: 592
    .language:       OpenCL C
    .language_version:
      - 2
      - 0
    .max_flat_workgroup_size: 256
    .name:           _ZN2at6native12_GLOBAL__N_143distribution_elementwise_grid_stride_kernelIjLi4EZZZNS0_9templates4cuda21random_from_to_kernelIPNS_17CUDAGeneratorImplEEEvRNS_18TensorIteratorBaseEmlT_ENKUlvE_clEvENKUlvE_clEvEUlP25hiprandStatePhilox4_32_10E0_ZNS1_27distribution_nullary_kernelIhj15HIP_vector_typeIjLj4EES7_SF_ZZZNS5_IS7_EEvS9_mlSA_ENKSB_clEvENKSC_clEvEUljE_EEvS9_T2_RKT3_T4_EUlijE0_EEvlNS_15PhiloxCudaStateET1_SK_
    .private_segment_fixed_size: 0
    .sgpr_count:     74
    .sgpr_spill_count: 0
    .symbol:         _ZN2at6native12_GLOBAL__N_143distribution_elementwise_grid_stride_kernelIjLi4EZZZNS0_9templates4cuda21random_from_to_kernelIPNS_17CUDAGeneratorImplEEEvRNS_18TensorIteratorBaseEmlT_ENKUlvE_clEvENKUlvE_clEvEUlP25hiprandStatePhilox4_32_10E0_ZNS1_27distribution_nullary_kernelIhj15HIP_vector_typeIjLj4EES7_SF_ZZZNS5_IS7_EEvS9_mlSA_ENKSB_clEvENKSC_clEvEUljE_EEvS9_T2_RKT3_T4_EUlijE0_EEvlNS_15PhiloxCudaStateET1_SK_.kd
    .uniform_work_group_size: 1
    .uses_dynamic_stack: false
    .vgpr_count:     43
    .vgpr_spill_count: 0
    .wavefront_size: 64
  - .agpr_count:     0
    .args:
      - .offset:         0
        .size:           8
        .value_kind:     by_value
      - .offset:         8
        .size:           32
        .value_kind:     by_value
      - .offset:         40
        .size:           1
        .value_kind:     by_value
      - .offset:         48
        .size:           32
        .value_kind:     by_value
      - .offset:         80
        .size:           4
        .value_kind:     hidden_block_count_x
      - .offset:         84
        .size:           4
        .value_kind:     hidden_block_count_y
      - .offset:         88
        .size:           4
        .value_kind:     hidden_block_count_z
      - .offset:         92
        .size:           2
        .value_kind:     hidden_group_size_x
      - .offset:         94
        .size:           2
        .value_kind:     hidden_group_size_y
      - .offset:         96
        .size:           2
        .value_kind:     hidden_group_size_z
      - .offset:         98
        .size:           2
        .value_kind:     hidden_remainder_x
      - .offset:         100
        .size:           2
        .value_kind:     hidden_remainder_y
      - .offset:         102
        .size:           2
        .value_kind:     hidden_remainder_z
      - .offset:         120
        .size:           8
        .value_kind:     hidden_global_offset_x
      - .offset:         128
        .size:           8
        .value_kind:     hidden_global_offset_y
      - .offset:         136
        .size:           8
        .value_kind:     hidden_global_offset_z
      - .offset:         144
        .size:           2
        .value_kind:     hidden_grid_dims
    .group_segment_fixed_size: 0
    .kernarg_segment_align: 8
    .kernarg_segment_size: 336
    .language:       OpenCL C
    .language_version:
      - 2
      - 0
    .max_flat_workgroup_size: 256
    .name:           _ZN2at6native12_GLOBAL__N_143distribution_elementwise_grid_stride_kernelImLi2EZZZNS0_9templates4cuda21random_from_to_kernelIPNS_17CUDAGeneratorImplEEEvRNS_18TensorIteratorBaseEmlT_ENKUlvE_clEvENKUlvE0_clEvEUlP25hiprandStatePhilox4_32_10E_ZNS1_27distribution_nullary_kernelIam15HIP_vector_typeIyLj2EES7_SF_ZZZNS5_IS7_EEvS9_mlSA_ENKSB_clEvENKSC_clEvEUlmE_EEvS9_T2_RKT3_T4_EUlimE_EEvlNS_15PhiloxCudaStateET1_SK_
    .private_segment_fixed_size: 0
    .sgpr_count:     28
    .sgpr_spill_count: 0
    .symbol:         _ZN2at6native12_GLOBAL__N_143distribution_elementwise_grid_stride_kernelImLi2EZZZNS0_9templates4cuda21random_from_to_kernelIPNS_17CUDAGeneratorImplEEEvRNS_18TensorIteratorBaseEmlT_ENKUlvE_clEvENKUlvE0_clEvEUlP25hiprandStatePhilox4_32_10E_ZNS1_27distribution_nullary_kernelIam15HIP_vector_typeIyLj2EES7_SF_ZZZNS5_IS7_EEvS9_mlSA_ENKSB_clEvENKSC_clEvEUlmE_EEvS9_T2_RKT3_T4_EUlimE_EEvlNS_15PhiloxCudaStateET1_SK_.kd
    .uniform_work_group_size: 1
    .uses_dynamic_stack: false
    .vgpr_count:     48
    .vgpr_spill_count: 0
    .wavefront_size: 64
  - .agpr_count:     0
    .args:
      - .offset:         0
        .size:           8
        .value_kind:     by_value
      - .offset:         8
        .size:           32
        .value_kind:     by_value
      - .offset:         40
        .size:           1
        .value_kind:     by_value
      - .offset:         48
        .size:           288
        .value_kind:     by_value
      - .offset:         336
        .size:           4
        .value_kind:     hidden_block_count_x
      - .offset:         340
        .size:           4
        .value_kind:     hidden_block_count_y
      - .offset:         344
        .size:           4
        .value_kind:     hidden_block_count_z
      - .offset:         348
        .size:           2
        .value_kind:     hidden_group_size_x
      - .offset:         350
        .size:           2
        .value_kind:     hidden_group_size_y
      - .offset:         352
        .size:           2
        .value_kind:     hidden_group_size_z
      - .offset:         354
        .size:           2
        .value_kind:     hidden_remainder_x
      - .offset:         356
        .size:           2
        .value_kind:     hidden_remainder_y
      - .offset:         358
        .size:           2
        .value_kind:     hidden_remainder_z
      - .offset:         376
        .size:           8
        .value_kind:     hidden_global_offset_x
      - .offset:         384
        .size:           8
        .value_kind:     hidden_global_offset_y
      - .offset:         392
        .size:           8
        .value_kind:     hidden_global_offset_z
      - .offset:         400
        .size:           2
        .value_kind:     hidden_grid_dims
    .group_segment_fixed_size: 0
    .kernarg_segment_align: 8
    .kernarg_segment_size: 592
    .language:       OpenCL C
    .language_version:
      - 2
      - 0
    .max_flat_workgroup_size: 256
    .name:           _ZN2at6native12_GLOBAL__N_143distribution_elementwise_grid_stride_kernelImLi2EZZZNS0_9templates4cuda21random_from_to_kernelIPNS_17CUDAGeneratorImplEEEvRNS_18TensorIteratorBaseEmlT_ENKUlvE_clEvENKUlvE0_clEvEUlP25hiprandStatePhilox4_32_10E_ZNS1_27distribution_nullary_kernelIam15HIP_vector_typeIyLj2EES7_SF_ZZZNS5_IS7_EEvS9_mlSA_ENKSB_clEvENKSC_clEvEUlmE_EEvS9_T2_RKT3_T4_EUlimE0_EEvlNS_15PhiloxCudaStateET1_SK_
    .private_segment_fixed_size: 0
    .sgpr_count:     70
    .sgpr_spill_count: 0
    .symbol:         _ZN2at6native12_GLOBAL__N_143distribution_elementwise_grid_stride_kernelImLi2EZZZNS0_9templates4cuda21random_from_to_kernelIPNS_17CUDAGeneratorImplEEEvRNS_18TensorIteratorBaseEmlT_ENKUlvE_clEvENKUlvE0_clEvEUlP25hiprandStatePhilox4_32_10E_ZNS1_27distribution_nullary_kernelIam15HIP_vector_typeIyLj2EES7_SF_ZZZNS5_IS7_EEvS9_mlSA_ENKSB_clEvENKSC_clEvEUlmE_EEvS9_T2_RKT3_T4_EUlimE0_EEvlNS_15PhiloxCudaStateET1_SK_.kd
    .uniform_work_group_size: 1
    .uses_dynamic_stack: false
    .vgpr_count:     46
    .vgpr_spill_count: 0
    .wavefront_size: 64
  - .agpr_count:     0
    .args:
      - .offset:         0
        .size:           8
        .value_kind:     by_value
      - .offset:         8
        .size:           32
        .value_kind:     by_value
      - .offset:         40
        .size:           1
        .value_kind:     by_value
      - .offset:         48
        .size:           32
        .value_kind:     by_value
      - .offset:         80
        .size:           4
        .value_kind:     hidden_block_count_x
      - .offset:         84
        .size:           4
        .value_kind:     hidden_block_count_y
      - .offset:         88
        .size:           4
        .value_kind:     hidden_block_count_z
      - .offset:         92
        .size:           2
        .value_kind:     hidden_group_size_x
      - .offset:         94
        .size:           2
        .value_kind:     hidden_group_size_y
      - .offset:         96
        .size:           2
        .value_kind:     hidden_group_size_z
      - .offset:         98
        .size:           2
        .value_kind:     hidden_remainder_x
      - .offset:         100
        .size:           2
        .value_kind:     hidden_remainder_y
      - .offset:         102
        .size:           2
        .value_kind:     hidden_remainder_z
      - .offset:         120
        .size:           8
        .value_kind:     hidden_global_offset_x
      - .offset:         128
        .size:           8
        .value_kind:     hidden_global_offset_y
      - .offset:         136
        .size:           8
        .value_kind:     hidden_global_offset_z
      - .offset:         144
        .size:           2
        .value_kind:     hidden_grid_dims
    .group_segment_fixed_size: 0
    .kernarg_segment_align: 8
    .kernarg_segment_size: 336
    .language:       OpenCL C
    .language_version:
      - 2
      - 0
    .max_flat_workgroup_size: 256
    .name:           _ZN2at6native12_GLOBAL__N_143distribution_elementwise_grid_stride_kernelIjLi4EZZZNS0_9templates4cuda21random_from_to_kernelIPNS_17CUDAGeneratorImplEEEvRNS_18TensorIteratorBaseEmlT_ENKUlvE_clEvENKUlvE0_clEvEUlP25hiprandStatePhilox4_32_10E0_ZNS1_27distribution_nullary_kernelIaj15HIP_vector_typeIjLj4EES7_SF_ZZZNS5_IS7_EEvS9_mlSA_ENKSB_clEvENKSC_clEvEUljE_EEvS9_T2_RKT3_T4_EUlijE_EEvlNS_15PhiloxCudaStateET1_SK_
    .private_segment_fixed_size: 0
    .sgpr_count:     31
    .sgpr_spill_count: 0
    .symbol:         _ZN2at6native12_GLOBAL__N_143distribution_elementwise_grid_stride_kernelIjLi4EZZZNS0_9templates4cuda21random_from_to_kernelIPNS_17CUDAGeneratorImplEEEvRNS_18TensorIteratorBaseEmlT_ENKUlvE_clEvENKUlvE0_clEvEUlP25hiprandStatePhilox4_32_10E0_ZNS1_27distribution_nullary_kernelIaj15HIP_vector_typeIjLj4EES7_SF_ZZZNS5_IS7_EEvS9_mlSA_ENKSB_clEvENKSC_clEvEUljE_EEvS9_T2_RKT3_T4_EUlijE_EEvlNS_15PhiloxCudaStateET1_SK_.kd
    .uniform_work_group_size: 1
    .uses_dynamic_stack: false
    .vgpr_count:     47
    .vgpr_spill_count: 0
    .wavefront_size: 64
  - .agpr_count:     0
    .args:
      - .offset:         0
        .size:           8
        .value_kind:     by_value
      - .offset:         8
        .size:           32
        .value_kind:     by_value
      - .offset:         40
        .size:           1
        .value_kind:     by_value
      - .offset:         48
        .size:           288
        .value_kind:     by_value
      - .offset:         336
        .size:           4
        .value_kind:     hidden_block_count_x
      - .offset:         340
        .size:           4
        .value_kind:     hidden_block_count_y
      - .offset:         344
        .size:           4
        .value_kind:     hidden_block_count_z
      - .offset:         348
        .size:           2
        .value_kind:     hidden_group_size_x
      - .offset:         350
        .size:           2
        .value_kind:     hidden_group_size_y
      - .offset:         352
        .size:           2
        .value_kind:     hidden_group_size_z
      - .offset:         354
        .size:           2
        .value_kind:     hidden_remainder_x
      - .offset:         356
        .size:           2
        .value_kind:     hidden_remainder_y
      - .offset:         358
        .size:           2
        .value_kind:     hidden_remainder_z
      - .offset:         376
        .size:           8
        .value_kind:     hidden_global_offset_x
      - .offset:         384
        .size:           8
        .value_kind:     hidden_global_offset_y
      - .offset:         392
        .size:           8
        .value_kind:     hidden_global_offset_z
      - .offset:         400
        .size:           2
        .value_kind:     hidden_grid_dims
    .group_segment_fixed_size: 0
    .kernarg_segment_align: 8
    .kernarg_segment_size: 592
    .language:       OpenCL C
    .language_version:
      - 2
      - 0
    .max_flat_workgroup_size: 256
    .name:           _ZN2at6native12_GLOBAL__N_143distribution_elementwise_grid_stride_kernelIjLi4EZZZNS0_9templates4cuda21random_from_to_kernelIPNS_17CUDAGeneratorImplEEEvRNS_18TensorIteratorBaseEmlT_ENKUlvE_clEvENKUlvE0_clEvEUlP25hiprandStatePhilox4_32_10E0_ZNS1_27distribution_nullary_kernelIaj15HIP_vector_typeIjLj4EES7_SF_ZZZNS5_IS7_EEvS9_mlSA_ENKSB_clEvENKSC_clEvEUljE_EEvS9_T2_RKT3_T4_EUlijE0_EEvlNS_15PhiloxCudaStateET1_SK_
    .private_segment_fixed_size: 0
    .sgpr_count:     74
    .sgpr_spill_count: 0
    .symbol:         _ZN2at6native12_GLOBAL__N_143distribution_elementwise_grid_stride_kernelIjLi4EZZZNS0_9templates4cuda21random_from_to_kernelIPNS_17CUDAGeneratorImplEEEvRNS_18TensorIteratorBaseEmlT_ENKUlvE_clEvENKUlvE0_clEvEUlP25hiprandStatePhilox4_32_10E0_ZNS1_27distribution_nullary_kernelIaj15HIP_vector_typeIjLj4EES7_SF_ZZZNS5_IS7_EEvS9_mlSA_ENKSB_clEvENKSC_clEvEUljE_EEvS9_T2_RKT3_T4_EUlijE0_EEvlNS_15PhiloxCudaStateET1_SK_.kd
    .uniform_work_group_size: 1
    .uses_dynamic_stack: false
    .vgpr_count:     43
    .vgpr_spill_count: 0
    .wavefront_size: 64
  - .agpr_count:     0
    .args:
      - .offset:         0
        .size:           8
        .value_kind:     by_value
      - .offset:         8
        .size:           32
        .value_kind:     by_value
      - .offset:         40
        .size:           1
        .value_kind:     by_value
      - .offset:         48
        .size:           32
        .value_kind:     by_value
      - .offset:         80
        .size:           4
        .value_kind:     hidden_block_count_x
      - .offset:         84
        .size:           4
        .value_kind:     hidden_block_count_y
      - .offset:         88
        .size:           4
        .value_kind:     hidden_block_count_z
      - .offset:         92
        .size:           2
        .value_kind:     hidden_group_size_x
      - .offset:         94
        .size:           2
        .value_kind:     hidden_group_size_y
      - .offset:         96
        .size:           2
        .value_kind:     hidden_group_size_z
      - .offset:         98
        .size:           2
        .value_kind:     hidden_remainder_x
      - .offset:         100
        .size:           2
        .value_kind:     hidden_remainder_y
      - .offset:         102
        .size:           2
        .value_kind:     hidden_remainder_z
      - .offset:         120
        .size:           8
        .value_kind:     hidden_global_offset_x
      - .offset:         128
        .size:           8
        .value_kind:     hidden_global_offset_y
      - .offset:         136
        .size:           8
        .value_kind:     hidden_global_offset_z
      - .offset:         144
        .size:           2
        .value_kind:     hidden_grid_dims
    .group_segment_fixed_size: 0
    .kernarg_segment_align: 8
    .kernarg_segment_size: 336
    .language:       OpenCL C
    .language_version:
      - 2
      - 0
    .max_flat_workgroup_size: 256
    .name:           _ZN2at6native12_GLOBAL__N_143distribution_elementwise_grid_stride_kernelImLi2EZZZNS0_9templates4cuda21random_from_to_kernelIPNS_17CUDAGeneratorImplEEEvRNS_18TensorIteratorBaseEmlT_ENKUlvE_clEvENKUlvE1_clEvEUlP25hiprandStatePhilox4_32_10E_ZNS1_27distribution_nullary_kernelIim15HIP_vector_typeIyLj2EES7_SF_ZZZNS5_IS7_EEvS9_mlSA_ENKSB_clEvENKSC_clEvEUlmE_EEvS9_T2_RKT3_T4_EUlimE_EEvlNS_15PhiloxCudaStateET1_SK_
    .private_segment_fixed_size: 0
    .sgpr_count:     28
    .sgpr_spill_count: 0
    .symbol:         _ZN2at6native12_GLOBAL__N_143distribution_elementwise_grid_stride_kernelImLi2EZZZNS0_9templates4cuda21random_from_to_kernelIPNS_17CUDAGeneratorImplEEEvRNS_18TensorIteratorBaseEmlT_ENKUlvE_clEvENKUlvE1_clEvEUlP25hiprandStatePhilox4_32_10E_ZNS1_27distribution_nullary_kernelIim15HIP_vector_typeIyLj2EES7_SF_ZZZNS5_IS7_EEvS9_mlSA_ENKSB_clEvENKSC_clEvEUlmE_EEvS9_T2_RKT3_T4_EUlimE_EEvlNS_15PhiloxCudaStateET1_SK_.kd
    .uniform_work_group_size: 1
    .uses_dynamic_stack: false
    .vgpr_count:     48
    .vgpr_spill_count: 0
    .wavefront_size: 64
  - .agpr_count:     0
    .args:
      - .offset:         0
        .size:           8
        .value_kind:     by_value
      - .offset:         8
        .size:           32
        .value_kind:     by_value
      - .offset:         40
        .size:           1
        .value_kind:     by_value
      - .offset:         48
        .size:           288
        .value_kind:     by_value
      - .offset:         336
        .size:           4
        .value_kind:     hidden_block_count_x
      - .offset:         340
        .size:           4
        .value_kind:     hidden_block_count_y
      - .offset:         344
        .size:           4
        .value_kind:     hidden_block_count_z
      - .offset:         348
        .size:           2
        .value_kind:     hidden_group_size_x
      - .offset:         350
        .size:           2
        .value_kind:     hidden_group_size_y
      - .offset:         352
        .size:           2
        .value_kind:     hidden_group_size_z
      - .offset:         354
        .size:           2
        .value_kind:     hidden_remainder_x
      - .offset:         356
        .size:           2
        .value_kind:     hidden_remainder_y
      - .offset:         358
        .size:           2
        .value_kind:     hidden_remainder_z
      - .offset:         376
        .size:           8
        .value_kind:     hidden_global_offset_x
      - .offset:         384
        .size:           8
        .value_kind:     hidden_global_offset_y
      - .offset:         392
        .size:           8
        .value_kind:     hidden_global_offset_z
      - .offset:         400
        .size:           2
        .value_kind:     hidden_grid_dims
    .group_segment_fixed_size: 0
    .kernarg_segment_align: 8
    .kernarg_segment_size: 592
    .language:       OpenCL C
    .language_version:
      - 2
      - 0
    .max_flat_workgroup_size: 256
    .name:           _ZN2at6native12_GLOBAL__N_143distribution_elementwise_grid_stride_kernelImLi2EZZZNS0_9templates4cuda21random_from_to_kernelIPNS_17CUDAGeneratorImplEEEvRNS_18TensorIteratorBaseEmlT_ENKUlvE_clEvENKUlvE1_clEvEUlP25hiprandStatePhilox4_32_10E_ZNS1_27distribution_nullary_kernelIim15HIP_vector_typeIyLj2EES7_SF_ZZZNS5_IS7_EEvS9_mlSA_ENKSB_clEvENKSC_clEvEUlmE_EEvS9_T2_RKT3_T4_EUlimE0_EEvlNS_15PhiloxCudaStateET1_SK_
    .private_segment_fixed_size: 0
    .sgpr_count:     70
    .sgpr_spill_count: 0
    .symbol:         _ZN2at6native12_GLOBAL__N_143distribution_elementwise_grid_stride_kernelImLi2EZZZNS0_9templates4cuda21random_from_to_kernelIPNS_17CUDAGeneratorImplEEEvRNS_18TensorIteratorBaseEmlT_ENKUlvE_clEvENKUlvE1_clEvEUlP25hiprandStatePhilox4_32_10E_ZNS1_27distribution_nullary_kernelIim15HIP_vector_typeIyLj2EES7_SF_ZZZNS5_IS7_EEvS9_mlSA_ENKSB_clEvENKSC_clEvEUlmE_EEvS9_T2_RKT3_T4_EUlimE0_EEvlNS_15PhiloxCudaStateET1_SK_.kd
    .uniform_work_group_size: 1
    .uses_dynamic_stack: false
    .vgpr_count:     46
    .vgpr_spill_count: 0
    .wavefront_size: 64
  - .agpr_count:     0
    .args:
      - .offset:         0
        .size:           8
        .value_kind:     by_value
      - .offset:         8
        .size:           32
        .value_kind:     by_value
      - .offset:         40
        .size:           1
        .value_kind:     by_value
      - .offset:         48
        .size:           32
        .value_kind:     by_value
      - .offset:         80
        .size:           4
        .value_kind:     hidden_block_count_x
      - .offset:         84
        .size:           4
        .value_kind:     hidden_block_count_y
      - .offset:         88
        .size:           4
        .value_kind:     hidden_block_count_z
      - .offset:         92
        .size:           2
        .value_kind:     hidden_group_size_x
      - .offset:         94
        .size:           2
        .value_kind:     hidden_group_size_y
      - .offset:         96
        .size:           2
        .value_kind:     hidden_group_size_z
      - .offset:         98
        .size:           2
        .value_kind:     hidden_remainder_x
      - .offset:         100
        .size:           2
        .value_kind:     hidden_remainder_y
      - .offset:         102
        .size:           2
        .value_kind:     hidden_remainder_z
      - .offset:         120
        .size:           8
        .value_kind:     hidden_global_offset_x
      - .offset:         128
        .size:           8
        .value_kind:     hidden_global_offset_y
      - .offset:         136
        .size:           8
        .value_kind:     hidden_global_offset_z
      - .offset:         144
        .size:           2
        .value_kind:     hidden_grid_dims
    .group_segment_fixed_size: 0
    .kernarg_segment_align: 8
    .kernarg_segment_size: 336
    .language:       OpenCL C
    .language_version:
      - 2
      - 0
    .max_flat_workgroup_size: 256
    .name:           _ZN2at6native12_GLOBAL__N_143distribution_elementwise_grid_stride_kernelIjLi4EZZZNS0_9templates4cuda21random_from_to_kernelIPNS_17CUDAGeneratorImplEEEvRNS_18TensorIteratorBaseEmlT_ENKUlvE_clEvENKUlvE1_clEvEUlP25hiprandStatePhilox4_32_10E0_ZNS1_27distribution_nullary_kernelIij15HIP_vector_typeIjLj4EES7_SF_ZZZNS5_IS7_EEvS9_mlSA_ENKSB_clEvENKSC_clEvEUljE_EEvS9_T2_RKT3_T4_EUlijE_EEvlNS_15PhiloxCudaStateET1_SK_
    .private_segment_fixed_size: 0
    .sgpr_count:     31
    .sgpr_spill_count: 0
    .symbol:         _ZN2at6native12_GLOBAL__N_143distribution_elementwise_grid_stride_kernelIjLi4EZZZNS0_9templates4cuda21random_from_to_kernelIPNS_17CUDAGeneratorImplEEEvRNS_18TensorIteratorBaseEmlT_ENKUlvE_clEvENKUlvE1_clEvEUlP25hiprandStatePhilox4_32_10E0_ZNS1_27distribution_nullary_kernelIij15HIP_vector_typeIjLj4EES7_SF_ZZZNS5_IS7_EEvS9_mlSA_ENKSB_clEvENKSC_clEvEUljE_EEvS9_T2_RKT3_T4_EUlijE_EEvlNS_15PhiloxCudaStateET1_SK_.kd
    .uniform_work_group_size: 1
    .uses_dynamic_stack: false
    .vgpr_count:     47
    .vgpr_spill_count: 0
    .wavefront_size: 64
  - .agpr_count:     0
    .args:
      - .offset:         0
        .size:           8
        .value_kind:     by_value
      - .offset:         8
        .size:           32
        .value_kind:     by_value
      - .offset:         40
        .size:           1
        .value_kind:     by_value
      - .offset:         48
        .size:           288
        .value_kind:     by_value
      - .offset:         336
        .size:           4
        .value_kind:     hidden_block_count_x
      - .offset:         340
        .size:           4
        .value_kind:     hidden_block_count_y
      - .offset:         344
        .size:           4
        .value_kind:     hidden_block_count_z
      - .offset:         348
        .size:           2
        .value_kind:     hidden_group_size_x
      - .offset:         350
        .size:           2
        .value_kind:     hidden_group_size_y
      - .offset:         352
        .size:           2
        .value_kind:     hidden_group_size_z
      - .offset:         354
        .size:           2
        .value_kind:     hidden_remainder_x
      - .offset:         356
        .size:           2
        .value_kind:     hidden_remainder_y
      - .offset:         358
        .size:           2
        .value_kind:     hidden_remainder_z
      - .offset:         376
        .size:           8
        .value_kind:     hidden_global_offset_x
      - .offset:         384
        .size:           8
        .value_kind:     hidden_global_offset_y
      - .offset:         392
        .size:           8
        .value_kind:     hidden_global_offset_z
      - .offset:         400
        .size:           2
        .value_kind:     hidden_grid_dims
    .group_segment_fixed_size: 0
    .kernarg_segment_align: 8
    .kernarg_segment_size: 592
    .language:       OpenCL C
    .language_version:
      - 2
      - 0
    .max_flat_workgroup_size: 256
    .name:           _ZN2at6native12_GLOBAL__N_143distribution_elementwise_grid_stride_kernelIjLi4EZZZNS0_9templates4cuda21random_from_to_kernelIPNS_17CUDAGeneratorImplEEEvRNS_18TensorIteratorBaseEmlT_ENKUlvE_clEvENKUlvE1_clEvEUlP25hiprandStatePhilox4_32_10E0_ZNS1_27distribution_nullary_kernelIij15HIP_vector_typeIjLj4EES7_SF_ZZZNS5_IS7_EEvS9_mlSA_ENKSB_clEvENKSC_clEvEUljE_EEvS9_T2_RKT3_T4_EUlijE0_EEvlNS_15PhiloxCudaStateET1_SK_
    .private_segment_fixed_size: 0
    .sgpr_count:     74
    .sgpr_spill_count: 0
    .symbol:         _ZN2at6native12_GLOBAL__N_143distribution_elementwise_grid_stride_kernelIjLi4EZZZNS0_9templates4cuda21random_from_to_kernelIPNS_17CUDAGeneratorImplEEEvRNS_18TensorIteratorBaseEmlT_ENKUlvE_clEvENKUlvE1_clEvEUlP25hiprandStatePhilox4_32_10E0_ZNS1_27distribution_nullary_kernelIij15HIP_vector_typeIjLj4EES7_SF_ZZZNS5_IS7_EEvS9_mlSA_ENKSB_clEvENKSC_clEvEUljE_EEvS9_T2_RKT3_T4_EUlijE0_EEvlNS_15PhiloxCudaStateET1_SK_.kd
    .uniform_work_group_size: 1
    .uses_dynamic_stack: false
    .vgpr_count:     43
    .vgpr_spill_count: 0
    .wavefront_size: 64
  - .agpr_count:     0
    .args:
      - .offset:         0
        .size:           8
        .value_kind:     by_value
      - .offset:         8
        .size:           32
        .value_kind:     by_value
      - .offset:         40
        .size:           1
        .value_kind:     by_value
      - .offset:         48
        .size:           32
        .value_kind:     by_value
      - .offset:         80
        .size:           4
        .value_kind:     hidden_block_count_x
      - .offset:         84
        .size:           4
        .value_kind:     hidden_block_count_y
      - .offset:         88
        .size:           4
        .value_kind:     hidden_block_count_z
      - .offset:         92
        .size:           2
        .value_kind:     hidden_group_size_x
      - .offset:         94
        .size:           2
        .value_kind:     hidden_group_size_y
      - .offset:         96
        .size:           2
        .value_kind:     hidden_group_size_z
      - .offset:         98
        .size:           2
        .value_kind:     hidden_remainder_x
      - .offset:         100
        .size:           2
        .value_kind:     hidden_remainder_y
      - .offset:         102
        .size:           2
        .value_kind:     hidden_remainder_z
      - .offset:         120
        .size:           8
        .value_kind:     hidden_global_offset_x
      - .offset:         128
        .size:           8
        .value_kind:     hidden_global_offset_y
      - .offset:         136
        .size:           8
        .value_kind:     hidden_global_offset_z
      - .offset:         144
        .size:           2
        .value_kind:     hidden_grid_dims
    .group_segment_fixed_size: 0
    .kernarg_segment_align: 8
    .kernarg_segment_size: 336
    .language:       OpenCL C
    .language_version:
      - 2
      - 0
    .max_flat_workgroup_size: 256
    .name:           _ZN2at6native12_GLOBAL__N_143distribution_elementwise_grid_stride_kernelImLi2EZZZNS0_9templates4cuda21random_from_to_kernelIPNS_17CUDAGeneratorImplEEEvRNS_18TensorIteratorBaseEmlT_ENKUlvE_clEvENKUlvE2_clEvEUlP25hiprandStatePhilox4_32_10E_ZNS1_27distribution_nullary_kernelIlm15HIP_vector_typeIyLj2EES7_SF_ZZZNS5_IS7_EEvS9_mlSA_ENKSB_clEvENKSC_clEvEUlmE_EEvS9_T2_RKT3_T4_EUlimE_EEvlNS_15PhiloxCudaStateET1_SK_
    .private_segment_fixed_size: 0
    .sgpr_count:     31
    .sgpr_spill_count: 0
    .symbol:         _ZN2at6native12_GLOBAL__N_143distribution_elementwise_grid_stride_kernelImLi2EZZZNS0_9templates4cuda21random_from_to_kernelIPNS_17CUDAGeneratorImplEEEvRNS_18TensorIteratorBaseEmlT_ENKUlvE_clEvENKUlvE2_clEvEUlP25hiprandStatePhilox4_32_10E_ZNS1_27distribution_nullary_kernelIlm15HIP_vector_typeIyLj2EES7_SF_ZZZNS5_IS7_EEvS9_mlSA_ENKSB_clEvENKSC_clEvEUlmE_EEvS9_T2_RKT3_T4_EUlimE_EEvlNS_15PhiloxCudaStateET1_SK_.kd
    .uniform_work_group_size: 1
    .uses_dynamic_stack: false
    .vgpr_count:     48
    .vgpr_spill_count: 0
    .wavefront_size: 64
  - .agpr_count:     0
    .args:
      - .offset:         0
        .size:           8
        .value_kind:     by_value
      - .offset:         8
        .size:           32
        .value_kind:     by_value
      - .offset:         40
        .size:           1
        .value_kind:     by_value
      - .offset:         48
        .size:           288
        .value_kind:     by_value
      - .offset:         336
        .size:           4
        .value_kind:     hidden_block_count_x
      - .offset:         340
        .size:           4
        .value_kind:     hidden_block_count_y
      - .offset:         344
        .size:           4
        .value_kind:     hidden_block_count_z
      - .offset:         348
        .size:           2
        .value_kind:     hidden_group_size_x
      - .offset:         350
        .size:           2
        .value_kind:     hidden_group_size_y
      - .offset:         352
        .size:           2
        .value_kind:     hidden_group_size_z
      - .offset:         354
        .size:           2
        .value_kind:     hidden_remainder_x
      - .offset:         356
        .size:           2
        .value_kind:     hidden_remainder_y
      - .offset:         358
        .size:           2
        .value_kind:     hidden_remainder_z
      - .offset:         376
        .size:           8
        .value_kind:     hidden_global_offset_x
      - .offset:         384
        .size:           8
        .value_kind:     hidden_global_offset_y
      - .offset:         392
        .size:           8
        .value_kind:     hidden_global_offset_z
      - .offset:         400
        .size:           2
        .value_kind:     hidden_grid_dims
    .group_segment_fixed_size: 0
    .kernarg_segment_align: 8
    .kernarg_segment_size: 592
    .language:       OpenCL C
    .language_version:
      - 2
      - 0
    .max_flat_workgroup_size: 256
    .name:           _ZN2at6native12_GLOBAL__N_143distribution_elementwise_grid_stride_kernelImLi2EZZZNS0_9templates4cuda21random_from_to_kernelIPNS_17CUDAGeneratorImplEEEvRNS_18TensorIteratorBaseEmlT_ENKUlvE_clEvENKUlvE2_clEvEUlP25hiprandStatePhilox4_32_10E_ZNS1_27distribution_nullary_kernelIlm15HIP_vector_typeIyLj2EES7_SF_ZZZNS5_IS7_EEvS9_mlSA_ENKSB_clEvENKSC_clEvEUlmE_EEvS9_T2_RKT3_T4_EUlimE0_EEvlNS_15PhiloxCudaStateET1_SK_
    .private_segment_fixed_size: 0
    .sgpr_count:     71
    .sgpr_spill_count: 0
    .symbol:         _ZN2at6native12_GLOBAL__N_143distribution_elementwise_grid_stride_kernelImLi2EZZZNS0_9templates4cuda21random_from_to_kernelIPNS_17CUDAGeneratorImplEEEvRNS_18TensorIteratorBaseEmlT_ENKUlvE_clEvENKUlvE2_clEvEUlP25hiprandStatePhilox4_32_10E_ZNS1_27distribution_nullary_kernelIlm15HIP_vector_typeIyLj2EES7_SF_ZZZNS5_IS7_EEvS9_mlSA_ENKSB_clEvENKSC_clEvEUlmE_EEvS9_T2_RKT3_T4_EUlimE0_EEvlNS_15PhiloxCudaStateET1_SK_.kd
    .uniform_work_group_size: 1
    .uses_dynamic_stack: false
    .vgpr_count:     46
    .vgpr_spill_count: 0
    .wavefront_size: 64
  - .agpr_count:     0
    .args:
      - .offset:         0
        .size:           8
        .value_kind:     by_value
      - .offset:         8
        .size:           32
        .value_kind:     by_value
      - .offset:         40
        .size:           1
        .value_kind:     by_value
      - .offset:         48
        .size:           32
        .value_kind:     by_value
      - .offset:         80
        .size:           4
        .value_kind:     hidden_block_count_x
      - .offset:         84
        .size:           4
        .value_kind:     hidden_block_count_y
      - .offset:         88
        .size:           4
        .value_kind:     hidden_block_count_z
      - .offset:         92
        .size:           2
        .value_kind:     hidden_group_size_x
      - .offset:         94
        .size:           2
        .value_kind:     hidden_group_size_y
      - .offset:         96
        .size:           2
        .value_kind:     hidden_group_size_z
      - .offset:         98
        .size:           2
        .value_kind:     hidden_remainder_x
      - .offset:         100
        .size:           2
        .value_kind:     hidden_remainder_y
      - .offset:         102
        .size:           2
        .value_kind:     hidden_remainder_z
      - .offset:         120
        .size:           8
        .value_kind:     hidden_global_offset_x
      - .offset:         128
        .size:           8
        .value_kind:     hidden_global_offset_y
      - .offset:         136
        .size:           8
        .value_kind:     hidden_global_offset_z
      - .offset:         144
        .size:           2
        .value_kind:     hidden_grid_dims
    .group_segment_fixed_size: 0
    .kernarg_segment_align: 8
    .kernarg_segment_size: 336
    .language:       OpenCL C
    .language_version:
      - 2
      - 0
    .max_flat_workgroup_size: 256
    .name:           _ZN2at6native12_GLOBAL__N_143distribution_elementwise_grid_stride_kernelIjLi4EZZZNS0_9templates4cuda21random_from_to_kernelIPNS_17CUDAGeneratorImplEEEvRNS_18TensorIteratorBaseEmlT_ENKUlvE_clEvENKUlvE2_clEvEUlP25hiprandStatePhilox4_32_10E0_ZNS1_27distribution_nullary_kernelIlj15HIP_vector_typeIjLj4EES7_SF_ZZZNS5_IS7_EEvS9_mlSA_ENKSB_clEvENKSC_clEvEUljE_EEvS9_T2_RKT3_T4_EUlijE_EEvlNS_15PhiloxCudaStateET1_SK_
    .private_segment_fixed_size: 0
    .sgpr_count:     32
    .sgpr_spill_count: 0
    .symbol:         _ZN2at6native12_GLOBAL__N_143distribution_elementwise_grid_stride_kernelIjLi4EZZZNS0_9templates4cuda21random_from_to_kernelIPNS_17CUDAGeneratorImplEEEvRNS_18TensorIteratorBaseEmlT_ENKUlvE_clEvENKUlvE2_clEvEUlP25hiprandStatePhilox4_32_10E0_ZNS1_27distribution_nullary_kernelIlj15HIP_vector_typeIjLj4EES7_SF_ZZZNS5_IS7_EEvS9_mlSA_ENKSB_clEvENKSC_clEvEUljE_EEvS9_T2_RKT3_T4_EUlijE_EEvlNS_15PhiloxCudaStateET1_SK_.kd
    .uniform_work_group_size: 1
    .uses_dynamic_stack: false
    .vgpr_count:     47
    .vgpr_spill_count: 0
    .wavefront_size: 64
  - .agpr_count:     0
    .args:
      - .offset:         0
        .size:           8
        .value_kind:     by_value
      - .offset:         8
        .size:           32
        .value_kind:     by_value
      - .offset:         40
        .size:           1
        .value_kind:     by_value
      - .offset:         48
        .size:           288
        .value_kind:     by_value
      - .offset:         336
        .size:           4
        .value_kind:     hidden_block_count_x
      - .offset:         340
        .size:           4
        .value_kind:     hidden_block_count_y
      - .offset:         344
        .size:           4
        .value_kind:     hidden_block_count_z
      - .offset:         348
        .size:           2
        .value_kind:     hidden_group_size_x
      - .offset:         350
        .size:           2
        .value_kind:     hidden_group_size_y
      - .offset:         352
        .size:           2
        .value_kind:     hidden_group_size_z
      - .offset:         354
        .size:           2
        .value_kind:     hidden_remainder_x
      - .offset:         356
        .size:           2
        .value_kind:     hidden_remainder_y
      - .offset:         358
        .size:           2
        .value_kind:     hidden_remainder_z
      - .offset:         376
        .size:           8
        .value_kind:     hidden_global_offset_x
      - .offset:         384
        .size:           8
        .value_kind:     hidden_global_offset_y
      - .offset:         392
        .size:           8
        .value_kind:     hidden_global_offset_z
      - .offset:         400
        .size:           2
        .value_kind:     hidden_grid_dims
    .group_segment_fixed_size: 0
    .kernarg_segment_align: 8
    .kernarg_segment_size: 592
    .language:       OpenCL C
    .language_version:
      - 2
      - 0
    .max_flat_workgroup_size: 256
    .name:           _ZN2at6native12_GLOBAL__N_143distribution_elementwise_grid_stride_kernelIjLi4EZZZNS0_9templates4cuda21random_from_to_kernelIPNS_17CUDAGeneratorImplEEEvRNS_18TensorIteratorBaseEmlT_ENKUlvE_clEvENKUlvE2_clEvEUlP25hiprandStatePhilox4_32_10E0_ZNS1_27distribution_nullary_kernelIlj15HIP_vector_typeIjLj4EES7_SF_ZZZNS5_IS7_EEvS9_mlSA_ENKSB_clEvENKSC_clEvEUljE_EEvS9_T2_RKT3_T4_EUlijE0_EEvlNS_15PhiloxCudaStateET1_SK_
    .private_segment_fixed_size: 0
    .sgpr_count:     75
    .sgpr_spill_count: 0
    .symbol:         _ZN2at6native12_GLOBAL__N_143distribution_elementwise_grid_stride_kernelIjLi4EZZZNS0_9templates4cuda21random_from_to_kernelIPNS_17CUDAGeneratorImplEEEvRNS_18TensorIteratorBaseEmlT_ENKUlvE_clEvENKUlvE2_clEvEUlP25hiprandStatePhilox4_32_10E0_ZNS1_27distribution_nullary_kernelIlj15HIP_vector_typeIjLj4EES7_SF_ZZZNS5_IS7_EEvS9_mlSA_ENKSB_clEvENKSC_clEvEUljE_EEvS9_T2_RKT3_T4_EUlijE0_EEvlNS_15PhiloxCudaStateET1_SK_.kd
    .uniform_work_group_size: 1
    .uses_dynamic_stack: false
    .vgpr_count:     43
    .vgpr_spill_count: 0
    .wavefront_size: 64
  - .agpr_count:     0
    .args:
      - .offset:         0
        .size:           8
        .value_kind:     by_value
      - .offset:         8
        .size:           32
        .value_kind:     by_value
      - .offset:         40
        .size:           1
        .value_kind:     by_value
      - .offset:         48
        .size:           32
        .value_kind:     by_value
      - .offset:         80
        .size:           4
        .value_kind:     hidden_block_count_x
      - .offset:         84
        .size:           4
        .value_kind:     hidden_block_count_y
      - .offset:         88
        .size:           4
        .value_kind:     hidden_block_count_z
      - .offset:         92
        .size:           2
        .value_kind:     hidden_group_size_x
      - .offset:         94
        .size:           2
        .value_kind:     hidden_group_size_y
      - .offset:         96
        .size:           2
        .value_kind:     hidden_group_size_z
      - .offset:         98
        .size:           2
        .value_kind:     hidden_remainder_x
      - .offset:         100
        .size:           2
        .value_kind:     hidden_remainder_y
      - .offset:         102
        .size:           2
        .value_kind:     hidden_remainder_z
      - .offset:         120
        .size:           8
        .value_kind:     hidden_global_offset_x
      - .offset:         128
        .size:           8
        .value_kind:     hidden_global_offset_y
      - .offset:         136
        .size:           8
        .value_kind:     hidden_global_offset_z
      - .offset:         144
        .size:           2
        .value_kind:     hidden_grid_dims
    .group_segment_fixed_size: 0
    .kernarg_segment_align: 8
    .kernarg_segment_size: 336
    .language:       OpenCL C
    .language_version:
      - 2
      - 0
    .max_flat_workgroup_size: 256
    .name:           _ZN2at6native12_GLOBAL__N_143distribution_elementwise_grid_stride_kernelImLi2EZZZNS0_9templates4cuda21random_from_to_kernelIPNS_17CUDAGeneratorImplEEEvRNS_18TensorIteratorBaseEmlT_ENKUlvE_clEvENKUlvE3_clEvEUlP25hiprandStatePhilox4_32_10E_ZNS1_27distribution_nullary_kernelIsm15HIP_vector_typeIyLj2EES7_SF_ZZZNS5_IS7_EEvS9_mlSA_ENKSB_clEvENKSC_clEvEUlmE_EEvS9_T2_RKT3_T4_EUlimE_EEvlNS_15PhiloxCudaStateET1_SK_
    .private_segment_fixed_size: 0
    .sgpr_count:     28
    .sgpr_spill_count: 0
    .symbol:         _ZN2at6native12_GLOBAL__N_143distribution_elementwise_grid_stride_kernelImLi2EZZZNS0_9templates4cuda21random_from_to_kernelIPNS_17CUDAGeneratorImplEEEvRNS_18TensorIteratorBaseEmlT_ENKUlvE_clEvENKUlvE3_clEvEUlP25hiprandStatePhilox4_32_10E_ZNS1_27distribution_nullary_kernelIsm15HIP_vector_typeIyLj2EES7_SF_ZZZNS5_IS7_EEvS9_mlSA_ENKSB_clEvENKSC_clEvEUlmE_EEvS9_T2_RKT3_T4_EUlimE_EEvlNS_15PhiloxCudaStateET1_SK_.kd
    .uniform_work_group_size: 1
    .uses_dynamic_stack: false
    .vgpr_count:     48
    .vgpr_spill_count: 0
    .wavefront_size: 64
  - .agpr_count:     0
    .args:
      - .offset:         0
        .size:           8
        .value_kind:     by_value
      - .offset:         8
        .size:           32
        .value_kind:     by_value
      - .offset:         40
        .size:           1
        .value_kind:     by_value
      - .offset:         48
        .size:           288
        .value_kind:     by_value
      - .offset:         336
        .size:           4
        .value_kind:     hidden_block_count_x
      - .offset:         340
        .size:           4
        .value_kind:     hidden_block_count_y
      - .offset:         344
        .size:           4
        .value_kind:     hidden_block_count_z
      - .offset:         348
        .size:           2
        .value_kind:     hidden_group_size_x
      - .offset:         350
        .size:           2
        .value_kind:     hidden_group_size_y
      - .offset:         352
        .size:           2
        .value_kind:     hidden_group_size_z
      - .offset:         354
        .size:           2
        .value_kind:     hidden_remainder_x
      - .offset:         356
        .size:           2
        .value_kind:     hidden_remainder_y
      - .offset:         358
        .size:           2
        .value_kind:     hidden_remainder_z
      - .offset:         376
        .size:           8
        .value_kind:     hidden_global_offset_x
      - .offset:         384
        .size:           8
        .value_kind:     hidden_global_offset_y
      - .offset:         392
        .size:           8
        .value_kind:     hidden_global_offset_z
      - .offset:         400
        .size:           2
        .value_kind:     hidden_grid_dims
    .group_segment_fixed_size: 0
    .kernarg_segment_align: 8
    .kernarg_segment_size: 592
    .language:       OpenCL C
    .language_version:
      - 2
      - 0
    .max_flat_workgroup_size: 256
    .name:           _ZN2at6native12_GLOBAL__N_143distribution_elementwise_grid_stride_kernelImLi2EZZZNS0_9templates4cuda21random_from_to_kernelIPNS_17CUDAGeneratorImplEEEvRNS_18TensorIteratorBaseEmlT_ENKUlvE_clEvENKUlvE3_clEvEUlP25hiprandStatePhilox4_32_10E_ZNS1_27distribution_nullary_kernelIsm15HIP_vector_typeIyLj2EES7_SF_ZZZNS5_IS7_EEvS9_mlSA_ENKSB_clEvENKSC_clEvEUlmE_EEvS9_T2_RKT3_T4_EUlimE0_EEvlNS_15PhiloxCudaStateET1_SK_
    .private_segment_fixed_size: 0
    .sgpr_count:     70
    .sgpr_spill_count: 0
    .symbol:         _ZN2at6native12_GLOBAL__N_143distribution_elementwise_grid_stride_kernelImLi2EZZZNS0_9templates4cuda21random_from_to_kernelIPNS_17CUDAGeneratorImplEEEvRNS_18TensorIteratorBaseEmlT_ENKUlvE_clEvENKUlvE3_clEvEUlP25hiprandStatePhilox4_32_10E_ZNS1_27distribution_nullary_kernelIsm15HIP_vector_typeIyLj2EES7_SF_ZZZNS5_IS7_EEvS9_mlSA_ENKSB_clEvENKSC_clEvEUlmE_EEvS9_T2_RKT3_T4_EUlimE0_EEvlNS_15PhiloxCudaStateET1_SK_.kd
    .uniform_work_group_size: 1
    .uses_dynamic_stack: false
    .vgpr_count:     46
    .vgpr_spill_count: 0
    .wavefront_size: 64
  - .agpr_count:     0
    .args:
      - .offset:         0
        .size:           8
        .value_kind:     by_value
      - .offset:         8
        .size:           32
        .value_kind:     by_value
      - .offset:         40
        .size:           1
        .value_kind:     by_value
      - .offset:         48
        .size:           32
        .value_kind:     by_value
      - .offset:         80
        .size:           4
        .value_kind:     hidden_block_count_x
      - .offset:         84
        .size:           4
        .value_kind:     hidden_block_count_y
      - .offset:         88
        .size:           4
        .value_kind:     hidden_block_count_z
      - .offset:         92
        .size:           2
        .value_kind:     hidden_group_size_x
      - .offset:         94
        .size:           2
        .value_kind:     hidden_group_size_y
      - .offset:         96
        .size:           2
        .value_kind:     hidden_group_size_z
      - .offset:         98
        .size:           2
        .value_kind:     hidden_remainder_x
      - .offset:         100
        .size:           2
        .value_kind:     hidden_remainder_y
      - .offset:         102
        .size:           2
        .value_kind:     hidden_remainder_z
      - .offset:         120
        .size:           8
        .value_kind:     hidden_global_offset_x
      - .offset:         128
        .size:           8
        .value_kind:     hidden_global_offset_y
      - .offset:         136
        .size:           8
        .value_kind:     hidden_global_offset_z
      - .offset:         144
        .size:           2
        .value_kind:     hidden_grid_dims
    .group_segment_fixed_size: 0
    .kernarg_segment_align: 8
    .kernarg_segment_size: 336
    .language:       OpenCL C
    .language_version:
      - 2
      - 0
    .max_flat_workgroup_size: 256
    .name:           _ZN2at6native12_GLOBAL__N_143distribution_elementwise_grid_stride_kernelIjLi4EZZZNS0_9templates4cuda21random_from_to_kernelIPNS_17CUDAGeneratorImplEEEvRNS_18TensorIteratorBaseEmlT_ENKUlvE_clEvENKUlvE3_clEvEUlP25hiprandStatePhilox4_32_10E0_ZNS1_27distribution_nullary_kernelIsj15HIP_vector_typeIjLj4EES7_SF_ZZZNS5_IS7_EEvS9_mlSA_ENKSB_clEvENKSC_clEvEUljE_EEvS9_T2_RKT3_T4_EUlijE_EEvlNS_15PhiloxCudaStateET1_SK_
    .private_segment_fixed_size: 0
    .sgpr_count:     31
    .sgpr_spill_count: 0
    .symbol:         _ZN2at6native12_GLOBAL__N_143distribution_elementwise_grid_stride_kernelIjLi4EZZZNS0_9templates4cuda21random_from_to_kernelIPNS_17CUDAGeneratorImplEEEvRNS_18TensorIteratorBaseEmlT_ENKUlvE_clEvENKUlvE3_clEvEUlP25hiprandStatePhilox4_32_10E0_ZNS1_27distribution_nullary_kernelIsj15HIP_vector_typeIjLj4EES7_SF_ZZZNS5_IS7_EEvS9_mlSA_ENKSB_clEvENKSC_clEvEUljE_EEvS9_T2_RKT3_T4_EUlijE_EEvlNS_15PhiloxCudaStateET1_SK_.kd
    .uniform_work_group_size: 1
    .uses_dynamic_stack: false
    .vgpr_count:     47
    .vgpr_spill_count: 0
    .wavefront_size: 64
  - .agpr_count:     0
    .args:
      - .offset:         0
        .size:           8
        .value_kind:     by_value
      - .offset:         8
        .size:           32
        .value_kind:     by_value
      - .offset:         40
        .size:           1
        .value_kind:     by_value
      - .offset:         48
        .size:           288
        .value_kind:     by_value
      - .offset:         336
        .size:           4
        .value_kind:     hidden_block_count_x
      - .offset:         340
        .size:           4
        .value_kind:     hidden_block_count_y
      - .offset:         344
        .size:           4
        .value_kind:     hidden_block_count_z
      - .offset:         348
        .size:           2
        .value_kind:     hidden_group_size_x
      - .offset:         350
        .size:           2
        .value_kind:     hidden_group_size_y
      - .offset:         352
        .size:           2
        .value_kind:     hidden_group_size_z
      - .offset:         354
        .size:           2
        .value_kind:     hidden_remainder_x
      - .offset:         356
        .size:           2
        .value_kind:     hidden_remainder_y
      - .offset:         358
        .size:           2
        .value_kind:     hidden_remainder_z
      - .offset:         376
        .size:           8
        .value_kind:     hidden_global_offset_x
      - .offset:         384
        .size:           8
        .value_kind:     hidden_global_offset_y
      - .offset:         392
        .size:           8
        .value_kind:     hidden_global_offset_z
      - .offset:         400
        .size:           2
        .value_kind:     hidden_grid_dims
    .group_segment_fixed_size: 0
    .kernarg_segment_align: 8
    .kernarg_segment_size: 592
    .language:       OpenCL C
    .language_version:
      - 2
      - 0
    .max_flat_workgroup_size: 256
    .name:           _ZN2at6native12_GLOBAL__N_143distribution_elementwise_grid_stride_kernelIjLi4EZZZNS0_9templates4cuda21random_from_to_kernelIPNS_17CUDAGeneratorImplEEEvRNS_18TensorIteratorBaseEmlT_ENKUlvE_clEvENKUlvE3_clEvEUlP25hiprandStatePhilox4_32_10E0_ZNS1_27distribution_nullary_kernelIsj15HIP_vector_typeIjLj4EES7_SF_ZZZNS5_IS7_EEvS9_mlSA_ENKSB_clEvENKSC_clEvEUljE_EEvS9_T2_RKT3_T4_EUlijE0_EEvlNS_15PhiloxCudaStateET1_SK_
    .private_segment_fixed_size: 0
    .sgpr_count:     74
    .sgpr_spill_count: 0
    .symbol:         _ZN2at6native12_GLOBAL__N_143distribution_elementwise_grid_stride_kernelIjLi4EZZZNS0_9templates4cuda21random_from_to_kernelIPNS_17CUDAGeneratorImplEEEvRNS_18TensorIteratorBaseEmlT_ENKUlvE_clEvENKUlvE3_clEvEUlP25hiprandStatePhilox4_32_10E0_ZNS1_27distribution_nullary_kernelIsj15HIP_vector_typeIjLj4EES7_SF_ZZZNS5_IS7_EEvS9_mlSA_ENKSB_clEvENKSC_clEvEUljE_EEvS9_T2_RKT3_T4_EUlijE0_EEvlNS_15PhiloxCudaStateET1_SK_.kd
    .uniform_work_group_size: 1
    .uses_dynamic_stack: false
    .vgpr_count:     43
    .vgpr_spill_count: 0
    .wavefront_size: 64
  - .agpr_count:     0
    .args:
      - .offset:         0
        .size:           8
        .value_kind:     by_value
      - .offset:         8
        .size:           32
        .value_kind:     by_value
      - .offset:         40
        .size:           1
        .value_kind:     by_value
      - .offset:         48
        .size:           32
        .value_kind:     by_value
      - .offset:         80
        .size:           4
        .value_kind:     hidden_block_count_x
      - .offset:         84
        .size:           4
        .value_kind:     hidden_block_count_y
      - .offset:         88
        .size:           4
        .value_kind:     hidden_block_count_z
      - .offset:         92
        .size:           2
        .value_kind:     hidden_group_size_x
      - .offset:         94
        .size:           2
        .value_kind:     hidden_group_size_y
      - .offset:         96
        .size:           2
        .value_kind:     hidden_group_size_z
      - .offset:         98
        .size:           2
        .value_kind:     hidden_remainder_x
      - .offset:         100
        .size:           2
        .value_kind:     hidden_remainder_y
      - .offset:         102
        .size:           2
        .value_kind:     hidden_remainder_z
      - .offset:         120
        .size:           8
        .value_kind:     hidden_global_offset_x
      - .offset:         128
        .size:           8
        .value_kind:     hidden_global_offset_y
      - .offset:         136
        .size:           8
        .value_kind:     hidden_global_offset_z
      - .offset:         144
        .size:           2
        .value_kind:     hidden_grid_dims
    .group_segment_fixed_size: 0
    .kernarg_segment_align: 8
    .kernarg_segment_size: 336
    .language:       OpenCL C
    .language_version:
      - 2
      - 0
    .max_flat_workgroup_size: 256
    .name:           _ZN2at6native12_GLOBAL__N_143distribution_elementwise_grid_stride_kernelImLi2EZZZNS0_9templates4cuda21random_from_to_kernelIPNS_17CUDAGeneratorImplEEEvRNS_18TensorIteratorBaseEmlT_ENKUlvE_clEvENKUlvE4_clEvEUlP25hiprandStatePhilox4_32_10E_ZNS1_27distribution_nullary_kernelIdm15HIP_vector_typeIyLj2EES7_SF_ZZZNS5_IS7_EEvS9_mlSA_ENKSB_clEvENKSC_clEvEUlmE_EEvS9_T2_RKT3_T4_EUlimE_EEvlNS_15PhiloxCudaStateET1_SK_
    .private_segment_fixed_size: 0
    .sgpr_count:     31
    .sgpr_spill_count: 0
    .symbol:         _ZN2at6native12_GLOBAL__N_143distribution_elementwise_grid_stride_kernelImLi2EZZZNS0_9templates4cuda21random_from_to_kernelIPNS_17CUDAGeneratorImplEEEvRNS_18TensorIteratorBaseEmlT_ENKUlvE_clEvENKUlvE4_clEvEUlP25hiprandStatePhilox4_32_10E_ZNS1_27distribution_nullary_kernelIdm15HIP_vector_typeIyLj2EES7_SF_ZZZNS5_IS7_EEvS9_mlSA_ENKSB_clEvENKSC_clEvEUlmE_EEvS9_T2_RKT3_T4_EUlimE_EEvlNS_15PhiloxCudaStateET1_SK_.kd
    .uniform_work_group_size: 1
    .uses_dynamic_stack: false
    .vgpr_count:     48
    .vgpr_spill_count: 0
    .wavefront_size: 64
  - .agpr_count:     0
    .args:
      - .offset:         0
        .size:           8
        .value_kind:     by_value
      - .offset:         8
        .size:           32
        .value_kind:     by_value
      - .offset:         40
        .size:           1
        .value_kind:     by_value
      - .offset:         48
        .size:           288
        .value_kind:     by_value
      - .offset:         336
        .size:           4
        .value_kind:     hidden_block_count_x
      - .offset:         340
        .size:           4
        .value_kind:     hidden_block_count_y
      - .offset:         344
        .size:           4
        .value_kind:     hidden_block_count_z
      - .offset:         348
        .size:           2
        .value_kind:     hidden_group_size_x
      - .offset:         350
        .size:           2
        .value_kind:     hidden_group_size_y
      - .offset:         352
        .size:           2
        .value_kind:     hidden_group_size_z
      - .offset:         354
        .size:           2
        .value_kind:     hidden_remainder_x
      - .offset:         356
        .size:           2
        .value_kind:     hidden_remainder_y
      - .offset:         358
        .size:           2
        .value_kind:     hidden_remainder_z
      - .offset:         376
        .size:           8
        .value_kind:     hidden_global_offset_x
      - .offset:         384
        .size:           8
        .value_kind:     hidden_global_offset_y
      - .offset:         392
        .size:           8
        .value_kind:     hidden_global_offset_z
      - .offset:         400
        .size:           2
        .value_kind:     hidden_grid_dims
    .group_segment_fixed_size: 0
    .kernarg_segment_align: 8
    .kernarg_segment_size: 592
    .language:       OpenCL C
    .language_version:
      - 2
      - 0
    .max_flat_workgroup_size: 256
    .name:           _ZN2at6native12_GLOBAL__N_143distribution_elementwise_grid_stride_kernelImLi2EZZZNS0_9templates4cuda21random_from_to_kernelIPNS_17CUDAGeneratorImplEEEvRNS_18TensorIteratorBaseEmlT_ENKUlvE_clEvENKUlvE4_clEvEUlP25hiprandStatePhilox4_32_10E_ZNS1_27distribution_nullary_kernelIdm15HIP_vector_typeIyLj2EES7_SF_ZZZNS5_IS7_EEvS9_mlSA_ENKSB_clEvENKSC_clEvEUlmE_EEvS9_T2_RKT3_T4_EUlimE0_EEvlNS_15PhiloxCudaStateET1_SK_
    .private_segment_fixed_size: 0
    .sgpr_count:     71
    .sgpr_spill_count: 0
    .symbol:         _ZN2at6native12_GLOBAL__N_143distribution_elementwise_grid_stride_kernelImLi2EZZZNS0_9templates4cuda21random_from_to_kernelIPNS_17CUDAGeneratorImplEEEvRNS_18TensorIteratorBaseEmlT_ENKUlvE_clEvENKUlvE4_clEvEUlP25hiprandStatePhilox4_32_10E_ZNS1_27distribution_nullary_kernelIdm15HIP_vector_typeIyLj2EES7_SF_ZZZNS5_IS7_EEvS9_mlSA_ENKSB_clEvENKSC_clEvEUlmE_EEvS9_T2_RKT3_T4_EUlimE0_EEvlNS_15PhiloxCudaStateET1_SK_.kd
    .uniform_work_group_size: 1
    .uses_dynamic_stack: false
    .vgpr_count:     46
    .vgpr_spill_count: 0
    .wavefront_size: 64
  - .agpr_count:     0
    .args:
      - .offset:         0
        .size:           8
        .value_kind:     by_value
      - .offset:         8
        .size:           32
        .value_kind:     by_value
      - .offset:         40
        .size:           1
        .value_kind:     by_value
      - .offset:         48
        .size:           32
        .value_kind:     by_value
      - .offset:         80
        .size:           4
        .value_kind:     hidden_block_count_x
      - .offset:         84
        .size:           4
        .value_kind:     hidden_block_count_y
      - .offset:         88
        .size:           4
        .value_kind:     hidden_block_count_z
      - .offset:         92
        .size:           2
        .value_kind:     hidden_group_size_x
      - .offset:         94
        .size:           2
        .value_kind:     hidden_group_size_y
      - .offset:         96
        .size:           2
        .value_kind:     hidden_group_size_z
      - .offset:         98
        .size:           2
        .value_kind:     hidden_remainder_x
      - .offset:         100
        .size:           2
        .value_kind:     hidden_remainder_y
      - .offset:         102
        .size:           2
        .value_kind:     hidden_remainder_z
      - .offset:         120
        .size:           8
        .value_kind:     hidden_global_offset_x
      - .offset:         128
        .size:           8
        .value_kind:     hidden_global_offset_y
      - .offset:         136
        .size:           8
        .value_kind:     hidden_global_offset_z
      - .offset:         144
        .size:           2
        .value_kind:     hidden_grid_dims
    .group_segment_fixed_size: 0
    .kernarg_segment_align: 8
    .kernarg_segment_size: 336
    .language:       OpenCL C
    .language_version:
      - 2
      - 0
    .max_flat_workgroup_size: 256
    .name:           _ZN2at6native12_GLOBAL__N_143distribution_elementwise_grid_stride_kernelIjLi4EZZZNS0_9templates4cuda21random_from_to_kernelIPNS_17CUDAGeneratorImplEEEvRNS_18TensorIteratorBaseEmlT_ENKUlvE_clEvENKUlvE4_clEvEUlP25hiprandStatePhilox4_32_10E0_ZNS1_27distribution_nullary_kernelIdj15HIP_vector_typeIjLj4EES7_SF_ZZZNS5_IS7_EEvS9_mlSA_ENKSB_clEvENKSC_clEvEUljE_EEvS9_T2_RKT3_T4_EUlijE_EEvlNS_15PhiloxCudaStateET1_SK_
    .private_segment_fixed_size: 0
    .sgpr_count:     32
    .sgpr_spill_count: 0
    .symbol:         _ZN2at6native12_GLOBAL__N_143distribution_elementwise_grid_stride_kernelIjLi4EZZZNS0_9templates4cuda21random_from_to_kernelIPNS_17CUDAGeneratorImplEEEvRNS_18TensorIteratorBaseEmlT_ENKUlvE_clEvENKUlvE4_clEvEUlP25hiprandStatePhilox4_32_10E0_ZNS1_27distribution_nullary_kernelIdj15HIP_vector_typeIjLj4EES7_SF_ZZZNS5_IS7_EEvS9_mlSA_ENKSB_clEvENKSC_clEvEUljE_EEvS9_T2_RKT3_T4_EUlijE_EEvlNS_15PhiloxCudaStateET1_SK_.kd
    .uniform_work_group_size: 1
    .uses_dynamic_stack: false
    .vgpr_count:     50
    .vgpr_spill_count: 0
    .wavefront_size: 64
  - .agpr_count:     0
    .args:
      - .offset:         0
        .size:           8
        .value_kind:     by_value
      - .offset:         8
        .size:           32
        .value_kind:     by_value
      - .offset:         40
        .size:           1
        .value_kind:     by_value
      - .offset:         48
        .size:           288
        .value_kind:     by_value
      - .offset:         336
        .size:           4
        .value_kind:     hidden_block_count_x
      - .offset:         340
        .size:           4
        .value_kind:     hidden_block_count_y
      - .offset:         344
        .size:           4
        .value_kind:     hidden_block_count_z
      - .offset:         348
        .size:           2
        .value_kind:     hidden_group_size_x
      - .offset:         350
        .size:           2
        .value_kind:     hidden_group_size_y
      - .offset:         352
        .size:           2
        .value_kind:     hidden_group_size_z
      - .offset:         354
        .size:           2
        .value_kind:     hidden_remainder_x
      - .offset:         356
        .size:           2
        .value_kind:     hidden_remainder_y
      - .offset:         358
        .size:           2
        .value_kind:     hidden_remainder_z
      - .offset:         376
        .size:           8
        .value_kind:     hidden_global_offset_x
      - .offset:         384
        .size:           8
        .value_kind:     hidden_global_offset_y
      - .offset:         392
        .size:           8
        .value_kind:     hidden_global_offset_z
      - .offset:         400
        .size:           2
        .value_kind:     hidden_grid_dims
    .group_segment_fixed_size: 0
    .kernarg_segment_align: 8
    .kernarg_segment_size: 592
    .language:       OpenCL C
    .language_version:
      - 2
      - 0
    .max_flat_workgroup_size: 256
    .name:           _ZN2at6native12_GLOBAL__N_143distribution_elementwise_grid_stride_kernelIjLi4EZZZNS0_9templates4cuda21random_from_to_kernelIPNS_17CUDAGeneratorImplEEEvRNS_18TensorIteratorBaseEmlT_ENKUlvE_clEvENKUlvE4_clEvEUlP25hiprandStatePhilox4_32_10E0_ZNS1_27distribution_nullary_kernelIdj15HIP_vector_typeIjLj4EES7_SF_ZZZNS5_IS7_EEvS9_mlSA_ENKSB_clEvENKSC_clEvEUljE_EEvS9_T2_RKT3_T4_EUlijE0_EEvlNS_15PhiloxCudaStateET1_SK_
    .private_segment_fixed_size: 0
    .sgpr_count:     75
    .sgpr_spill_count: 0
    .symbol:         _ZN2at6native12_GLOBAL__N_143distribution_elementwise_grid_stride_kernelIjLi4EZZZNS0_9templates4cuda21random_from_to_kernelIPNS_17CUDAGeneratorImplEEEvRNS_18TensorIteratorBaseEmlT_ENKUlvE_clEvENKUlvE4_clEvEUlP25hiprandStatePhilox4_32_10E0_ZNS1_27distribution_nullary_kernelIdj15HIP_vector_typeIjLj4EES7_SF_ZZZNS5_IS7_EEvS9_mlSA_ENKSB_clEvENKSC_clEvEUljE_EEvS9_T2_RKT3_T4_EUlijE0_EEvlNS_15PhiloxCudaStateET1_SK_.kd
    .uniform_work_group_size: 1
    .uses_dynamic_stack: false
    .vgpr_count:     46
    .vgpr_spill_count: 0
    .wavefront_size: 64
  - .agpr_count:     0
    .args:
      - .offset:         0
        .size:           8
        .value_kind:     by_value
      - .offset:         8
        .size:           32
        .value_kind:     by_value
      - .offset:         40
        .size:           1
        .value_kind:     by_value
      - .offset:         48
        .size:           32
        .value_kind:     by_value
      - .offset:         80
        .size:           4
        .value_kind:     hidden_block_count_x
      - .offset:         84
        .size:           4
        .value_kind:     hidden_block_count_y
      - .offset:         88
        .size:           4
        .value_kind:     hidden_block_count_z
      - .offset:         92
        .size:           2
        .value_kind:     hidden_group_size_x
      - .offset:         94
        .size:           2
        .value_kind:     hidden_group_size_y
      - .offset:         96
        .size:           2
        .value_kind:     hidden_group_size_z
      - .offset:         98
        .size:           2
        .value_kind:     hidden_remainder_x
      - .offset:         100
        .size:           2
        .value_kind:     hidden_remainder_y
      - .offset:         102
        .size:           2
        .value_kind:     hidden_remainder_z
      - .offset:         120
        .size:           8
        .value_kind:     hidden_global_offset_x
      - .offset:         128
        .size:           8
        .value_kind:     hidden_global_offset_y
      - .offset:         136
        .size:           8
        .value_kind:     hidden_global_offset_z
      - .offset:         144
        .size:           2
        .value_kind:     hidden_grid_dims
    .group_segment_fixed_size: 0
    .kernarg_segment_align: 8
    .kernarg_segment_size: 336
    .language:       OpenCL C
    .language_version:
      - 2
      - 0
    .max_flat_workgroup_size: 256
    .name:           _ZN2at6native12_GLOBAL__N_143distribution_elementwise_grid_stride_kernelImLi2EZZZNS0_9templates4cuda21random_from_to_kernelIPNS_17CUDAGeneratorImplEEEvRNS_18TensorIteratorBaseEmlT_ENKUlvE_clEvENKUlvE5_clEvEUlP25hiprandStatePhilox4_32_10E_ZNS1_27distribution_nullary_kernelIfm15HIP_vector_typeIyLj2EES7_SF_ZZZNS5_IS7_EEvS9_mlSA_ENKSB_clEvENKSC_clEvEUlmE_EEvS9_T2_RKT3_T4_EUlimE_EEvlNS_15PhiloxCudaStateET1_SK_
    .private_segment_fixed_size: 0
    .sgpr_count:     31
    .sgpr_spill_count: 0
    .symbol:         _ZN2at6native12_GLOBAL__N_143distribution_elementwise_grid_stride_kernelImLi2EZZZNS0_9templates4cuda21random_from_to_kernelIPNS_17CUDAGeneratorImplEEEvRNS_18TensorIteratorBaseEmlT_ENKUlvE_clEvENKUlvE5_clEvEUlP25hiprandStatePhilox4_32_10E_ZNS1_27distribution_nullary_kernelIfm15HIP_vector_typeIyLj2EES7_SF_ZZZNS5_IS7_EEvS9_mlSA_ENKSB_clEvENKSC_clEvEUlmE_EEvS9_T2_RKT3_T4_EUlimE_EEvlNS_15PhiloxCudaStateET1_SK_.kd
    .uniform_work_group_size: 1
    .uses_dynamic_stack: false
    .vgpr_count:     48
    .vgpr_spill_count: 0
    .wavefront_size: 64
  - .agpr_count:     0
    .args:
      - .offset:         0
        .size:           8
        .value_kind:     by_value
      - .offset:         8
        .size:           32
        .value_kind:     by_value
      - .offset:         40
        .size:           1
        .value_kind:     by_value
      - .offset:         48
        .size:           288
        .value_kind:     by_value
      - .offset:         336
        .size:           4
        .value_kind:     hidden_block_count_x
      - .offset:         340
        .size:           4
        .value_kind:     hidden_block_count_y
      - .offset:         344
        .size:           4
        .value_kind:     hidden_block_count_z
      - .offset:         348
        .size:           2
        .value_kind:     hidden_group_size_x
      - .offset:         350
        .size:           2
        .value_kind:     hidden_group_size_y
      - .offset:         352
        .size:           2
        .value_kind:     hidden_group_size_z
      - .offset:         354
        .size:           2
        .value_kind:     hidden_remainder_x
      - .offset:         356
        .size:           2
        .value_kind:     hidden_remainder_y
      - .offset:         358
        .size:           2
        .value_kind:     hidden_remainder_z
      - .offset:         376
        .size:           8
        .value_kind:     hidden_global_offset_x
      - .offset:         384
        .size:           8
        .value_kind:     hidden_global_offset_y
      - .offset:         392
        .size:           8
        .value_kind:     hidden_global_offset_z
      - .offset:         400
        .size:           2
        .value_kind:     hidden_grid_dims
    .group_segment_fixed_size: 0
    .kernarg_segment_align: 8
    .kernarg_segment_size: 592
    .language:       OpenCL C
    .language_version:
      - 2
      - 0
    .max_flat_workgroup_size: 256
    .name:           _ZN2at6native12_GLOBAL__N_143distribution_elementwise_grid_stride_kernelImLi2EZZZNS0_9templates4cuda21random_from_to_kernelIPNS_17CUDAGeneratorImplEEEvRNS_18TensorIteratorBaseEmlT_ENKUlvE_clEvENKUlvE5_clEvEUlP25hiprandStatePhilox4_32_10E_ZNS1_27distribution_nullary_kernelIfm15HIP_vector_typeIyLj2EES7_SF_ZZZNS5_IS7_EEvS9_mlSA_ENKSB_clEvENKSC_clEvEUlmE_EEvS9_T2_RKT3_T4_EUlimE0_EEvlNS_15PhiloxCudaStateET1_SK_
    .private_segment_fixed_size: 0
    .sgpr_count:     71
    .sgpr_spill_count: 0
    .symbol:         _ZN2at6native12_GLOBAL__N_143distribution_elementwise_grid_stride_kernelImLi2EZZZNS0_9templates4cuda21random_from_to_kernelIPNS_17CUDAGeneratorImplEEEvRNS_18TensorIteratorBaseEmlT_ENKUlvE_clEvENKUlvE5_clEvEUlP25hiprandStatePhilox4_32_10E_ZNS1_27distribution_nullary_kernelIfm15HIP_vector_typeIyLj2EES7_SF_ZZZNS5_IS7_EEvS9_mlSA_ENKSB_clEvENKSC_clEvEUlmE_EEvS9_T2_RKT3_T4_EUlimE0_EEvlNS_15PhiloxCudaStateET1_SK_.kd
    .uniform_work_group_size: 1
    .uses_dynamic_stack: false
    .vgpr_count:     46
    .vgpr_spill_count: 0
    .wavefront_size: 64
  - .agpr_count:     0
    .args:
      - .offset:         0
        .size:           8
        .value_kind:     by_value
      - .offset:         8
        .size:           32
        .value_kind:     by_value
      - .offset:         40
        .size:           1
        .value_kind:     by_value
      - .offset:         48
        .size:           32
        .value_kind:     by_value
      - .offset:         80
        .size:           4
        .value_kind:     hidden_block_count_x
      - .offset:         84
        .size:           4
        .value_kind:     hidden_block_count_y
      - .offset:         88
        .size:           4
        .value_kind:     hidden_block_count_z
      - .offset:         92
        .size:           2
        .value_kind:     hidden_group_size_x
      - .offset:         94
        .size:           2
        .value_kind:     hidden_group_size_y
      - .offset:         96
        .size:           2
        .value_kind:     hidden_group_size_z
      - .offset:         98
        .size:           2
        .value_kind:     hidden_remainder_x
      - .offset:         100
        .size:           2
        .value_kind:     hidden_remainder_y
      - .offset:         102
        .size:           2
        .value_kind:     hidden_remainder_z
      - .offset:         120
        .size:           8
        .value_kind:     hidden_global_offset_x
      - .offset:         128
        .size:           8
        .value_kind:     hidden_global_offset_y
      - .offset:         136
        .size:           8
        .value_kind:     hidden_global_offset_z
      - .offset:         144
        .size:           2
        .value_kind:     hidden_grid_dims
    .group_segment_fixed_size: 0
    .kernarg_segment_align: 8
    .kernarg_segment_size: 336
    .language:       OpenCL C
    .language_version:
      - 2
      - 0
    .max_flat_workgroup_size: 256
    .name:           _ZN2at6native12_GLOBAL__N_143distribution_elementwise_grid_stride_kernelIjLi4EZZZNS0_9templates4cuda21random_from_to_kernelIPNS_17CUDAGeneratorImplEEEvRNS_18TensorIteratorBaseEmlT_ENKUlvE_clEvENKUlvE5_clEvEUlP25hiprandStatePhilox4_32_10E0_ZNS1_27distribution_nullary_kernelIfj15HIP_vector_typeIjLj4EES7_SF_ZZZNS5_IS7_EEvS9_mlSA_ENKSB_clEvENKSC_clEvEUljE_EEvS9_T2_RKT3_T4_EUlijE_EEvlNS_15PhiloxCudaStateET1_SK_
    .private_segment_fixed_size: 0
    .sgpr_count:     32
    .sgpr_spill_count: 0
    .symbol:         _ZN2at6native12_GLOBAL__N_143distribution_elementwise_grid_stride_kernelIjLi4EZZZNS0_9templates4cuda21random_from_to_kernelIPNS_17CUDAGeneratorImplEEEvRNS_18TensorIteratorBaseEmlT_ENKUlvE_clEvENKUlvE5_clEvEUlP25hiprandStatePhilox4_32_10E0_ZNS1_27distribution_nullary_kernelIfj15HIP_vector_typeIjLj4EES7_SF_ZZZNS5_IS7_EEvS9_mlSA_ENKSB_clEvENKSC_clEvEUljE_EEvS9_T2_RKT3_T4_EUlijE_EEvlNS_15PhiloxCudaStateET1_SK_.kd
    .uniform_work_group_size: 1
    .uses_dynamic_stack: false
    .vgpr_count:     47
    .vgpr_spill_count: 0
    .wavefront_size: 64
  - .agpr_count:     0
    .args:
      - .offset:         0
        .size:           8
        .value_kind:     by_value
      - .offset:         8
        .size:           32
        .value_kind:     by_value
      - .offset:         40
        .size:           1
        .value_kind:     by_value
      - .offset:         48
        .size:           288
        .value_kind:     by_value
      - .offset:         336
        .size:           4
        .value_kind:     hidden_block_count_x
      - .offset:         340
        .size:           4
        .value_kind:     hidden_block_count_y
      - .offset:         344
        .size:           4
        .value_kind:     hidden_block_count_z
      - .offset:         348
        .size:           2
        .value_kind:     hidden_group_size_x
      - .offset:         350
        .size:           2
        .value_kind:     hidden_group_size_y
      - .offset:         352
        .size:           2
        .value_kind:     hidden_group_size_z
      - .offset:         354
        .size:           2
        .value_kind:     hidden_remainder_x
      - .offset:         356
        .size:           2
        .value_kind:     hidden_remainder_y
      - .offset:         358
        .size:           2
        .value_kind:     hidden_remainder_z
      - .offset:         376
        .size:           8
        .value_kind:     hidden_global_offset_x
      - .offset:         384
        .size:           8
        .value_kind:     hidden_global_offset_y
      - .offset:         392
        .size:           8
        .value_kind:     hidden_global_offset_z
      - .offset:         400
        .size:           2
        .value_kind:     hidden_grid_dims
    .group_segment_fixed_size: 0
    .kernarg_segment_align: 8
    .kernarg_segment_size: 592
    .language:       OpenCL C
    .language_version:
      - 2
      - 0
    .max_flat_workgroup_size: 256
    .name:           _ZN2at6native12_GLOBAL__N_143distribution_elementwise_grid_stride_kernelIjLi4EZZZNS0_9templates4cuda21random_from_to_kernelIPNS_17CUDAGeneratorImplEEEvRNS_18TensorIteratorBaseEmlT_ENKUlvE_clEvENKUlvE5_clEvEUlP25hiprandStatePhilox4_32_10E0_ZNS1_27distribution_nullary_kernelIfj15HIP_vector_typeIjLj4EES7_SF_ZZZNS5_IS7_EEvS9_mlSA_ENKSB_clEvENKSC_clEvEUljE_EEvS9_T2_RKT3_T4_EUlijE0_EEvlNS_15PhiloxCudaStateET1_SK_
    .private_segment_fixed_size: 0
    .sgpr_count:     75
    .sgpr_spill_count: 0
    .symbol:         _ZN2at6native12_GLOBAL__N_143distribution_elementwise_grid_stride_kernelIjLi4EZZZNS0_9templates4cuda21random_from_to_kernelIPNS_17CUDAGeneratorImplEEEvRNS_18TensorIteratorBaseEmlT_ENKUlvE_clEvENKUlvE5_clEvEUlP25hiprandStatePhilox4_32_10E0_ZNS1_27distribution_nullary_kernelIfj15HIP_vector_typeIjLj4EES7_SF_ZZZNS5_IS7_EEvS9_mlSA_ENKSB_clEvENKSC_clEvEUljE_EEvS9_T2_RKT3_T4_EUlijE0_EEvlNS_15PhiloxCudaStateET1_SK_.kd
    .uniform_work_group_size: 1
    .uses_dynamic_stack: false
    .vgpr_count:     43
    .vgpr_spill_count: 0
    .wavefront_size: 64
  - .agpr_count:     0
    .args:
      - .offset:         0
        .size:           8
        .value_kind:     by_value
      - .offset:         8
        .size:           32
        .value_kind:     by_value
      - .offset:         40
        .size:           1
        .value_kind:     by_value
      - .offset:         48
        .size:           32
        .value_kind:     by_value
      - .offset:         80
        .size:           4
        .value_kind:     hidden_block_count_x
      - .offset:         84
        .size:           4
        .value_kind:     hidden_block_count_y
      - .offset:         88
        .size:           4
        .value_kind:     hidden_block_count_z
      - .offset:         92
        .size:           2
        .value_kind:     hidden_group_size_x
      - .offset:         94
        .size:           2
        .value_kind:     hidden_group_size_y
      - .offset:         96
        .size:           2
        .value_kind:     hidden_group_size_z
      - .offset:         98
        .size:           2
        .value_kind:     hidden_remainder_x
      - .offset:         100
        .size:           2
        .value_kind:     hidden_remainder_y
      - .offset:         102
        .size:           2
        .value_kind:     hidden_remainder_z
      - .offset:         120
        .size:           8
        .value_kind:     hidden_global_offset_x
      - .offset:         128
        .size:           8
        .value_kind:     hidden_global_offset_y
      - .offset:         136
        .size:           8
        .value_kind:     hidden_global_offset_z
      - .offset:         144
        .size:           2
        .value_kind:     hidden_grid_dims
    .group_segment_fixed_size: 0
    .kernarg_segment_align: 8
    .kernarg_segment_size: 336
    .language:       OpenCL C
    .language_version:
      - 2
      - 0
    .max_flat_workgroup_size: 256
    .name:           _ZN2at6native12_GLOBAL__N_143distribution_elementwise_grid_stride_kernelImLi2EZZZNS0_9templates4cuda21random_from_to_kernelIPNS_17CUDAGeneratorImplEEEvRNS_18TensorIteratorBaseEmlT_ENKUlvE_clEvENKUlvE6_clEvEUlP25hiprandStatePhilox4_32_10E_ZNS1_27distribution_nullary_kernelIbm15HIP_vector_typeIyLj2EES7_SF_ZZZNS5_IS7_EEvS9_mlSA_ENKSB_clEvENKSC_clEvEUlmE_EEvS9_T2_RKT3_T4_EUlimE_EEvlNS_15PhiloxCudaStateET1_SK_
    .private_segment_fixed_size: 0
    .sgpr_count:     31
    .sgpr_spill_count: 0
    .symbol:         _ZN2at6native12_GLOBAL__N_143distribution_elementwise_grid_stride_kernelImLi2EZZZNS0_9templates4cuda21random_from_to_kernelIPNS_17CUDAGeneratorImplEEEvRNS_18TensorIteratorBaseEmlT_ENKUlvE_clEvENKUlvE6_clEvEUlP25hiprandStatePhilox4_32_10E_ZNS1_27distribution_nullary_kernelIbm15HIP_vector_typeIyLj2EES7_SF_ZZZNS5_IS7_EEvS9_mlSA_ENKSB_clEvENKSC_clEvEUlmE_EEvS9_T2_RKT3_T4_EUlimE_EEvlNS_15PhiloxCudaStateET1_SK_.kd
    .uniform_work_group_size: 1
    .uses_dynamic_stack: false
    .vgpr_count:     48
    .vgpr_spill_count: 0
    .wavefront_size: 64
  - .agpr_count:     0
    .args:
      - .offset:         0
        .size:           8
        .value_kind:     by_value
      - .offset:         8
        .size:           32
        .value_kind:     by_value
      - .offset:         40
        .size:           1
        .value_kind:     by_value
      - .offset:         48
        .size:           288
        .value_kind:     by_value
      - .offset:         336
        .size:           4
        .value_kind:     hidden_block_count_x
      - .offset:         340
        .size:           4
        .value_kind:     hidden_block_count_y
      - .offset:         344
        .size:           4
        .value_kind:     hidden_block_count_z
      - .offset:         348
        .size:           2
        .value_kind:     hidden_group_size_x
      - .offset:         350
        .size:           2
        .value_kind:     hidden_group_size_y
      - .offset:         352
        .size:           2
        .value_kind:     hidden_group_size_z
      - .offset:         354
        .size:           2
        .value_kind:     hidden_remainder_x
      - .offset:         356
        .size:           2
        .value_kind:     hidden_remainder_y
      - .offset:         358
        .size:           2
        .value_kind:     hidden_remainder_z
      - .offset:         376
        .size:           8
        .value_kind:     hidden_global_offset_x
      - .offset:         384
        .size:           8
        .value_kind:     hidden_global_offset_y
      - .offset:         392
        .size:           8
        .value_kind:     hidden_global_offset_z
      - .offset:         400
        .size:           2
        .value_kind:     hidden_grid_dims
    .group_segment_fixed_size: 0
    .kernarg_segment_align: 8
    .kernarg_segment_size: 592
    .language:       OpenCL C
    .language_version:
      - 2
      - 0
    .max_flat_workgroup_size: 256
    .name:           _ZN2at6native12_GLOBAL__N_143distribution_elementwise_grid_stride_kernelImLi2EZZZNS0_9templates4cuda21random_from_to_kernelIPNS_17CUDAGeneratorImplEEEvRNS_18TensorIteratorBaseEmlT_ENKUlvE_clEvENKUlvE6_clEvEUlP25hiprandStatePhilox4_32_10E_ZNS1_27distribution_nullary_kernelIbm15HIP_vector_typeIyLj2EES7_SF_ZZZNS5_IS7_EEvS9_mlSA_ENKSB_clEvENKSC_clEvEUlmE_EEvS9_T2_RKT3_T4_EUlimE0_EEvlNS_15PhiloxCudaStateET1_SK_
    .private_segment_fixed_size: 0
    .sgpr_count:     71
    .sgpr_spill_count: 0
    .symbol:         _ZN2at6native12_GLOBAL__N_143distribution_elementwise_grid_stride_kernelImLi2EZZZNS0_9templates4cuda21random_from_to_kernelIPNS_17CUDAGeneratorImplEEEvRNS_18TensorIteratorBaseEmlT_ENKUlvE_clEvENKUlvE6_clEvEUlP25hiprandStatePhilox4_32_10E_ZNS1_27distribution_nullary_kernelIbm15HIP_vector_typeIyLj2EES7_SF_ZZZNS5_IS7_EEvS9_mlSA_ENKSB_clEvENKSC_clEvEUlmE_EEvS9_T2_RKT3_T4_EUlimE0_EEvlNS_15PhiloxCudaStateET1_SK_.kd
    .uniform_work_group_size: 1
    .uses_dynamic_stack: false
    .vgpr_count:     46
    .vgpr_spill_count: 0
    .wavefront_size: 64
  - .agpr_count:     0
    .args:
      - .offset:         0
        .size:           8
        .value_kind:     by_value
      - .offset:         8
        .size:           32
        .value_kind:     by_value
      - .offset:         40
        .size:           1
        .value_kind:     by_value
      - .offset:         48
        .size:           32
        .value_kind:     by_value
      - .offset:         80
        .size:           4
        .value_kind:     hidden_block_count_x
      - .offset:         84
        .size:           4
        .value_kind:     hidden_block_count_y
      - .offset:         88
        .size:           4
        .value_kind:     hidden_block_count_z
      - .offset:         92
        .size:           2
        .value_kind:     hidden_group_size_x
      - .offset:         94
        .size:           2
        .value_kind:     hidden_group_size_y
      - .offset:         96
        .size:           2
        .value_kind:     hidden_group_size_z
      - .offset:         98
        .size:           2
        .value_kind:     hidden_remainder_x
      - .offset:         100
        .size:           2
        .value_kind:     hidden_remainder_y
      - .offset:         102
        .size:           2
        .value_kind:     hidden_remainder_z
      - .offset:         120
        .size:           8
        .value_kind:     hidden_global_offset_x
      - .offset:         128
        .size:           8
        .value_kind:     hidden_global_offset_y
      - .offset:         136
        .size:           8
        .value_kind:     hidden_global_offset_z
      - .offset:         144
        .size:           2
        .value_kind:     hidden_grid_dims
    .group_segment_fixed_size: 0
    .kernarg_segment_align: 8
    .kernarg_segment_size: 336
    .language:       OpenCL C
    .language_version:
      - 2
      - 0
    .max_flat_workgroup_size: 256
    .name:           _ZN2at6native12_GLOBAL__N_143distribution_elementwise_grid_stride_kernelIjLi4EZZZNS0_9templates4cuda21random_from_to_kernelIPNS_17CUDAGeneratorImplEEEvRNS_18TensorIteratorBaseEmlT_ENKUlvE_clEvENKUlvE6_clEvEUlP25hiprandStatePhilox4_32_10E0_ZNS1_27distribution_nullary_kernelIbj15HIP_vector_typeIjLj4EES7_SF_ZZZNS5_IS7_EEvS9_mlSA_ENKSB_clEvENKSC_clEvEUljE_EEvS9_T2_RKT3_T4_EUlijE_EEvlNS_15PhiloxCudaStateET1_SK_
    .private_segment_fixed_size: 0
    .sgpr_count:     32
    .sgpr_spill_count: 0
    .symbol:         _ZN2at6native12_GLOBAL__N_143distribution_elementwise_grid_stride_kernelIjLi4EZZZNS0_9templates4cuda21random_from_to_kernelIPNS_17CUDAGeneratorImplEEEvRNS_18TensorIteratorBaseEmlT_ENKUlvE_clEvENKUlvE6_clEvEUlP25hiprandStatePhilox4_32_10E0_ZNS1_27distribution_nullary_kernelIbj15HIP_vector_typeIjLj4EES7_SF_ZZZNS5_IS7_EEvS9_mlSA_ENKSB_clEvENKSC_clEvEUljE_EEvS9_T2_RKT3_T4_EUlijE_EEvlNS_15PhiloxCudaStateET1_SK_.kd
    .uniform_work_group_size: 1
    .uses_dynamic_stack: false
    .vgpr_count:     47
    .vgpr_spill_count: 0
    .wavefront_size: 64
  - .agpr_count:     0
    .args:
      - .offset:         0
        .size:           8
        .value_kind:     by_value
      - .offset:         8
        .size:           32
        .value_kind:     by_value
      - .offset:         40
        .size:           1
        .value_kind:     by_value
      - .offset:         48
        .size:           288
        .value_kind:     by_value
      - .offset:         336
        .size:           4
        .value_kind:     hidden_block_count_x
      - .offset:         340
        .size:           4
        .value_kind:     hidden_block_count_y
      - .offset:         344
        .size:           4
        .value_kind:     hidden_block_count_z
      - .offset:         348
        .size:           2
        .value_kind:     hidden_group_size_x
      - .offset:         350
        .size:           2
        .value_kind:     hidden_group_size_y
      - .offset:         352
        .size:           2
        .value_kind:     hidden_group_size_z
      - .offset:         354
        .size:           2
        .value_kind:     hidden_remainder_x
      - .offset:         356
        .size:           2
        .value_kind:     hidden_remainder_y
      - .offset:         358
        .size:           2
        .value_kind:     hidden_remainder_z
      - .offset:         376
        .size:           8
        .value_kind:     hidden_global_offset_x
      - .offset:         384
        .size:           8
        .value_kind:     hidden_global_offset_y
      - .offset:         392
        .size:           8
        .value_kind:     hidden_global_offset_z
      - .offset:         400
        .size:           2
        .value_kind:     hidden_grid_dims
    .group_segment_fixed_size: 0
    .kernarg_segment_align: 8
    .kernarg_segment_size: 592
    .language:       OpenCL C
    .language_version:
      - 2
      - 0
    .max_flat_workgroup_size: 256
    .name:           _ZN2at6native12_GLOBAL__N_143distribution_elementwise_grid_stride_kernelIjLi4EZZZNS0_9templates4cuda21random_from_to_kernelIPNS_17CUDAGeneratorImplEEEvRNS_18TensorIteratorBaseEmlT_ENKUlvE_clEvENKUlvE6_clEvEUlP25hiprandStatePhilox4_32_10E0_ZNS1_27distribution_nullary_kernelIbj15HIP_vector_typeIjLj4EES7_SF_ZZZNS5_IS7_EEvS9_mlSA_ENKSB_clEvENKSC_clEvEUljE_EEvS9_T2_RKT3_T4_EUlijE0_EEvlNS_15PhiloxCudaStateET1_SK_
    .private_segment_fixed_size: 0
    .sgpr_count:     75
    .sgpr_spill_count: 0
    .symbol:         _ZN2at6native12_GLOBAL__N_143distribution_elementwise_grid_stride_kernelIjLi4EZZZNS0_9templates4cuda21random_from_to_kernelIPNS_17CUDAGeneratorImplEEEvRNS_18TensorIteratorBaseEmlT_ENKUlvE_clEvENKUlvE6_clEvEUlP25hiprandStatePhilox4_32_10E0_ZNS1_27distribution_nullary_kernelIbj15HIP_vector_typeIjLj4EES7_SF_ZZZNS5_IS7_EEvS9_mlSA_ENKSB_clEvENKSC_clEvEUljE_EEvS9_T2_RKT3_T4_EUlijE0_EEvlNS_15PhiloxCudaStateET1_SK_.kd
    .uniform_work_group_size: 1
    .uses_dynamic_stack: false
    .vgpr_count:     43
    .vgpr_spill_count: 0
    .wavefront_size: 64
  - .agpr_count:     0
    .args:
      - .offset:         0
        .size:           8
        .value_kind:     by_value
      - .offset:         8
        .size:           32
        .value_kind:     by_value
      - .offset:         40
        .size:           1
        .value_kind:     by_value
      - .offset:         48
        .size:           32
        .value_kind:     by_value
      - .offset:         80
        .size:           4
        .value_kind:     hidden_block_count_x
      - .offset:         84
        .size:           4
        .value_kind:     hidden_block_count_y
      - .offset:         88
        .size:           4
        .value_kind:     hidden_block_count_z
      - .offset:         92
        .size:           2
        .value_kind:     hidden_group_size_x
      - .offset:         94
        .size:           2
        .value_kind:     hidden_group_size_y
      - .offset:         96
        .size:           2
        .value_kind:     hidden_group_size_z
      - .offset:         98
        .size:           2
        .value_kind:     hidden_remainder_x
      - .offset:         100
        .size:           2
        .value_kind:     hidden_remainder_y
      - .offset:         102
        .size:           2
        .value_kind:     hidden_remainder_z
      - .offset:         120
        .size:           8
        .value_kind:     hidden_global_offset_x
      - .offset:         128
        .size:           8
        .value_kind:     hidden_global_offset_y
      - .offset:         136
        .size:           8
        .value_kind:     hidden_global_offset_z
      - .offset:         144
        .size:           2
        .value_kind:     hidden_grid_dims
    .group_segment_fixed_size: 0
    .kernarg_segment_align: 8
    .kernarg_segment_size: 336
    .language:       OpenCL C
    .language_version:
      - 2
      - 0
    .max_flat_workgroup_size: 256
    .name:           _ZN2at6native12_GLOBAL__N_143distribution_elementwise_grid_stride_kernelImLi2EZZZNS0_9templates4cuda21random_from_to_kernelIPNS_17CUDAGeneratorImplEEEvRNS_18TensorIteratorBaseEmlT_ENKUlvE_clEvENKUlvE7_clEvEUlP25hiprandStatePhilox4_32_10E_ZNS1_27distribution_nullary_kernelIN3c104HalfEm15HIP_vector_typeIyLj2EES7_SF_ZZZNS5_IS7_EEvS9_mlSA_ENKSB_clEvENKSC_clEvEUlmE_EEvS9_T2_RKT3_T4_EUlimE_EEvlNS_15PhiloxCudaStateET1_SM_
    .private_segment_fixed_size: 0
    .sgpr_count:     31
    .sgpr_spill_count: 0
    .symbol:         _ZN2at6native12_GLOBAL__N_143distribution_elementwise_grid_stride_kernelImLi2EZZZNS0_9templates4cuda21random_from_to_kernelIPNS_17CUDAGeneratorImplEEEvRNS_18TensorIteratorBaseEmlT_ENKUlvE_clEvENKUlvE7_clEvEUlP25hiprandStatePhilox4_32_10E_ZNS1_27distribution_nullary_kernelIN3c104HalfEm15HIP_vector_typeIyLj2EES7_SF_ZZZNS5_IS7_EEvS9_mlSA_ENKSB_clEvENKSC_clEvEUlmE_EEvS9_T2_RKT3_T4_EUlimE_EEvlNS_15PhiloxCudaStateET1_SM_.kd
    .uniform_work_group_size: 1
    .uses_dynamic_stack: false
    .vgpr_count:     48
    .vgpr_spill_count: 0
    .wavefront_size: 64
  - .agpr_count:     0
    .args:
      - .offset:         0
        .size:           8
        .value_kind:     by_value
      - .offset:         8
        .size:           32
        .value_kind:     by_value
      - .offset:         40
        .size:           1
        .value_kind:     by_value
      - .offset:         48
        .size:           288
        .value_kind:     by_value
      - .offset:         336
        .size:           4
        .value_kind:     hidden_block_count_x
      - .offset:         340
        .size:           4
        .value_kind:     hidden_block_count_y
      - .offset:         344
        .size:           4
        .value_kind:     hidden_block_count_z
      - .offset:         348
        .size:           2
        .value_kind:     hidden_group_size_x
      - .offset:         350
        .size:           2
        .value_kind:     hidden_group_size_y
      - .offset:         352
        .size:           2
        .value_kind:     hidden_group_size_z
      - .offset:         354
        .size:           2
        .value_kind:     hidden_remainder_x
      - .offset:         356
        .size:           2
        .value_kind:     hidden_remainder_y
      - .offset:         358
        .size:           2
        .value_kind:     hidden_remainder_z
      - .offset:         376
        .size:           8
        .value_kind:     hidden_global_offset_x
      - .offset:         384
        .size:           8
        .value_kind:     hidden_global_offset_y
      - .offset:         392
        .size:           8
        .value_kind:     hidden_global_offset_z
      - .offset:         400
        .size:           2
        .value_kind:     hidden_grid_dims
    .group_segment_fixed_size: 0
    .kernarg_segment_align: 8
    .kernarg_segment_size: 592
    .language:       OpenCL C
    .language_version:
      - 2
      - 0
    .max_flat_workgroup_size: 256
    .name:           _ZN2at6native12_GLOBAL__N_143distribution_elementwise_grid_stride_kernelImLi2EZZZNS0_9templates4cuda21random_from_to_kernelIPNS_17CUDAGeneratorImplEEEvRNS_18TensorIteratorBaseEmlT_ENKUlvE_clEvENKUlvE7_clEvEUlP25hiprandStatePhilox4_32_10E_ZNS1_27distribution_nullary_kernelIN3c104HalfEm15HIP_vector_typeIyLj2EES7_SF_ZZZNS5_IS7_EEvS9_mlSA_ENKSB_clEvENKSC_clEvEUlmE_EEvS9_T2_RKT3_T4_EUlimE0_EEvlNS_15PhiloxCudaStateET1_SM_
    .private_segment_fixed_size: 0
    .sgpr_count:     71
    .sgpr_spill_count: 0
    .symbol:         _ZN2at6native12_GLOBAL__N_143distribution_elementwise_grid_stride_kernelImLi2EZZZNS0_9templates4cuda21random_from_to_kernelIPNS_17CUDAGeneratorImplEEEvRNS_18TensorIteratorBaseEmlT_ENKUlvE_clEvENKUlvE7_clEvEUlP25hiprandStatePhilox4_32_10E_ZNS1_27distribution_nullary_kernelIN3c104HalfEm15HIP_vector_typeIyLj2EES7_SF_ZZZNS5_IS7_EEvS9_mlSA_ENKSB_clEvENKSC_clEvEUlmE_EEvS9_T2_RKT3_T4_EUlimE0_EEvlNS_15PhiloxCudaStateET1_SM_.kd
    .uniform_work_group_size: 1
    .uses_dynamic_stack: false
    .vgpr_count:     46
    .vgpr_spill_count: 0
    .wavefront_size: 64
  - .agpr_count:     0
    .args:
      - .offset:         0
        .size:           8
        .value_kind:     by_value
      - .offset:         8
        .size:           32
        .value_kind:     by_value
      - .offset:         40
        .size:           1
        .value_kind:     by_value
      - .offset:         48
        .size:           32
        .value_kind:     by_value
      - .offset:         80
        .size:           4
        .value_kind:     hidden_block_count_x
      - .offset:         84
        .size:           4
        .value_kind:     hidden_block_count_y
      - .offset:         88
        .size:           4
        .value_kind:     hidden_block_count_z
      - .offset:         92
        .size:           2
        .value_kind:     hidden_group_size_x
      - .offset:         94
        .size:           2
        .value_kind:     hidden_group_size_y
      - .offset:         96
        .size:           2
        .value_kind:     hidden_group_size_z
      - .offset:         98
        .size:           2
        .value_kind:     hidden_remainder_x
      - .offset:         100
        .size:           2
        .value_kind:     hidden_remainder_y
      - .offset:         102
        .size:           2
        .value_kind:     hidden_remainder_z
      - .offset:         120
        .size:           8
        .value_kind:     hidden_global_offset_x
      - .offset:         128
        .size:           8
        .value_kind:     hidden_global_offset_y
      - .offset:         136
        .size:           8
        .value_kind:     hidden_global_offset_z
      - .offset:         144
        .size:           2
        .value_kind:     hidden_grid_dims
    .group_segment_fixed_size: 0
    .kernarg_segment_align: 8
    .kernarg_segment_size: 336
    .language:       OpenCL C
    .language_version:
      - 2
      - 0
    .max_flat_workgroup_size: 256
    .name:           _ZN2at6native12_GLOBAL__N_143distribution_elementwise_grid_stride_kernelIjLi4EZZZNS0_9templates4cuda21random_from_to_kernelIPNS_17CUDAGeneratorImplEEEvRNS_18TensorIteratorBaseEmlT_ENKUlvE_clEvENKUlvE7_clEvEUlP25hiprandStatePhilox4_32_10E0_ZNS1_27distribution_nullary_kernelIN3c104HalfEj15HIP_vector_typeIjLj4EES7_SF_ZZZNS5_IS7_EEvS9_mlSA_ENKSB_clEvENKSC_clEvEUljE_EEvS9_T2_RKT3_T4_EUlijE_EEvlNS_15PhiloxCudaStateET1_SM_
    .private_segment_fixed_size: 0
    .sgpr_count:     32
    .sgpr_spill_count: 0
    .symbol:         _ZN2at6native12_GLOBAL__N_143distribution_elementwise_grid_stride_kernelIjLi4EZZZNS0_9templates4cuda21random_from_to_kernelIPNS_17CUDAGeneratorImplEEEvRNS_18TensorIteratorBaseEmlT_ENKUlvE_clEvENKUlvE7_clEvEUlP25hiprandStatePhilox4_32_10E0_ZNS1_27distribution_nullary_kernelIN3c104HalfEj15HIP_vector_typeIjLj4EES7_SF_ZZZNS5_IS7_EEvS9_mlSA_ENKSB_clEvENKSC_clEvEUljE_EEvS9_T2_RKT3_T4_EUlijE_EEvlNS_15PhiloxCudaStateET1_SM_.kd
    .uniform_work_group_size: 1
    .uses_dynamic_stack: false
    .vgpr_count:     47
    .vgpr_spill_count: 0
    .wavefront_size: 64
  - .agpr_count:     0
    .args:
      - .offset:         0
        .size:           8
        .value_kind:     by_value
      - .offset:         8
        .size:           32
        .value_kind:     by_value
      - .offset:         40
        .size:           1
        .value_kind:     by_value
      - .offset:         48
        .size:           288
        .value_kind:     by_value
      - .offset:         336
        .size:           4
        .value_kind:     hidden_block_count_x
      - .offset:         340
        .size:           4
        .value_kind:     hidden_block_count_y
      - .offset:         344
        .size:           4
        .value_kind:     hidden_block_count_z
      - .offset:         348
        .size:           2
        .value_kind:     hidden_group_size_x
      - .offset:         350
        .size:           2
        .value_kind:     hidden_group_size_y
      - .offset:         352
        .size:           2
        .value_kind:     hidden_group_size_z
      - .offset:         354
        .size:           2
        .value_kind:     hidden_remainder_x
      - .offset:         356
        .size:           2
        .value_kind:     hidden_remainder_y
      - .offset:         358
        .size:           2
        .value_kind:     hidden_remainder_z
      - .offset:         376
        .size:           8
        .value_kind:     hidden_global_offset_x
      - .offset:         384
        .size:           8
        .value_kind:     hidden_global_offset_y
      - .offset:         392
        .size:           8
        .value_kind:     hidden_global_offset_z
      - .offset:         400
        .size:           2
        .value_kind:     hidden_grid_dims
    .group_segment_fixed_size: 0
    .kernarg_segment_align: 8
    .kernarg_segment_size: 592
    .language:       OpenCL C
    .language_version:
      - 2
      - 0
    .max_flat_workgroup_size: 256
    .name:           _ZN2at6native12_GLOBAL__N_143distribution_elementwise_grid_stride_kernelIjLi4EZZZNS0_9templates4cuda21random_from_to_kernelIPNS_17CUDAGeneratorImplEEEvRNS_18TensorIteratorBaseEmlT_ENKUlvE_clEvENKUlvE7_clEvEUlP25hiprandStatePhilox4_32_10E0_ZNS1_27distribution_nullary_kernelIN3c104HalfEj15HIP_vector_typeIjLj4EES7_SF_ZZZNS5_IS7_EEvS9_mlSA_ENKSB_clEvENKSC_clEvEUljE_EEvS9_T2_RKT3_T4_EUlijE0_EEvlNS_15PhiloxCudaStateET1_SM_
    .private_segment_fixed_size: 0
    .sgpr_count:     75
    .sgpr_spill_count: 0
    .symbol:         _ZN2at6native12_GLOBAL__N_143distribution_elementwise_grid_stride_kernelIjLi4EZZZNS0_9templates4cuda21random_from_to_kernelIPNS_17CUDAGeneratorImplEEEvRNS_18TensorIteratorBaseEmlT_ENKUlvE_clEvENKUlvE7_clEvEUlP25hiprandStatePhilox4_32_10E0_ZNS1_27distribution_nullary_kernelIN3c104HalfEj15HIP_vector_typeIjLj4EES7_SF_ZZZNS5_IS7_EEvS9_mlSA_ENKSB_clEvENKSC_clEvEUljE_EEvS9_T2_RKT3_T4_EUlijE0_EEvlNS_15PhiloxCudaStateET1_SM_.kd
    .uniform_work_group_size: 1
    .uses_dynamic_stack: false
    .vgpr_count:     43
    .vgpr_spill_count: 0
    .wavefront_size: 64
  - .agpr_count:     0
    .args:
      - .offset:         0
        .size:           8
        .value_kind:     by_value
      - .offset:         8
        .size:           32
        .value_kind:     by_value
      - .offset:         40
        .size:           1
        .value_kind:     by_value
      - .offset:         48
        .size:           32
        .value_kind:     by_value
      - .offset:         80
        .size:           4
        .value_kind:     hidden_block_count_x
      - .offset:         84
        .size:           4
        .value_kind:     hidden_block_count_y
      - .offset:         88
        .size:           4
        .value_kind:     hidden_block_count_z
      - .offset:         92
        .size:           2
        .value_kind:     hidden_group_size_x
      - .offset:         94
        .size:           2
        .value_kind:     hidden_group_size_y
      - .offset:         96
        .size:           2
        .value_kind:     hidden_group_size_z
      - .offset:         98
        .size:           2
        .value_kind:     hidden_remainder_x
      - .offset:         100
        .size:           2
        .value_kind:     hidden_remainder_y
      - .offset:         102
        .size:           2
        .value_kind:     hidden_remainder_z
      - .offset:         120
        .size:           8
        .value_kind:     hidden_global_offset_x
      - .offset:         128
        .size:           8
        .value_kind:     hidden_global_offset_y
      - .offset:         136
        .size:           8
        .value_kind:     hidden_global_offset_z
      - .offset:         144
        .size:           2
        .value_kind:     hidden_grid_dims
    .group_segment_fixed_size: 0
    .kernarg_segment_align: 8
    .kernarg_segment_size: 336
    .language:       OpenCL C
    .language_version:
      - 2
      - 0
    .max_flat_workgroup_size: 256
    .name:           _ZN2at6native12_GLOBAL__N_143distribution_elementwise_grid_stride_kernelImLi2EZZZNS0_9templates4cuda21random_from_to_kernelIPNS_17CUDAGeneratorImplEEEvRNS_18TensorIteratorBaseEmlT_ENKUlvE_clEvENKUlvE8_clEvEUlP25hiprandStatePhilox4_32_10E_ZNS1_27distribution_nullary_kernelIN3c108BFloat16Em15HIP_vector_typeIyLj2EES7_SF_ZZZNS5_IS7_EEvS9_mlSA_ENKSB_clEvENKSC_clEvEUlmE_EEvS9_T2_RKT3_T4_EUlimE_EEvlNS_15PhiloxCudaStateET1_SM_
    .private_segment_fixed_size: 0
    .sgpr_count:     32
    .sgpr_spill_count: 0
    .symbol:         _ZN2at6native12_GLOBAL__N_143distribution_elementwise_grid_stride_kernelImLi2EZZZNS0_9templates4cuda21random_from_to_kernelIPNS_17CUDAGeneratorImplEEEvRNS_18TensorIteratorBaseEmlT_ENKUlvE_clEvENKUlvE8_clEvEUlP25hiprandStatePhilox4_32_10E_ZNS1_27distribution_nullary_kernelIN3c108BFloat16Em15HIP_vector_typeIyLj2EES7_SF_ZZZNS5_IS7_EEvS9_mlSA_ENKSB_clEvENKSC_clEvEUlmE_EEvS9_T2_RKT3_T4_EUlimE_EEvlNS_15PhiloxCudaStateET1_SM_.kd
    .uniform_work_group_size: 1
    .uses_dynamic_stack: false
    .vgpr_count:     48
    .vgpr_spill_count: 0
    .wavefront_size: 64
  - .agpr_count:     0
    .args:
      - .offset:         0
        .size:           8
        .value_kind:     by_value
      - .offset:         8
        .size:           32
        .value_kind:     by_value
      - .offset:         40
        .size:           1
        .value_kind:     by_value
      - .offset:         48
        .size:           288
        .value_kind:     by_value
      - .offset:         336
        .size:           4
        .value_kind:     hidden_block_count_x
      - .offset:         340
        .size:           4
        .value_kind:     hidden_block_count_y
      - .offset:         344
        .size:           4
        .value_kind:     hidden_block_count_z
      - .offset:         348
        .size:           2
        .value_kind:     hidden_group_size_x
      - .offset:         350
        .size:           2
        .value_kind:     hidden_group_size_y
      - .offset:         352
        .size:           2
        .value_kind:     hidden_group_size_z
      - .offset:         354
        .size:           2
        .value_kind:     hidden_remainder_x
      - .offset:         356
        .size:           2
        .value_kind:     hidden_remainder_y
      - .offset:         358
        .size:           2
        .value_kind:     hidden_remainder_z
      - .offset:         376
        .size:           8
        .value_kind:     hidden_global_offset_x
      - .offset:         384
        .size:           8
        .value_kind:     hidden_global_offset_y
      - .offset:         392
        .size:           8
        .value_kind:     hidden_global_offset_z
      - .offset:         400
        .size:           2
        .value_kind:     hidden_grid_dims
    .group_segment_fixed_size: 0
    .kernarg_segment_align: 8
    .kernarg_segment_size: 592
    .language:       OpenCL C
    .language_version:
      - 2
      - 0
    .max_flat_workgroup_size: 256
    .name:           _ZN2at6native12_GLOBAL__N_143distribution_elementwise_grid_stride_kernelImLi2EZZZNS0_9templates4cuda21random_from_to_kernelIPNS_17CUDAGeneratorImplEEEvRNS_18TensorIteratorBaseEmlT_ENKUlvE_clEvENKUlvE8_clEvEUlP25hiprandStatePhilox4_32_10E_ZNS1_27distribution_nullary_kernelIN3c108BFloat16Em15HIP_vector_typeIyLj2EES7_SF_ZZZNS5_IS7_EEvS9_mlSA_ENKSB_clEvENKSC_clEvEUlmE_EEvS9_T2_RKT3_T4_EUlimE0_EEvlNS_15PhiloxCudaStateET1_SM_
    .private_segment_fixed_size: 0
    .sgpr_count:     72
    .sgpr_spill_count: 0
    .symbol:         _ZN2at6native12_GLOBAL__N_143distribution_elementwise_grid_stride_kernelImLi2EZZZNS0_9templates4cuda21random_from_to_kernelIPNS_17CUDAGeneratorImplEEEvRNS_18TensorIteratorBaseEmlT_ENKUlvE_clEvENKUlvE8_clEvEUlP25hiprandStatePhilox4_32_10E_ZNS1_27distribution_nullary_kernelIN3c108BFloat16Em15HIP_vector_typeIyLj2EES7_SF_ZZZNS5_IS7_EEvS9_mlSA_ENKSB_clEvENKSC_clEvEUlmE_EEvS9_T2_RKT3_T4_EUlimE0_EEvlNS_15PhiloxCudaStateET1_SM_.kd
    .uniform_work_group_size: 1
    .uses_dynamic_stack: false
    .vgpr_count:     46
    .vgpr_spill_count: 0
    .wavefront_size: 64
  - .agpr_count:     0
    .args:
      - .offset:         0
        .size:           8
        .value_kind:     by_value
      - .offset:         8
        .size:           32
        .value_kind:     by_value
      - .offset:         40
        .size:           1
        .value_kind:     by_value
      - .offset:         48
        .size:           32
        .value_kind:     by_value
      - .offset:         80
        .size:           4
        .value_kind:     hidden_block_count_x
      - .offset:         84
        .size:           4
        .value_kind:     hidden_block_count_y
      - .offset:         88
        .size:           4
        .value_kind:     hidden_block_count_z
      - .offset:         92
        .size:           2
        .value_kind:     hidden_group_size_x
      - .offset:         94
        .size:           2
        .value_kind:     hidden_group_size_y
      - .offset:         96
        .size:           2
        .value_kind:     hidden_group_size_z
      - .offset:         98
        .size:           2
        .value_kind:     hidden_remainder_x
      - .offset:         100
        .size:           2
        .value_kind:     hidden_remainder_y
      - .offset:         102
        .size:           2
        .value_kind:     hidden_remainder_z
      - .offset:         120
        .size:           8
        .value_kind:     hidden_global_offset_x
      - .offset:         128
        .size:           8
        .value_kind:     hidden_global_offset_y
      - .offset:         136
        .size:           8
        .value_kind:     hidden_global_offset_z
      - .offset:         144
        .size:           2
        .value_kind:     hidden_grid_dims
    .group_segment_fixed_size: 0
    .kernarg_segment_align: 8
    .kernarg_segment_size: 336
    .language:       OpenCL C
    .language_version:
      - 2
      - 0
    .max_flat_workgroup_size: 256
    .name:           _ZN2at6native12_GLOBAL__N_143distribution_elementwise_grid_stride_kernelIjLi4EZZZNS0_9templates4cuda21random_from_to_kernelIPNS_17CUDAGeneratorImplEEEvRNS_18TensorIteratorBaseEmlT_ENKUlvE_clEvENKUlvE8_clEvEUlP25hiprandStatePhilox4_32_10E0_ZNS1_27distribution_nullary_kernelIN3c108BFloat16Ej15HIP_vector_typeIjLj4EES7_SF_ZZZNS5_IS7_EEvS9_mlSA_ENKSB_clEvENKSC_clEvEUljE_EEvS9_T2_RKT3_T4_EUlijE_EEvlNS_15PhiloxCudaStateET1_SM_
    .private_segment_fixed_size: 0
    .sgpr_count:     33
    .sgpr_spill_count: 0
    .symbol:         _ZN2at6native12_GLOBAL__N_143distribution_elementwise_grid_stride_kernelIjLi4EZZZNS0_9templates4cuda21random_from_to_kernelIPNS_17CUDAGeneratorImplEEEvRNS_18TensorIteratorBaseEmlT_ENKUlvE_clEvENKUlvE8_clEvEUlP25hiprandStatePhilox4_32_10E0_ZNS1_27distribution_nullary_kernelIN3c108BFloat16Ej15HIP_vector_typeIjLj4EES7_SF_ZZZNS5_IS7_EEvS9_mlSA_ENKSB_clEvENKSC_clEvEUljE_EEvS9_T2_RKT3_T4_EUlijE_EEvlNS_15PhiloxCudaStateET1_SM_.kd
    .uniform_work_group_size: 1
    .uses_dynamic_stack: false
    .vgpr_count:     47
    .vgpr_spill_count: 0
    .wavefront_size: 64
  - .agpr_count:     0
    .args:
      - .offset:         0
        .size:           8
        .value_kind:     by_value
      - .offset:         8
        .size:           32
        .value_kind:     by_value
      - .offset:         40
        .size:           1
        .value_kind:     by_value
      - .offset:         48
        .size:           288
        .value_kind:     by_value
      - .offset:         336
        .size:           4
        .value_kind:     hidden_block_count_x
      - .offset:         340
        .size:           4
        .value_kind:     hidden_block_count_y
      - .offset:         344
        .size:           4
        .value_kind:     hidden_block_count_z
      - .offset:         348
        .size:           2
        .value_kind:     hidden_group_size_x
      - .offset:         350
        .size:           2
        .value_kind:     hidden_group_size_y
      - .offset:         352
        .size:           2
        .value_kind:     hidden_group_size_z
      - .offset:         354
        .size:           2
        .value_kind:     hidden_remainder_x
      - .offset:         356
        .size:           2
        .value_kind:     hidden_remainder_y
      - .offset:         358
        .size:           2
        .value_kind:     hidden_remainder_z
      - .offset:         376
        .size:           8
        .value_kind:     hidden_global_offset_x
      - .offset:         384
        .size:           8
        .value_kind:     hidden_global_offset_y
      - .offset:         392
        .size:           8
        .value_kind:     hidden_global_offset_z
      - .offset:         400
        .size:           2
        .value_kind:     hidden_grid_dims
    .group_segment_fixed_size: 0
    .kernarg_segment_align: 8
    .kernarg_segment_size: 592
    .language:       OpenCL C
    .language_version:
      - 2
      - 0
    .max_flat_workgroup_size: 256
    .name:           _ZN2at6native12_GLOBAL__N_143distribution_elementwise_grid_stride_kernelIjLi4EZZZNS0_9templates4cuda21random_from_to_kernelIPNS_17CUDAGeneratorImplEEEvRNS_18TensorIteratorBaseEmlT_ENKUlvE_clEvENKUlvE8_clEvEUlP25hiprandStatePhilox4_32_10E0_ZNS1_27distribution_nullary_kernelIN3c108BFloat16Ej15HIP_vector_typeIjLj4EES7_SF_ZZZNS5_IS7_EEvS9_mlSA_ENKSB_clEvENKSC_clEvEUljE_EEvS9_T2_RKT3_T4_EUlijE0_EEvlNS_15PhiloxCudaStateET1_SM_
    .private_segment_fixed_size: 0
    .sgpr_count:     76
    .sgpr_spill_count: 0
    .symbol:         _ZN2at6native12_GLOBAL__N_143distribution_elementwise_grid_stride_kernelIjLi4EZZZNS0_9templates4cuda21random_from_to_kernelIPNS_17CUDAGeneratorImplEEEvRNS_18TensorIteratorBaseEmlT_ENKUlvE_clEvENKUlvE8_clEvEUlP25hiprandStatePhilox4_32_10E0_ZNS1_27distribution_nullary_kernelIN3c108BFloat16Ej15HIP_vector_typeIjLj4EES7_SF_ZZZNS5_IS7_EEvS9_mlSA_ENKSB_clEvENKSC_clEvEUljE_EEvS9_T2_RKT3_T4_EUlijE0_EEvlNS_15PhiloxCudaStateET1_SM_.kd
    .uniform_work_group_size: 1
    .uses_dynamic_stack: false
    .vgpr_count:     43
    .vgpr_spill_count: 0
    .wavefront_size: 64
  - .agpr_count:     0
    .args:
      - .offset:         0
        .size:           8
        .value_kind:     by_value
      - .offset:         8
        .size:           32
        .value_kind:     by_value
      - .offset:         40
        .size:           1
        .value_kind:     by_value
      - .offset:         48
        .size:           32
        .value_kind:     by_value
      - .offset:         80
        .size:           4
        .value_kind:     hidden_block_count_x
      - .offset:         84
        .size:           4
        .value_kind:     hidden_block_count_y
      - .offset:         88
        .size:           4
        .value_kind:     hidden_block_count_z
      - .offset:         92
        .size:           2
        .value_kind:     hidden_group_size_x
      - .offset:         94
        .size:           2
        .value_kind:     hidden_group_size_y
      - .offset:         96
        .size:           2
        .value_kind:     hidden_group_size_z
      - .offset:         98
        .size:           2
        .value_kind:     hidden_remainder_x
      - .offset:         100
        .size:           2
        .value_kind:     hidden_remainder_y
      - .offset:         102
        .size:           2
        .value_kind:     hidden_remainder_z
      - .offset:         120
        .size:           8
        .value_kind:     hidden_global_offset_x
      - .offset:         128
        .size:           8
        .value_kind:     hidden_global_offset_y
      - .offset:         136
        .size:           8
        .value_kind:     hidden_global_offset_z
      - .offset:         144
        .size:           2
        .value_kind:     hidden_grid_dims
    .group_segment_fixed_size: 0
    .kernarg_segment_align: 8
    .kernarg_segment_size: 336
    .language:       OpenCL C
    .language_version:
      - 2
      - 0
    .max_flat_workgroup_size: 256
    .name:           _ZN2at6native12_GLOBAL__N_143distribution_elementwise_grid_stride_kernelImLi2EZZZNS0_9templates4cuda21random_from_to_kernelIPNS_17CUDAGeneratorImplEEEvRNS_18TensorIteratorBaseEmlT_ENKUlvE_clEvENKUlvE9_clEvEUlP25hiprandStatePhilox4_32_10E_ZNS1_27distribution_nullary_kernelItm15HIP_vector_typeIyLj2EES7_SF_ZZZNS5_IS7_EEvS9_mlSA_ENKSB_clEvENKSC_clEvEUlmE_EEvS9_T2_RKT3_T4_EUlimE_EEvlNS_15PhiloxCudaStateET1_SK_
    .private_segment_fixed_size: 0
    .sgpr_count:     28
    .sgpr_spill_count: 0
    .symbol:         _ZN2at6native12_GLOBAL__N_143distribution_elementwise_grid_stride_kernelImLi2EZZZNS0_9templates4cuda21random_from_to_kernelIPNS_17CUDAGeneratorImplEEEvRNS_18TensorIteratorBaseEmlT_ENKUlvE_clEvENKUlvE9_clEvEUlP25hiprandStatePhilox4_32_10E_ZNS1_27distribution_nullary_kernelItm15HIP_vector_typeIyLj2EES7_SF_ZZZNS5_IS7_EEvS9_mlSA_ENKSB_clEvENKSC_clEvEUlmE_EEvS9_T2_RKT3_T4_EUlimE_EEvlNS_15PhiloxCudaStateET1_SK_.kd
    .uniform_work_group_size: 1
    .uses_dynamic_stack: false
    .vgpr_count:     48
    .vgpr_spill_count: 0
    .wavefront_size: 64
  - .agpr_count:     0
    .args:
      - .offset:         0
        .size:           8
        .value_kind:     by_value
      - .offset:         8
        .size:           32
        .value_kind:     by_value
      - .offset:         40
        .size:           1
        .value_kind:     by_value
      - .offset:         48
        .size:           288
        .value_kind:     by_value
      - .offset:         336
        .size:           4
        .value_kind:     hidden_block_count_x
      - .offset:         340
        .size:           4
        .value_kind:     hidden_block_count_y
      - .offset:         344
        .size:           4
        .value_kind:     hidden_block_count_z
      - .offset:         348
        .size:           2
        .value_kind:     hidden_group_size_x
      - .offset:         350
        .size:           2
        .value_kind:     hidden_group_size_y
      - .offset:         352
        .size:           2
        .value_kind:     hidden_group_size_z
      - .offset:         354
        .size:           2
        .value_kind:     hidden_remainder_x
      - .offset:         356
        .size:           2
        .value_kind:     hidden_remainder_y
      - .offset:         358
        .size:           2
        .value_kind:     hidden_remainder_z
      - .offset:         376
        .size:           8
        .value_kind:     hidden_global_offset_x
      - .offset:         384
        .size:           8
        .value_kind:     hidden_global_offset_y
      - .offset:         392
        .size:           8
        .value_kind:     hidden_global_offset_z
      - .offset:         400
        .size:           2
        .value_kind:     hidden_grid_dims
    .group_segment_fixed_size: 0
    .kernarg_segment_align: 8
    .kernarg_segment_size: 592
    .language:       OpenCL C
    .language_version:
      - 2
      - 0
    .max_flat_workgroup_size: 256
    .name:           _ZN2at6native12_GLOBAL__N_143distribution_elementwise_grid_stride_kernelImLi2EZZZNS0_9templates4cuda21random_from_to_kernelIPNS_17CUDAGeneratorImplEEEvRNS_18TensorIteratorBaseEmlT_ENKUlvE_clEvENKUlvE9_clEvEUlP25hiprandStatePhilox4_32_10E_ZNS1_27distribution_nullary_kernelItm15HIP_vector_typeIyLj2EES7_SF_ZZZNS5_IS7_EEvS9_mlSA_ENKSB_clEvENKSC_clEvEUlmE_EEvS9_T2_RKT3_T4_EUlimE0_EEvlNS_15PhiloxCudaStateET1_SK_
    .private_segment_fixed_size: 0
    .sgpr_count:     70
    .sgpr_spill_count: 0
    .symbol:         _ZN2at6native12_GLOBAL__N_143distribution_elementwise_grid_stride_kernelImLi2EZZZNS0_9templates4cuda21random_from_to_kernelIPNS_17CUDAGeneratorImplEEEvRNS_18TensorIteratorBaseEmlT_ENKUlvE_clEvENKUlvE9_clEvEUlP25hiprandStatePhilox4_32_10E_ZNS1_27distribution_nullary_kernelItm15HIP_vector_typeIyLj2EES7_SF_ZZZNS5_IS7_EEvS9_mlSA_ENKSB_clEvENKSC_clEvEUlmE_EEvS9_T2_RKT3_T4_EUlimE0_EEvlNS_15PhiloxCudaStateET1_SK_.kd
    .uniform_work_group_size: 1
    .uses_dynamic_stack: false
    .vgpr_count:     46
    .vgpr_spill_count: 0
    .wavefront_size: 64
  - .agpr_count:     0
    .args:
      - .offset:         0
        .size:           8
        .value_kind:     by_value
      - .offset:         8
        .size:           32
        .value_kind:     by_value
      - .offset:         40
        .size:           1
        .value_kind:     by_value
      - .offset:         48
        .size:           32
        .value_kind:     by_value
      - .offset:         80
        .size:           4
        .value_kind:     hidden_block_count_x
      - .offset:         84
        .size:           4
        .value_kind:     hidden_block_count_y
      - .offset:         88
        .size:           4
        .value_kind:     hidden_block_count_z
      - .offset:         92
        .size:           2
        .value_kind:     hidden_group_size_x
      - .offset:         94
        .size:           2
        .value_kind:     hidden_group_size_y
      - .offset:         96
        .size:           2
        .value_kind:     hidden_group_size_z
      - .offset:         98
        .size:           2
        .value_kind:     hidden_remainder_x
      - .offset:         100
        .size:           2
        .value_kind:     hidden_remainder_y
      - .offset:         102
        .size:           2
        .value_kind:     hidden_remainder_z
      - .offset:         120
        .size:           8
        .value_kind:     hidden_global_offset_x
      - .offset:         128
        .size:           8
        .value_kind:     hidden_global_offset_y
      - .offset:         136
        .size:           8
        .value_kind:     hidden_global_offset_z
      - .offset:         144
        .size:           2
        .value_kind:     hidden_grid_dims
    .group_segment_fixed_size: 0
    .kernarg_segment_align: 8
    .kernarg_segment_size: 336
    .language:       OpenCL C
    .language_version:
      - 2
      - 0
    .max_flat_workgroup_size: 256
    .name:           _ZN2at6native12_GLOBAL__N_143distribution_elementwise_grid_stride_kernelIjLi4EZZZNS0_9templates4cuda21random_from_to_kernelIPNS_17CUDAGeneratorImplEEEvRNS_18TensorIteratorBaseEmlT_ENKUlvE_clEvENKUlvE9_clEvEUlP25hiprandStatePhilox4_32_10E0_ZNS1_27distribution_nullary_kernelItj15HIP_vector_typeIjLj4EES7_SF_ZZZNS5_IS7_EEvS9_mlSA_ENKSB_clEvENKSC_clEvEUljE_EEvS9_T2_RKT3_T4_EUlijE_EEvlNS_15PhiloxCudaStateET1_SK_
    .private_segment_fixed_size: 0
    .sgpr_count:     31
    .sgpr_spill_count: 0
    .symbol:         _ZN2at6native12_GLOBAL__N_143distribution_elementwise_grid_stride_kernelIjLi4EZZZNS0_9templates4cuda21random_from_to_kernelIPNS_17CUDAGeneratorImplEEEvRNS_18TensorIteratorBaseEmlT_ENKUlvE_clEvENKUlvE9_clEvEUlP25hiprandStatePhilox4_32_10E0_ZNS1_27distribution_nullary_kernelItj15HIP_vector_typeIjLj4EES7_SF_ZZZNS5_IS7_EEvS9_mlSA_ENKSB_clEvENKSC_clEvEUljE_EEvS9_T2_RKT3_T4_EUlijE_EEvlNS_15PhiloxCudaStateET1_SK_.kd
    .uniform_work_group_size: 1
    .uses_dynamic_stack: false
    .vgpr_count:     47
    .vgpr_spill_count: 0
    .wavefront_size: 64
  - .agpr_count:     0
    .args:
      - .offset:         0
        .size:           8
        .value_kind:     by_value
      - .offset:         8
        .size:           32
        .value_kind:     by_value
      - .offset:         40
        .size:           1
        .value_kind:     by_value
      - .offset:         48
        .size:           288
        .value_kind:     by_value
      - .offset:         336
        .size:           4
        .value_kind:     hidden_block_count_x
      - .offset:         340
        .size:           4
        .value_kind:     hidden_block_count_y
      - .offset:         344
        .size:           4
        .value_kind:     hidden_block_count_z
      - .offset:         348
        .size:           2
        .value_kind:     hidden_group_size_x
      - .offset:         350
        .size:           2
        .value_kind:     hidden_group_size_y
      - .offset:         352
        .size:           2
        .value_kind:     hidden_group_size_z
      - .offset:         354
        .size:           2
        .value_kind:     hidden_remainder_x
      - .offset:         356
        .size:           2
        .value_kind:     hidden_remainder_y
      - .offset:         358
        .size:           2
        .value_kind:     hidden_remainder_z
      - .offset:         376
        .size:           8
        .value_kind:     hidden_global_offset_x
      - .offset:         384
        .size:           8
        .value_kind:     hidden_global_offset_y
      - .offset:         392
        .size:           8
        .value_kind:     hidden_global_offset_z
      - .offset:         400
        .size:           2
        .value_kind:     hidden_grid_dims
    .group_segment_fixed_size: 0
    .kernarg_segment_align: 8
    .kernarg_segment_size: 592
    .language:       OpenCL C
    .language_version:
      - 2
      - 0
    .max_flat_workgroup_size: 256
    .name:           _ZN2at6native12_GLOBAL__N_143distribution_elementwise_grid_stride_kernelIjLi4EZZZNS0_9templates4cuda21random_from_to_kernelIPNS_17CUDAGeneratorImplEEEvRNS_18TensorIteratorBaseEmlT_ENKUlvE_clEvENKUlvE9_clEvEUlP25hiprandStatePhilox4_32_10E0_ZNS1_27distribution_nullary_kernelItj15HIP_vector_typeIjLj4EES7_SF_ZZZNS5_IS7_EEvS9_mlSA_ENKSB_clEvENKSC_clEvEUljE_EEvS9_T2_RKT3_T4_EUlijE0_EEvlNS_15PhiloxCudaStateET1_SK_
    .private_segment_fixed_size: 0
    .sgpr_count:     74
    .sgpr_spill_count: 0
    .symbol:         _ZN2at6native12_GLOBAL__N_143distribution_elementwise_grid_stride_kernelIjLi4EZZZNS0_9templates4cuda21random_from_to_kernelIPNS_17CUDAGeneratorImplEEEvRNS_18TensorIteratorBaseEmlT_ENKUlvE_clEvENKUlvE9_clEvEUlP25hiprandStatePhilox4_32_10E0_ZNS1_27distribution_nullary_kernelItj15HIP_vector_typeIjLj4EES7_SF_ZZZNS5_IS7_EEvS9_mlSA_ENKSB_clEvENKSC_clEvEUljE_EEvS9_T2_RKT3_T4_EUlijE0_EEvlNS_15PhiloxCudaStateET1_SK_.kd
    .uniform_work_group_size: 1
    .uses_dynamic_stack: false
    .vgpr_count:     43
    .vgpr_spill_count: 0
    .wavefront_size: 64
  - .agpr_count:     0
    .args:
      - .offset:         0
        .size:           8
        .value_kind:     by_value
      - .offset:         8
        .size:           32
        .value_kind:     by_value
      - .offset:         40
        .size:           1
        .value_kind:     by_value
      - .offset:         48
        .size:           32
        .value_kind:     by_value
      - .offset:         80
        .size:           4
        .value_kind:     hidden_block_count_x
      - .offset:         84
        .size:           4
        .value_kind:     hidden_block_count_y
      - .offset:         88
        .size:           4
        .value_kind:     hidden_block_count_z
      - .offset:         92
        .size:           2
        .value_kind:     hidden_group_size_x
      - .offset:         94
        .size:           2
        .value_kind:     hidden_group_size_y
      - .offset:         96
        .size:           2
        .value_kind:     hidden_group_size_z
      - .offset:         98
        .size:           2
        .value_kind:     hidden_remainder_x
      - .offset:         100
        .size:           2
        .value_kind:     hidden_remainder_y
      - .offset:         102
        .size:           2
        .value_kind:     hidden_remainder_z
      - .offset:         120
        .size:           8
        .value_kind:     hidden_global_offset_x
      - .offset:         128
        .size:           8
        .value_kind:     hidden_global_offset_y
      - .offset:         136
        .size:           8
        .value_kind:     hidden_global_offset_z
      - .offset:         144
        .size:           2
        .value_kind:     hidden_grid_dims
    .group_segment_fixed_size: 0
    .kernarg_segment_align: 8
    .kernarg_segment_size: 336
    .language:       OpenCL C
    .language_version:
      - 2
      - 0
    .max_flat_workgroup_size: 256
    .name:           _ZN2at6native12_GLOBAL__N_143distribution_elementwise_grid_stride_kernelImLi2EZZZNS0_9templates4cuda21random_from_to_kernelIPNS_17CUDAGeneratorImplEEEvRNS_18TensorIteratorBaseEmlT_ENKUlvE_clEvENKUlvE10_clEvEUlP25hiprandStatePhilox4_32_10E_ZNS1_27distribution_nullary_kernelIjm15HIP_vector_typeIyLj2EES7_SF_ZZZNS5_IS7_EEvS9_mlSA_ENKSB_clEvENKSC_clEvEUlmE_EEvS9_T2_RKT3_T4_EUlimE_EEvlNS_15PhiloxCudaStateET1_SK_
    .private_segment_fixed_size: 0
    .sgpr_count:     28
    .sgpr_spill_count: 0
    .symbol:         _ZN2at6native12_GLOBAL__N_143distribution_elementwise_grid_stride_kernelImLi2EZZZNS0_9templates4cuda21random_from_to_kernelIPNS_17CUDAGeneratorImplEEEvRNS_18TensorIteratorBaseEmlT_ENKUlvE_clEvENKUlvE10_clEvEUlP25hiprandStatePhilox4_32_10E_ZNS1_27distribution_nullary_kernelIjm15HIP_vector_typeIyLj2EES7_SF_ZZZNS5_IS7_EEvS9_mlSA_ENKSB_clEvENKSC_clEvEUlmE_EEvS9_T2_RKT3_T4_EUlimE_EEvlNS_15PhiloxCudaStateET1_SK_.kd
    .uniform_work_group_size: 1
    .uses_dynamic_stack: false
    .vgpr_count:     48
    .vgpr_spill_count: 0
    .wavefront_size: 64
  - .agpr_count:     0
    .args:
      - .offset:         0
        .size:           8
        .value_kind:     by_value
      - .offset:         8
        .size:           32
        .value_kind:     by_value
      - .offset:         40
        .size:           1
        .value_kind:     by_value
      - .offset:         48
        .size:           288
        .value_kind:     by_value
      - .offset:         336
        .size:           4
        .value_kind:     hidden_block_count_x
      - .offset:         340
        .size:           4
        .value_kind:     hidden_block_count_y
      - .offset:         344
        .size:           4
        .value_kind:     hidden_block_count_z
      - .offset:         348
        .size:           2
        .value_kind:     hidden_group_size_x
      - .offset:         350
        .size:           2
        .value_kind:     hidden_group_size_y
      - .offset:         352
        .size:           2
        .value_kind:     hidden_group_size_z
      - .offset:         354
        .size:           2
        .value_kind:     hidden_remainder_x
      - .offset:         356
        .size:           2
        .value_kind:     hidden_remainder_y
      - .offset:         358
        .size:           2
        .value_kind:     hidden_remainder_z
      - .offset:         376
        .size:           8
        .value_kind:     hidden_global_offset_x
      - .offset:         384
        .size:           8
        .value_kind:     hidden_global_offset_y
      - .offset:         392
        .size:           8
        .value_kind:     hidden_global_offset_z
      - .offset:         400
        .size:           2
        .value_kind:     hidden_grid_dims
    .group_segment_fixed_size: 0
    .kernarg_segment_align: 8
    .kernarg_segment_size: 592
    .language:       OpenCL C
    .language_version:
      - 2
      - 0
    .max_flat_workgroup_size: 256
    .name:           _ZN2at6native12_GLOBAL__N_143distribution_elementwise_grid_stride_kernelImLi2EZZZNS0_9templates4cuda21random_from_to_kernelIPNS_17CUDAGeneratorImplEEEvRNS_18TensorIteratorBaseEmlT_ENKUlvE_clEvENKUlvE10_clEvEUlP25hiprandStatePhilox4_32_10E_ZNS1_27distribution_nullary_kernelIjm15HIP_vector_typeIyLj2EES7_SF_ZZZNS5_IS7_EEvS9_mlSA_ENKSB_clEvENKSC_clEvEUlmE_EEvS9_T2_RKT3_T4_EUlimE0_EEvlNS_15PhiloxCudaStateET1_SK_
    .private_segment_fixed_size: 0
    .sgpr_count:     70
    .sgpr_spill_count: 0
    .symbol:         _ZN2at6native12_GLOBAL__N_143distribution_elementwise_grid_stride_kernelImLi2EZZZNS0_9templates4cuda21random_from_to_kernelIPNS_17CUDAGeneratorImplEEEvRNS_18TensorIteratorBaseEmlT_ENKUlvE_clEvENKUlvE10_clEvEUlP25hiprandStatePhilox4_32_10E_ZNS1_27distribution_nullary_kernelIjm15HIP_vector_typeIyLj2EES7_SF_ZZZNS5_IS7_EEvS9_mlSA_ENKSB_clEvENKSC_clEvEUlmE_EEvS9_T2_RKT3_T4_EUlimE0_EEvlNS_15PhiloxCudaStateET1_SK_.kd
    .uniform_work_group_size: 1
    .uses_dynamic_stack: false
    .vgpr_count:     46
    .vgpr_spill_count: 0
    .wavefront_size: 64
  - .agpr_count:     0
    .args:
      - .offset:         0
        .size:           8
        .value_kind:     by_value
      - .offset:         8
        .size:           32
        .value_kind:     by_value
      - .offset:         40
        .size:           1
        .value_kind:     by_value
      - .offset:         48
        .size:           32
        .value_kind:     by_value
      - .offset:         80
        .size:           4
        .value_kind:     hidden_block_count_x
      - .offset:         84
        .size:           4
        .value_kind:     hidden_block_count_y
      - .offset:         88
        .size:           4
        .value_kind:     hidden_block_count_z
      - .offset:         92
        .size:           2
        .value_kind:     hidden_group_size_x
      - .offset:         94
        .size:           2
        .value_kind:     hidden_group_size_y
      - .offset:         96
        .size:           2
        .value_kind:     hidden_group_size_z
      - .offset:         98
        .size:           2
        .value_kind:     hidden_remainder_x
      - .offset:         100
        .size:           2
        .value_kind:     hidden_remainder_y
      - .offset:         102
        .size:           2
        .value_kind:     hidden_remainder_z
      - .offset:         120
        .size:           8
        .value_kind:     hidden_global_offset_x
      - .offset:         128
        .size:           8
        .value_kind:     hidden_global_offset_y
      - .offset:         136
        .size:           8
        .value_kind:     hidden_global_offset_z
      - .offset:         144
        .size:           2
        .value_kind:     hidden_grid_dims
    .group_segment_fixed_size: 0
    .kernarg_segment_align: 8
    .kernarg_segment_size: 336
    .language:       OpenCL C
    .language_version:
      - 2
      - 0
    .max_flat_workgroup_size: 256
    .name:           _ZN2at6native12_GLOBAL__N_143distribution_elementwise_grid_stride_kernelIjLi4EZZZNS0_9templates4cuda21random_from_to_kernelIPNS_17CUDAGeneratorImplEEEvRNS_18TensorIteratorBaseEmlT_ENKUlvE_clEvENKUlvE10_clEvEUlP25hiprandStatePhilox4_32_10E0_ZNS1_27distribution_nullary_kernelIjj15HIP_vector_typeIjLj4EES7_SF_ZZZNS5_IS7_EEvS9_mlSA_ENKSB_clEvENKSC_clEvEUljE_EEvS9_T2_RKT3_T4_EUlijE_EEvlNS_15PhiloxCudaStateET1_SK_
    .private_segment_fixed_size: 0
    .sgpr_count:     31
    .sgpr_spill_count: 0
    .symbol:         _ZN2at6native12_GLOBAL__N_143distribution_elementwise_grid_stride_kernelIjLi4EZZZNS0_9templates4cuda21random_from_to_kernelIPNS_17CUDAGeneratorImplEEEvRNS_18TensorIteratorBaseEmlT_ENKUlvE_clEvENKUlvE10_clEvEUlP25hiprandStatePhilox4_32_10E0_ZNS1_27distribution_nullary_kernelIjj15HIP_vector_typeIjLj4EES7_SF_ZZZNS5_IS7_EEvS9_mlSA_ENKSB_clEvENKSC_clEvEUljE_EEvS9_T2_RKT3_T4_EUlijE_EEvlNS_15PhiloxCudaStateET1_SK_.kd
    .uniform_work_group_size: 1
    .uses_dynamic_stack: false
    .vgpr_count:     47
    .vgpr_spill_count: 0
    .wavefront_size: 64
  - .agpr_count:     0
    .args:
      - .offset:         0
        .size:           8
        .value_kind:     by_value
      - .offset:         8
        .size:           32
        .value_kind:     by_value
      - .offset:         40
        .size:           1
        .value_kind:     by_value
      - .offset:         48
        .size:           288
        .value_kind:     by_value
      - .offset:         336
        .size:           4
        .value_kind:     hidden_block_count_x
      - .offset:         340
        .size:           4
        .value_kind:     hidden_block_count_y
      - .offset:         344
        .size:           4
        .value_kind:     hidden_block_count_z
      - .offset:         348
        .size:           2
        .value_kind:     hidden_group_size_x
      - .offset:         350
        .size:           2
        .value_kind:     hidden_group_size_y
      - .offset:         352
        .size:           2
        .value_kind:     hidden_group_size_z
      - .offset:         354
        .size:           2
        .value_kind:     hidden_remainder_x
      - .offset:         356
        .size:           2
        .value_kind:     hidden_remainder_y
      - .offset:         358
        .size:           2
        .value_kind:     hidden_remainder_z
      - .offset:         376
        .size:           8
        .value_kind:     hidden_global_offset_x
      - .offset:         384
        .size:           8
        .value_kind:     hidden_global_offset_y
      - .offset:         392
        .size:           8
        .value_kind:     hidden_global_offset_z
      - .offset:         400
        .size:           2
        .value_kind:     hidden_grid_dims
    .group_segment_fixed_size: 0
    .kernarg_segment_align: 8
    .kernarg_segment_size: 592
    .language:       OpenCL C
    .language_version:
      - 2
      - 0
    .max_flat_workgroup_size: 256
    .name:           _ZN2at6native12_GLOBAL__N_143distribution_elementwise_grid_stride_kernelIjLi4EZZZNS0_9templates4cuda21random_from_to_kernelIPNS_17CUDAGeneratorImplEEEvRNS_18TensorIteratorBaseEmlT_ENKUlvE_clEvENKUlvE10_clEvEUlP25hiprandStatePhilox4_32_10E0_ZNS1_27distribution_nullary_kernelIjj15HIP_vector_typeIjLj4EES7_SF_ZZZNS5_IS7_EEvS9_mlSA_ENKSB_clEvENKSC_clEvEUljE_EEvS9_T2_RKT3_T4_EUlijE0_EEvlNS_15PhiloxCudaStateET1_SK_
    .private_segment_fixed_size: 0
    .sgpr_count:     74
    .sgpr_spill_count: 0
    .symbol:         _ZN2at6native12_GLOBAL__N_143distribution_elementwise_grid_stride_kernelIjLi4EZZZNS0_9templates4cuda21random_from_to_kernelIPNS_17CUDAGeneratorImplEEEvRNS_18TensorIteratorBaseEmlT_ENKUlvE_clEvENKUlvE10_clEvEUlP25hiprandStatePhilox4_32_10E0_ZNS1_27distribution_nullary_kernelIjj15HIP_vector_typeIjLj4EES7_SF_ZZZNS5_IS7_EEvS9_mlSA_ENKSB_clEvENKSC_clEvEUljE_EEvS9_T2_RKT3_T4_EUlijE0_EEvlNS_15PhiloxCudaStateET1_SK_.kd
    .uniform_work_group_size: 1
    .uses_dynamic_stack: false
    .vgpr_count:     43
    .vgpr_spill_count: 0
    .wavefront_size: 64
  - .agpr_count:     0
    .args:
      - .offset:         0
        .size:           8
        .value_kind:     by_value
      - .offset:         8
        .size:           32
        .value_kind:     by_value
      - .offset:         40
        .size:           1
        .value_kind:     by_value
      - .offset:         48
        .size:           32
        .value_kind:     by_value
      - .offset:         80
        .size:           4
        .value_kind:     hidden_block_count_x
      - .offset:         84
        .size:           4
        .value_kind:     hidden_block_count_y
      - .offset:         88
        .size:           4
        .value_kind:     hidden_block_count_z
      - .offset:         92
        .size:           2
        .value_kind:     hidden_group_size_x
      - .offset:         94
        .size:           2
        .value_kind:     hidden_group_size_y
      - .offset:         96
        .size:           2
        .value_kind:     hidden_group_size_z
      - .offset:         98
        .size:           2
        .value_kind:     hidden_remainder_x
      - .offset:         100
        .size:           2
        .value_kind:     hidden_remainder_y
      - .offset:         102
        .size:           2
        .value_kind:     hidden_remainder_z
      - .offset:         120
        .size:           8
        .value_kind:     hidden_global_offset_x
      - .offset:         128
        .size:           8
        .value_kind:     hidden_global_offset_y
      - .offset:         136
        .size:           8
        .value_kind:     hidden_global_offset_z
      - .offset:         144
        .size:           2
        .value_kind:     hidden_grid_dims
    .group_segment_fixed_size: 0
    .kernarg_segment_align: 8
    .kernarg_segment_size: 336
    .language:       OpenCL C
    .language_version:
      - 2
      - 0
    .max_flat_workgroup_size: 256
    .name:           _ZN2at6native12_GLOBAL__N_143distribution_elementwise_grid_stride_kernelImLi2EZZZNS0_9templates4cuda21random_from_to_kernelIPNS_17CUDAGeneratorImplEEEvRNS_18TensorIteratorBaseEmlT_ENKUlvE_clEvENKUlvE11_clEvEUlP25hiprandStatePhilox4_32_10E_ZNS1_27distribution_nullary_kernelImm15HIP_vector_typeIyLj2EES7_SF_ZZZNS5_IS7_EEvS9_mlSA_ENKSB_clEvENKSC_clEvEUlmE_EEvS9_T2_RKT3_T4_EUlimE_EEvlNS_15PhiloxCudaStateET1_SK_
    .private_segment_fixed_size: 0
    .sgpr_count:     31
    .sgpr_spill_count: 0
    .symbol:         _ZN2at6native12_GLOBAL__N_143distribution_elementwise_grid_stride_kernelImLi2EZZZNS0_9templates4cuda21random_from_to_kernelIPNS_17CUDAGeneratorImplEEEvRNS_18TensorIteratorBaseEmlT_ENKUlvE_clEvENKUlvE11_clEvEUlP25hiprandStatePhilox4_32_10E_ZNS1_27distribution_nullary_kernelImm15HIP_vector_typeIyLj2EES7_SF_ZZZNS5_IS7_EEvS9_mlSA_ENKSB_clEvENKSC_clEvEUlmE_EEvS9_T2_RKT3_T4_EUlimE_EEvlNS_15PhiloxCudaStateET1_SK_.kd
    .uniform_work_group_size: 1
    .uses_dynamic_stack: false
    .vgpr_count:     48
    .vgpr_spill_count: 0
    .wavefront_size: 64
  - .agpr_count:     0
    .args:
      - .offset:         0
        .size:           8
        .value_kind:     by_value
      - .offset:         8
        .size:           32
        .value_kind:     by_value
      - .offset:         40
        .size:           1
        .value_kind:     by_value
      - .offset:         48
        .size:           288
        .value_kind:     by_value
      - .offset:         336
        .size:           4
        .value_kind:     hidden_block_count_x
      - .offset:         340
        .size:           4
        .value_kind:     hidden_block_count_y
      - .offset:         344
        .size:           4
        .value_kind:     hidden_block_count_z
      - .offset:         348
        .size:           2
        .value_kind:     hidden_group_size_x
      - .offset:         350
        .size:           2
        .value_kind:     hidden_group_size_y
      - .offset:         352
        .size:           2
        .value_kind:     hidden_group_size_z
      - .offset:         354
        .size:           2
        .value_kind:     hidden_remainder_x
      - .offset:         356
        .size:           2
        .value_kind:     hidden_remainder_y
      - .offset:         358
        .size:           2
        .value_kind:     hidden_remainder_z
      - .offset:         376
        .size:           8
        .value_kind:     hidden_global_offset_x
      - .offset:         384
        .size:           8
        .value_kind:     hidden_global_offset_y
      - .offset:         392
        .size:           8
        .value_kind:     hidden_global_offset_z
      - .offset:         400
        .size:           2
        .value_kind:     hidden_grid_dims
    .group_segment_fixed_size: 0
    .kernarg_segment_align: 8
    .kernarg_segment_size: 592
    .language:       OpenCL C
    .language_version:
      - 2
      - 0
    .max_flat_workgroup_size: 256
    .name:           _ZN2at6native12_GLOBAL__N_143distribution_elementwise_grid_stride_kernelImLi2EZZZNS0_9templates4cuda21random_from_to_kernelIPNS_17CUDAGeneratorImplEEEvRNS_18TensorIteratorBaseEmlT_ENKUlvE_clEvENKUlvE11_clEvEUlP25hiprandStatePhilox4_32_10E_ZNS1_27distribution_nullary_kernelImm15HIP_vector_typeIyLj2EES7_SF_ZZZNS5_IS7_EEvS9_mlSA_ENKSB_clEvENKSC_clEvEUlmE_EEvS9_T2_RKT3_T4_EUlimE0_EEvlNS_15PhiloxCudaStateET1_SK_
    .private_segment_fixed_size: 0
    .sgpr_count:     71
    .sgpr_spill_count: 0
    .symbol:         _ZN2at6native12_GLOBAL__N_143distribution_elementwise_grid_stride_kernelImLi2EZZZNS0_9templates4cuda21random_from_to_kernelIPNS_17CUDAGeneratorImplEEEvRNS_18TensorIteratorBaseEmlT_ENKUlvE_clEvENKUlvE11_clEvEUlP25hiprandStatePhilox4_32_10E_ZNS1_27distribution_nullary_kernelImm15HIP_vector_typeIyLj2EES7_SF_ZZZNS5_IS7_EEvS9_mlSA_ENKSB_clEvENKSC_clEvEUlmE_EEvS9_T2_RKT3_T4_EUlimE0_EEvlNS_15PhiloxCudaStateET1_SK_.kd
    .uniform_work_group_size: 1
    .uses_dynamic_stack: false
    .vgpr_count:     46
    .vgpr_spill_count: 0
    .wavefront_size: 64
  - .agpr_count:     0
    .args:
      - .offset:         0
        .size:           8
        .value_kind:     by_value
      - .offset:         8
        .size:           32
        .value_kind:     by_value
      - .offset:         40
        .size:           1
        .value_kind:     by_value
      - .offset:         48
        .size:           32
        .value_kind:     by_value
      - .offset:         80
        .size:           4
        .value_kind:     hidden_block_count_x
      - .offset:         84
        .size:           4
        .value_kind:     hidden_block_count_y
      - .offset:         88
        .size:           4
        .value_kind:     hidden_block_count_z
      - .offset:         92
        .size:           2
        .value_kind:     hidden_group_size_x
      - .offset:         94
        .size:           2
        .value_kind:     hidden_group_size_y
      - .offset:         96
        .size:           2
        .value_kind:     hidden_group_size_z
      - .offset:         98
        .size:           2
        .value_kind:     hidden_remainder_x
      - .offset:         100
        .size:           2
        .value_kind:     hidden_remainder_y
      - .offset:         102
        .size:           2
        .value_kind:     hidden_remainder_z
      - .offset:         120
        .size:           8
        .value_kind:     hidden_global_offset_x
      - .offset:         128
        .size:           8
        .value_kind:     hidden_global_offset_y
      - .offset:         136
        .size:           8
        .value_kind:     hidden_global_offset_z
      - .offset:         144
        .size:           2
        .value_kind:     hidden_grid_dims
    .group_segment_fixed_size: 0
    .kernarg_segment_align: 8
    .kernarg_segment_size: 336
    .language:       OpenCL C
    .language_version:
      - 2
      - 0
    .max_flat_workgroup_size: 256
    .name:           _ZN2at6native12_GLOBAL__N_143distribution_elementwise_grid_stride_kernelIjLi4EZZZNS0_9templates4cuda21random_from_to_kernelIPNS_17CUDAGeneratorImplEEEvRNS_18TensorIteratorBaseEmlT_ENKUlvE_clEvENKUlvE11_clEvEUlP25hiprandStatePhilox4_32_10E0_ZNS1_27distribution_nullary_kernelImj15HIP_vector_typeIjLj4EES7_SF_ZZZNS5_IS7_EEvS9_mlSA_ENKSB_clEvENKSC_clEvEUljE_EEvS9_T2_RKT3_T4_EUlijE_EEvlNS_15PhiloxCudaStateET1_SK_
    .private_segment_fixed_size: 0
    .sgpr_count:     32
    .sgpr_spill_count: 0
    .symbol:         _ZN2at6native12_GLOBAL__N_143distribution_elementwise_grid_stride_kernelIjLi4EZZZNS0_9templates4cuda21random_from_to_kernelIPNS_17CUDAGeneratorImplEEEvRNS_18TensorIteratorBaseEmlT_ENKUlvE_clEvENKUlvE11_clEvEUlP25hiprandStatePhilox4_32_10E0_ZNS1_27distribution_nullary_kernelImj15HIP_vector_typeIjLj4EES7_SF_ZZZNS5_IS7_EEvS9_mlSA_ENKSB_clEvENKSC_clEvEUljE_EEvS9_T2_RKT3_T4_EUlijE_EEvlNS_15PhiloxCudaStateET1_SK_.kd
    .uniform_work_group_size: 1
    .uses_dynamic_stack: false
    .vgpr_count:     47
    .vgpr_spill_count: 0
    .wavefront_size: 64
  - .agpr_count:     0
    .args:
      - .offset:         0
        .size:           8
        .value_kind:     by_value
      - .offset:         8
        .size:           32
        .value_kind:     by_value
      - .offset:         40
        .size:           1
        .value_kind:     by_value
      - .offset:         48
        .size:           288
        .value_kind:     by_value
      - .offset:         336
        .size:           4
        .value_kind:     hidden_block_count_x
      - .offset:         340
        .size:           4
        .value_kind:     hidden_block_count_y
      - .offset:         344
        .size:           4
        .value_kind:     hidden_block_count_z
      - .offset:         348
        .size:           2
        .value_kind:     hidden_group_size_x
      - .offset:         350
        .size:           2
        .value_kind:     hidden_group_size_y
      - .offset:         352
        .size:           2
        .value_kind:     hidden_group_size_z
      - .offset:         354
        .size:           2
        .value_kind:     hidden_remainder_x
      - .offset:         356
        .size:           2
        .value_kind:     hidden_remainder_y
      - .offset:         358
        .size:           2
        .value_kind:     hidden_remainder_z
      - .offset:         376
        .size:           8
        .value_kind:     hidden_global_offset_x
      - .offset:         384
        .size:           8
        .value_kind:     hidden_global_offset_y
      - .offset:         392
        .size:           8
        .value_kind:     hidden_global_offset_z
      - .offset:         400
        .size:           2
        .value_kind:     hidden_grid_dims
    .group_segment_fixed_size: 0
    .kernarg_segment_align: 8
    .kernarg_segment_size: 592
    .language:       OpenCL C
    .language_version:
      - 2
      - 0
    .max_flat_workgroup_size: 256
    .name:           _ZN2at6native12_GLOBAL__N_143distribution_elementwise_grid_stride_kernelIjLi4EZZZNS0_9templates4cuda21random_from_to_kernelIPNS_17CUDAGeneratorImplEEEvRNS_18TensorIteratorBaseEmlT_ENKUlvE_clEvENKUlvE11_clEvEUlP25hiprandStatePhilox4_32_10E0_ZNS1_27distribution_nullary_kernelImj15HIP_vector_typeIjLj4EES7_SF_ZZZNS5_IS7_EEvS9_mlSA_ENKSB_clEvENKSC_clEvEUljE_EEvS9_T2_RKT3_T4_EUlijE0_EEvlNS_15PhiloxCudaStateET1_SK_
    .private_segment_fixed_size: 0
    .sgpr_count:     75
    .sgpr_spill_count: 0
    .symbol:         _ZN2at6native12_GLOBAL__N_143distribution_elementwise_grid_stride_kernelIjLi4EZZZNS0_9templates4cuda21random_from_to_kernelIPNS_17CUDAGeneratorImplEEEvRNS_18TensorIteratorBaseEmlT_ENKUlvE_clEvENKUlvE11_clEvEUlP25hiprandStatePhilox4_32_10E0_ZNS1_27distribution_nullary_kernelImj15HIP_vector_typeIjLj4EES7_SF_ZZZNS5_IS7_EEvS9_mlSA_ENKSB_clEvENKSC_clEvEUljE_EEvS9_T2_RKT3_T4_EUlijE0_EEvlNS_15PhiloxCudaStateET1_SK_.kd
    .uniform_work_group_size: 1
    .uses_dynamic_stack: false
    .vgpr_count:     43
    .vgpr_spill_count: 0
    .wavefront_size: 64
  - .agpr_count:     0
    .args:
      - .offset:         0
        .size:           8
        .value_kind:     by_value
      - .offset:         8
        .size:           32
        .value_kind:     by_value
      - .offset:         40
        .size:           1
        .value_kind:     by_value
      - .offset:         48
        .size:           16
        .value_kind:     by_value
      - .offset:         64
        .size:           4
        .value_kind:     hidden_block_count_x
      - .offset:         68
        .size:           4
        .value_kind:     hidden_block_count_y
      - .offset:         72
        .size:           4
        .value_kind:     hidden_block_count_z
      - .offset:         76
        .size:           2
        .value_kind:     hidden_group_size_x
      - .offset:         78
        .size:           2
        .value_kind:     hidden_group_size_y
      - .offset:         80
        .size:           2
        .value_kind:     hidden_group_size_z
      - .offset:         82
        .size:           2
        .value_kind:     hidden_remainder_x
      - .offset:         84
        .size:           2
        .value_kind:     hidden_remainder_y
      - .offset:         86
        .size:           2
        .value_kind:     hidden_remainder_z
      - .offset:         104
        .size:           8
        .value_kind:     hidden_global_offset_x
      - .offset:         112
        .size:           8
        .value_kind:     hidden_global_offset_y
      - .offset:         120
        .size:           8
        .value_kind:     hidden_global_offset_z
      - .offset:         128
        .size:           2
        .value_kind:     hidden_grid_dims
    .group_segment_fixed_size: 0
    .kernarg_segment_align: 8
    .kernarg_segment_size: 320
    .language:       OpenCL C
    .language_version:
      - 2
      - 0
    .max_flat_workgroup_size: 256
    .name:           _ZN2at6native12_GLOBAL__N_143distribution_elementwise_grid_stride_kernelImLi2EZZZNS0_9templates4cuda32random_full_64_bits_range_kernelIPNS_17CUDAGeneratorImplEEEvRNS_18TensorIteratorBaseET_ENKUlvE_clEvENKUlvE_clEvEUlP25hiprandStatePhilox4_32_10E_ZNS1_27distribution_nullary_kernelIhm15HIP_vector_typeIyLj2EES7_SF_ZZZNS5_IS7_EEvS9_SA_ENKSB_clEvENKSC_clEvEUlmE_EEvS9_T2_RKT3_T4_EUlimE_EEvlNS_15PhiloxCudaStateET1_SK_
    .private_segment_fixed_size: 0
    .sgpr_count:     28
    .sgpr_spill_count: 0
    .symbol:         _ZN2at6native12_GLOBAL__N_143distribution_elementwise_grid_stride_kernelImLi2EZZZNS0_9templates4cuda32random_full_64_bits_range_kernelIPNS_17CUDAGeneratorImplEEEvRNS_18TensorIteratorBaseET_ENKUlvE_clEvENKUlvE_clEvEUlP25hiprandStatePhilox4_32_10E_ZNS1_27distribution_nullary_kernelIhm15HIP_vector_typeIyLj2EES7_SF_ZZZNS5_IS7_EEvS9_SA_ENKSB_clEvENKSC_clEvEUlmE_EEvS9_T2_RKT3_T4_EUlimE_EEvlNS_15PhiloxCudaStateET1_SK_.kd
    .uniform_work_group_size: 1
    .uses_dynamic_stack: false
    .vgpr_count:     44
    .vgpr_spill_count: 0
    .wavefront_size: 64
  - .agpr_count:     0
    .args:
      - .offset:         0
        .size:           8
        .value_kind:     by_value
      - .offset:         8
        .size:           32
        .value_kind:     by_value
      - .offset:         40
        .size:           1
        .value_kind:     by_value
      - .offset:         48
        .size:           280
        .value_kind:     by_value
      - .offset:         328
        .size:           4
        .value_kind:     hidden_block_count_x
      - .offset:         332
        .size:           4
        .value_kind:     hidden_block_count_y
      - .offset:         336
        .size:           4
        .value_kind:     hidden_block_count_z
      - .offset:         340
        .size:           2
        .value_kind:     hidden_group_size_x
      - .offset:         342
        .size:           2
        .value_kind:     hidden_group_size_y
      - .offset:         344
        .size:           2
        .value_kind:     hidden_group_size_z
      - .offset:         346
        .size:           2
        .value_kind:     hidden_remainder_x
      - .offset:         348
        .size:           2
        .value_kind:     hidden_remainder_y
      - .offset:         350
        .size:           2
        .value_kind:     hidden_remainder_z
      - .offset:         368
        .size:           8
        .value_kind:     hidden_global_offset_x
      - .offset:         376
        .size:           8
        .value_kind:     hidden_global_offset_y
      - .offset:         384
        .size:           8
        .value_kind:     hidden_global_offset_z
      - .offset:         392
        .size:           2
        .value_kind:     hidden_grid_dims
    .group_segment_fixed_size: 0
    .kernarg_segment_align: 8
    .kernarg_segment_size: 584
    .language:       OpenCL C
    .language_version:
      - 2
      - 0
    .max_flat_workgroup_size: 256
    .name:           _ZN2at6native12_GLOBAL__N_143distribution_elementwise_grid_stride_kernelImLi2EZZZNS0_9templates4cuda32random_full_64_bits_range_kernelIPNS_17CUDAGeneratorImplEEEvRNS_18TensorIteratorBaseET_ENKUlvE_clEvENKUlvE_clEvEUlP25hiprandStatePhilox4_32_10E_ZNS1_27distribution_nullary_kernelIhm15HIP_vector_typeIyLj2EES7_SF_ZZZNS5_IS7_EEvS9_SA_ENKSB_clEvENKSC_clEvEUlmE_EEvS9_T2_RKT3_T4_EUlimE0_EEvlNS_15PhiloxCudaStateET1_SK_
    .private_segment_fixed_size: 0
    .sgpr_count:     67
    .sgpr_spill_count: 0
    .symbol:         _ZN2at6native12_GLOBAL__N_143distribution_elementwise_grid_stride_kernelImLi2EZZZNS0_9templates4cuda32random_full_64_bits_range_kernelIPNS_17CUDAGeneratorImplEEEvRNS_18TensorIteratorBaseET_ENKUlvE_clEvENKUlvE_clEvEUlP25hiprandStatePhilox4_32_10E_ZNS1_27distribution_nullary_kernelIhm15HIP_vector_typeIyLj2EES7_SF_ZZZNS5_IS7_EEvS9_SA_ENKSB_clEvENKSC_clEvEUlmE_EEvS9_T2_RKT3_T4_EUlimE0_EEvlNS_15PhiloxCudaStateET1_SK_.kd
    .uniform_work_group_size: 1
    .uses_dynamic_stack: false
    .vgpr_count:     42
    .vgpr_spill_count: 0
    .wavefront_size: 64
  - .agpr_count:     0
    .args:
      - .offset:         0
        .size:           8
        .value_kind:     by_value
      - .offset:         8
        .size:           32
        .value_kind:     by_value
      - .offset:         40
        .size:           1
        .value_kind:     by_value
      - .offset:         48
        .size:           16
        .value_kind:     by_value
      - .offset:         64
        .size:           4
        .value_kind:     hidden_block_count_x
      - .offset:         68
        .size:           4
        .value_kind:     hidden_block_count_y
      - .offset:         72
        .size:           4
        .value_kind:     hidden_block_count_z
      - .offset:         76
        .size:           2
        .value_kind:     hidden_group_size_x
      - .offset:         78
        .size:           2
        .value_kind:     hidden_group_size_y
      - .offset:         80
        .size:           2
        .value_kind:     hidden_group_size_z
      - .offset:         82
        .size:           2
        .value_kind:     hidden_remainder_x
      - .offset:         84
        .size:           2
        .value_kind:     hidden_remainder_y
      - .offset:         86
        .size:           2
        .value_kind:     hidden_remainder_z
      - .offset:         104
        .size:           8
        .value_kind:     hidden_global_offset_x
      - .offset:         112
        .size:           8
        .value_kind:     hidden_global_offset_y
      - .offset:         120
        .size:           8
        .value_kind:     hidden_global_offset_z
      - .offset:         128
        .size:           2
        .value_kind:     hidden_grid_dims
    .group_segment_fixed_size: 0
    .kernarg_segment_align: 8
    .kernarg_segment_size: 320
    .language:       OpenCL C
    .language_version:
      - 2
      - 0
    .max_flat_workgroup_size: 256
    .name:           _ZN2at6native12_GLOBAL__N_143distribution_elementwise_grid_stride_kernelImLi2EZZZNS0_9templates4cuda32random_full_64_bits_range_kernelIPNS_17CUDAGeneratorImplEEEvRNS_18TensorIteratorBaseET_ENKUlvE_clEvENKUlvE0_clEvEUlP25hiprandStatePhilox4_32_10E_ZNS1_27distribution_nullary_kernelIam15HIP_vector_typeIyLj2EES7_SF_ZZZNS5_IS7_EEvS9_SA_ENKSB_clEvENKSC_clEvEUlmE_EEvS9_T2_RKT3_T4_EUlimE_EEvlNS_15PhiloxCudaStateET1_SK_
    .private_segment_fixed_size: 0
    .sgpr_count:     28
    .sgpr_spill_count: 0
    .symbol:         _ZN2at6native12_GLOBAL__N_143distribution_elementwise_grid_stride_kernelImLi2EZZZNS0_9templates4cuda32random_full_64_bits_range_kernelIPNS_17CUDAGeneratorImplEEEvRNS_18TensorIteratorBaseET_ENKUlvE_clEvENKUlvE0_clEvEUlP25hiprandStatePhilox4_32_10E_ZNS1_27distribution_nullary_kernelIam15HIP_vector_typeIyLj2EES7_SF_ZZZNS5_IS7_EEvS9_SA_ENKSB_clEvENKSC_clEvEUlmE_EEvS9_T2_RKT3_T4_EUlimE_EEvlNS_15PhiloxCudaStateET1_SK_.kd
    .uniform_work_group_size: 1
    .uses_dynamic_stack: false
    .vgpr_count:     44
    .vgpr_spill_count: 0
    .wavefront_size: 64
  - .agpr_count:     0
    .args:
      - .offset:         0
        .size:           8
        .value_kind:     by_value
      - .offset:         8
        .size:           32
        .value_kind:     by_value
      - .offset:         40
        .size:           1
        .value_kind:     by_value
      - .offset:         48
        .size:           280
        .value_kind:     by_value
      - .offset:         328
        .size:           4
        .value_kind:     hidden_block_count_x
      - .offset:         332
        .size:           4
        .value_kind:     hidden_block_count_y
      - .offset:         336
        .size:           4
        .value_kind:     hidden_block_count_z
      - .offset:         340
        .size:           2
        .value_kind:     hidden_group_size_x
      - .offset:         342
        .size:           2
        .value_kind:     hidden_group_size_y
      - .offset:         344
        .size:           2
        .value_kind:     hidden_group_size_z
      - .offset:         346
        .size:           2
        .value_kind:     hidden_remainder_x
      - .offset:         348
        .size:           2
        .value_kind:     hidden_remainder_y
      - .offset:         350
        .size:           2
        .value_kind:     hidden_remainder_z
      - .offset:         368
        .size:           8
        .value_kind:     hidden_global_offset_x
      - .offset:         376
        .size:           8
        .value_kind:     hidden_global_offset_y
      - .offset:         384
        .size:           8
        .value_kind:     hidden_global_offset_z
      - .offset:         392
        .size:           2
        .value_kind:     hidden_grid_dims
    .group_segment_fixed_size: 0
    .kernarg_segment_align: 8
    .kernarg_segment_size: 584
    .language:       OpenCL C
    .language_version:
      - 2
      - 0
    .max_flat_workgroup_size: 256
    .name:           _ZN2at6native12_GLOBAL__N_143distribution_elementwise_grid_stride_kernelImLi2EZZZNS0_9templates4cuda32random_full_64_bits_range_kernelIPNS_17CUDAGeneratorImplEEEvRNS_18TensorIteratorBaseET_ENKUlvE_clEvENKUlvE0_clEvEUlP25hiprandStatePhilox4_32_10E_ZNS1_27distribution_nullary_kernelIam15HIP_vector_typeIyLj2EES7_SF_ZZZNS5_IS7_EEvS9_SA_ENKSB_clEvENKSC_clEvEUlmE_EEvS9_T2_RKT3_T4_EUlimE0_EEvlNS_15PhiloxCudaStateET1_SK_
    .private_segment_fixed_size: 0
    .sgpr_count:     67
    .sgpr_spill_count: 0
    .symbol:         _ZN2at6native12_GLOBAL__N_143distribution_elementwise_grid_stride_kernelImLi2EZZZNS0_9templates4cuda32random_full_64_bits_range_kernelIPNS_17CUDAGeneratorImplEEEvRNS_18TensorIteratorBaseET_ENKUlvE_clEvENKUlvE0_clEvEUlP25hiprandStatePhilox4_32_10E_ZNS1_27distribution_nullary_kernelIam15HIP_vector_typeIyLj2EES7_SF_ZZZNS5_IS7_EEvS9_SA_ENKSB_clEvENKSC_clEvEUlmE_EEvS9_T2_RKT3_T4_EUlimE0_EEvlNS_15PhiloxCudaStateET1_SK_.kd
    .uniform_work_group_size: 1
    .uses_dynamic_stack: false
    .vgpr_count:     42
    .vgpr_spill_count: 0
    .wavefront_size: 64
  - .agpr_count:     0
    .args:
      - .offset:         0
        .size:           8
        .value_kind:     by_value
      - .offset:         8
        .size:           32
        .value_kind:     by_value
      - .offset:         40
        .size:           1
        .value_kind:     by_value
      - .offset:         48
        .size:           16
        .value_kind:     by_value
      - .offset:         64
        .size:           4
        .value_kind:     hidden_block_count_x
      - .offset:         68
        .size:           4
        .value_kind:     hidden_block_count_y
      - .offset:         72
        .size:           4
        .value_kind:     hidden_block_count_z
      - .offset:         76
        .size:           2
        .value_kind:     hidden_group_size_x
      - .offset:         78
        .size:           2
        .value_kind:     hidden_group_size_y
      - .offset:         80
        .size:           2
        .value_kind:     hidden_group_size_z
      - .offset:         82
        .size:           2
        .value_kind:     hidden_remainder_x
      - .offset:         84
        .size:           2
        .value_kind:     hidden_remainder_y
      - .offset:         86
        .size:           2
        .value_kind:     hidden_remainder_z
      - .offset:         104
        .size:           8
        .value_kind:     hidden_global_offset_x
      - .offset:         112
        .size:           8
        .value_kind:     hidden_global_offset_y
      - .offset:         120
        .size:           8
        .value_kind:     hidden_global_offset_z
      - .offset:         128
        .size:           2
        .value_kind:     hidden_grid_dims
    .group_segment_fixed_size: 0
    .kernarg_segment_align: 8
    .kernarg_segment_size: 320
    .language:       OpenCL C
    .language_version:
      - 2
      - 0
    .max_flat_workgroup_size: 256
    .name:           _ZN2at6native12_GLOBAL__N_143distribution_elementwise_grid_stride_kernelImLi2EZZZNS0_9templates4cuda32random_full_64_bits_range_kernelIPNS_17CUDAGeneratorImplEEEvRNS_18TensorIteratorBaseET_ENKUlvE_clEvENKUlvE1_clEvEUlP25hiprandStatePhilox4_32_10E_ZNS1_27distribution_nullary_kernelIim15HIP_vector_typeIyLj2EES7_SF_ZZZNS5_IS7_EEvS9_SA_ENKSB_clEvENKSC_clEvEUlmE_EEvS9_T2_RKT3_T4_EUlimE_EEvlNS_15PhiloxCudaStateET1_SK_
    .private_segment_fixed_size: 0
    .sgpr_count:     28
    .sgpr_spill_count: 0
    .symbol:         _ZN2at6native12_GLOBAL__N_143distribution_elementwise_grid_stride_kernelImLi2EZZZNS0_9templates4cuda32random_full_64_bits_range_kernelIPNS_17CUDAGeneratorImplEEEvRNS_18TensorIteratorBaseET_ENKUlvE_clEvENKUlvE1_clEvEUlP25hiprandStatePhilox4_32_10E_ZNS1_27distribution_nullary_kernelIim15HIP_vector_typeIyLj2EES7_SF_ZZZNS5_IS7_EEvS9_SA_ENKSB_clEvENKSC_clEvEUlmE_EEvS9_T2_RKT3_T4_EUlimE_EEvlNS_15PhiloxCudaStateET1_SK_.kd
    .uniform_work_group_size: 1
    .uses_dynamic_stack: false
    .vgpr_count:     44
    .vgpr_spill_count: 0
    .wavefront_size: 64
  - .agpr_count:     0
    .args:
      - .offset:         0
        .size:           8
        .value_kind:     by_value
      - .offset:         8
        .size:           32
        .value_kind:     by_value
      - .offset:         40
        .size:           1
        .value_kind:     by_value
      - .offset:         48
        .size:           280
        .value_kind:     by_value
      - .offset:         328
        .size:           4
        .value_kind:     hidden_block_count_x
      - .offset:         332
        .size:           4
        .value_kind:     hidden_block_count_y
      - .offset:         336
        .size:           4
        .value_kind:     hidden_block_count_z
      - .offset:         340
        .size:           2
        .value_kind:     hidden_group_size_x
      - .offset:         342
        .size:           2
        .value_kind:     hidden_group_size_y
      - .offset:         344
        .size:           2
        .value_kind:     hidden_group_size_z
      - .offset:         346
        .size:           2
        .value_kind:     hidden_remainder_x
      - .offset:         348
        .size:           2
        .value_kind:     hidden_remainder_y
      - .offset:         350
        .size:           2
        .value_kind:     hidden_remainder_z
      - .offset:         368
        .size:           8
        .value_kind:     hidden_global_offset_x
      - .offset:         376
        .size:           8
        .value_kind:     hidden_global_offset_y
      - .offset:         384
        .size:           8
        .value_kind:     hidden_global_offset_z
      - .offset:         392
        .size:           2
        .value_kind:     hidden_grid_dims
    .group_segment_fixed_size: 0
    .kernarg_segment_align: 8
    .kernarg_segment_size: 584
    .language:       OpenCL C
    .language_version:
      - 2
      - 0
    .max_flat_workgroup_size: 256
    .name:           _ZN2at6native12_GLOBAL__N_143distribution_elementwise_grid_stride_kernelImLi2EZZZNS0_9templates4cuda32random_full_64_bits_range_kernelIPNS_17CUDAGeneratorImplEEEvRNS_18TensorIteratorBaseET_ENKUlvE_clEvENKUlvE1_clEvEUlP25hiprandStatePhilox4_32_10E_ZNS1_27distribution_nullary_kernelIim15HIP_vector_typeIyLj2EES7_SF_ZZZNS5_IS7_EEvS9_SA_ENKSB_clEvENKSC_clEvEUlmE_EEvS9_T2_RKT3_T4_EUlimE0_EEvlNS_15PhiloxCudaStateET1_SK_
    .private_segment_fixed_size: 0
    .sgpr_count:     67
    .sgpr_spill_count: 0
    .symbol:         _ZN2at6native12_GLOBAL__N_143distribution_elementwise_grid_stride_kernelImLi2EZZZNS0_9templates4cuda32random_full_64_bits_range_kernelIPNS_17CUDAGeneratorImplEEEvRNS_18TensorIteratorBaseET_ENKUlvE_clEvENKUlvE1_clEvEUlP25hiprandStatePhilox4_32_10E_ZNS1_27distribution_nullary_kernelIim15HIP_vector_typeIyLj2EES7_SF_ZZZNS5_IS7_EEvS9_SA_ENKSB_clEvENKSC_clEvEUlmE_EEvS9_T2_RKT3_T4_EUlimE0_EEvlNS_15PhiloxCudaStateET1_SK_.kd
    .uniform_work_group_size: 1
    .uses_dynamic_stack: false
    .vgpr_count:     42
    .vgpr_spill_count: 0
    .wavefront_size: 64
  - .agpr_count:     0
    .args:
      - .offset:         0
        .size:           8
        .value_kind:     by_value
      - .offset:         8
        .size:           32
        .value_kind:     by_value
      - .offset:         40
        .size:           1
        .value_kind:     by_value
      - .offset:         48
        .size:           16
        .value_kind:     by_value
      - .offset:         64
        .size:           4
        .value_kind:     hidden_block_count_x
      - .offset:         68
        .size:           4
        .value_kind:     hidden_block_count_y
      - .offset:         72
        .size:           4
        .value_kind:     hidden_block_count_z
      - .offset:         76
        .size:           2
        .value_kind:     hidden_group_size_x
      - .offset:         78
        .size:           2
        .value_kind:     hidden_group_size_y
      - .offset:         80
        .size:           2
        .value_kind:     hidden_group_size_z
      - .offset:         82
        .size:           2
        .value_kind:     hidden_remainder_x
      - .offset:         84
        .size:           2
        .value_kind:     hidden_remainder_y
      - .offset:         86
        .size:           2
        .value_kind:     hidden_remainder_z
      - .offset:         104
        .size:           8
        .value_kind:     hidden_global_offset_x
      - .offset:         112
        .size:           8
        .value_kind:     hidden_global_offset_y
      - .offset:         120
        .size:           8
        .value_kind:     hidden_global_offset_z
      - .offset:         128
        .size:           2
        .value_kind:     hidden_grid_dims
    .group_segment_fixed_size: 0
    .kernarg_segment_align: 8
    .kernarg_segment_size: 320
    .language:       OpenCL C
    .language_version:
      - 2
      - 0
    .max_flat_workgroup_size: 256
    .name:           _ZN2at6native12_GLOBAL__N_143distribution_elementwise_grid_stride_kernelImLi2EZZZNS0_9templates4cuda32random_full_64_bits_range_kernelIPNS_17CUDAGeneratorImplEEEvRNS_18TensorIteratorBaseET_ENKUlvE_clEvENKUlvE2_clEvEUlP25hiprandStatePhilox4_32_10E_ZNS1_27distribution_nullary_kernelIlm15HIP_vector_typeIyLj2EES7_SF_ZZZNS5_IS7_EEvS9_SA_ENKSB_clEvENKSC_clEvEUlmE_EEvS9_T2_RKT3_T4_EUlimE_EEvlNS_15PhiloxCudaStateET1_SK_
    .private_segment_fixed_size: 0
    .sgpr_count:     28
    .sgpr_spill_count: 0
    .symbol:         _ZN2at6native12_GLOBAL__N_143distribution_elementwise_grid_stride_kernelImLi2EZZZNS0_9templates4cuda32random_full_64_bits_range_kernelIPNS_17CUDAGeneratorImplEEEvRNS_18TensorIteratorBaseET_ENKUlvE_clEvENKUlvE2_clEvEUlP25hiprandStatePhilox4_32_10E_ZNS1_27distribution_nullary_kernelIlm15HIP_vector_typeIyLj2EES7_SF_ZZZNS5_IS7_EEvS9_SA_ENKSB_clEvENKSC_clEvEUlmE_EEvS9_T2_RKT3_T4_EUlimE_EEvlNS_15PhiloxCudaStateET1_SK_.kd
    .uniform_work_group_size: 1
    .uses_dynamic_stack: false
    .vgpr_count:     46
    .vgpr_spill_count: 0
    .wavefront_size: 64
  - .agpr_count:     0
    .args:
      - .offset:         0
        .size:           8
        .value_kind:     by_value
      - .offset:         8
        .size:           32
        .value_kind:     by_value
      - .offset:         40
        .size:           1
        .value_kind:     by_value
      - .offset:         48
        .size:           280
        .value_kind:     by_value
      - .offset:         328
        .size:           4
        .value_kind:     hidden_block_count_x
      - .offset:         332
        .size:           4
        .value_kind:     hidden_block_count_y
      - .offset:         336
        .size:           4
        .value_kind:     hidden_block_count_z
      - .offset:         340
        .size:           2
        .value_kind:     hidden_group_size_x
      - .offset:         342
        .size:           2
        .value_kind:     hidden_group_size_y
      - .offset:         344
        .size:           2
        .value_kind:     hidden_group_size_z
      - .offset:         346
        .size:           2
        .value_kind:     hidden_remainder_x
      - .offset:         348
        .size:           2
        .value_kind:     hidden_remainder_y
      - .offset:         350
        .size:           2
        .value_kind:     hidden_remainder_z
      - .offset:         368
        .size:           8
        .value_kind:     hidden_global_offset_x
      - .offset:         376
        .size:           8
        .value_kind:     hidden_global_offset_y
      - .offset:         384
        .size:           8
        .value_kind:     hidden_global_offset_z
      - .offset:         392
        .size:           2
        .value_kind:     hidden_grid_dims
    .group_segment_fixed_size: 0
    .kernarg_segment_align: 8
    .kernarg_segment_size: 584
    .language:       OpenCL C
    .language_version:
      - 2
      - 0
    .max_flat_workgroup_size: 256
    .name:           _ZN2at6native12_GLOBAL__N_143distribution_elementwise_grid_stride_kernelImLi2EZZZNS0_9templates4cuda32random_full_64_bits_range_kernelIPNS_17CUDAGeneratorImplEEEvRNS_18TensorIteratorBaseET_ENKUlvE_clEvENKUlvE2_clEvEUlP25hiprandStatePhilox4_32_10E_ZNS1_27distribution_nullary_kernelIlm15HIP_vector_typeIyLj2EES7_SF_ZZZNS5_IS7_EEvS9_SA_ENKSB_clEvENKSC_clEvEUlmE_EEvS9_T2_RKT3_T4_EUlimE0_EEvlNS_15PhiloxCudaStateET1_SK_
    .private_segment_fixed_size: 0
    .sgpr_count:     67
    .sgpr_spill_count: 0
    .symbol:         _ZN2at6native12_GLOBAL__N_143distribution_elementwise_grid_stride_kernelImLi2EZZZNS0_9templates4cuda32random_full_64_bits_range_kernelIPNS_17CUDAGeneratorImplEEEvRNS_18TensorIteratorBaseET_ENKUlvE_clEvENKUlvE2_clEvEUlP25hiprandStatePhilox4_32_10E_ZNS1_27distribution_nullary_kernelIlm15HIP_vector_typeIyLj2EES7_SF_ZZZNS5_IS7_EEvS9_SA_ENKSB_clEvENKSC_clEvEUlmE_EEvS9_T2_RKT3_T4_EUlimE0_EEvlNS_15PhiloxCudaStateET1_SK_.kd
    .uniform_work_group_size: 1
    .uses_dynamic_stack: false
    .vgpr_count:     41
    .vgpr_spill_count: 0
    .wavefront_size: 64
  - .agpr_count:     0
    .args:
      - .offset:         0
        .size:           8
        .value_kind:     by_value
      - .offset:         8
        .size:           32
        .value_kind:     by_value
      - .offset:         40
        .size:           1
        .value_kind:     by_value
      - .offset:         48
        .size:           16
        .value_kind:     by_value
      - .offset:         64
        .size:           4
        .value_kind:     hidden_block_count_x
      - .offset:         68
        .size:           4
        .value_kind:     hidden_block_count_y
      - .offset:         72
        .size:           4
        .value_kind:     hidden_block_count_z
      - .offset:         76
        .size:           2
        .value_kind:     hidden_group_size_x
      - .offset:         78
        .size:           2
        .value_kind:     hidden_group_size_y
      - .offset:         80
        .size:           2
        .value_kind:     hidden_group_size_z
      - .offset:         82
        .size:           2
        .value_kind:     hidden_remainder_x
      - .offset:         84
        .size:           2
        .value_kind:     hidden_remainder_y
      - .offset:         86
        .size:           2
        .value_kind:     hidden_remainder_z
      - .offset:         104
        .size:           8
        .value_kind:     hidden_global_offset_x
      - .offset:         112
        .size:           8
        .value_kind:     hidden_global_offset_y
      - .offset:         120
        .size:           8
        .value_kind:     hidden_global_offset_z
      - .offset:         128
        .size:           2
        .value_kind:     hidden_grid_dims
    .group_segment_fixed_size: 0
    .kernarg_segment_align: 8
    .kernarg_segment_size: 320
    .language:       OpenCL C
    .language_version:
      - 2
      - 0
    .max_flat_workgroup_size: 256
    .name:           _ZN2at6native12_GLOBAL__N_143distribution_elementwise_grid_stride_kernelImLi2EZZZNS0_9templates4cuda32random_full_64_bits_range_kernelIPNS_17CUDAGeneratorImplEEEvRNS_18TensorIteratorBaseET_ENKUlvE_clEvENKUlvE3_clEvEUlP25hiprandStatePhilox4_32_10E_ZNS1_27distribution_nullary_kernelIsm15HIP_vector_typeIyLj2EES7_SF_ZZZNS5_IS7_EEvS9_SA_ENKSB_clEvENKSC_clEvEUlmE_EEvS9_T2_RKT3_T4_EUlimE_EEvlNS_15PhiloxCudaStateET1_SK_
    .private_segment_fixed_size: 0
    .sgpr_count:     28
    .sgpr_spill_count: 0
    .symbol:         _ZN2at6native12_GLOBAL__N_143distribution_elementwise_grid_stride_kernelImLi2EZZZNS0_9templates4cuda32random_full_64_bits_range_kernelIPNS_17CUDAGeneratorImplEEEvRNS_18TensorIteratorBaseET_ENKUlvE_clEvENKUlvE3_clEvEUlP25hiprandStatePhilox4_32_10E_ZNS1_27distribution_nullary_kernelIsm15HIP_vector_typeIyLj2EES7_SF_ZZZNS5_IS7_EEvS9_SA_ENKSB_clEvENKSC_clEvEUlmE_EEvS9_T2_RKT3_T4_EUlimE_EEvlNS_15PhiloxCudaStateET1_SK_.kd
    .uniform_work_group_size: 1
    .uses_dynamic_stack: false
    .vgpr_count:     44
    .vgpr_spill_count: 0
    .wavefront_size: 64
  - .agpr_count:     0
    .args:
      - .offset:         0
        .size:           8
        .value_kind:     by_value
      - .offset:         8
        .size:           32
        .value_kind:     by_value
      - .offset:         40
        .size:           1
        .value_kind:     by_value
      - .offset:         48
        .size:           280
        .value_kind:     by_value
      - .offset:         328
        .size:           4
        .value_kind:     hidden_block_count_x
      - .offset:         332
        .size:           4
        .value_kind:     hidden_block_count_y
      - .offset:         336
        .size:           4
        .value_kind:     hidden_block_count_z
      - .offset:         340
        .size:           2
        .value_kind:     hidden_group_size_x
      - .offset:         342
        .size:           2
        .value_kind:     hidden_group_size_y
      - .offset:         344
        .size:           2
        .value_kind:     hidden_group_size_z
      - .offset:         346
        .size:           2
        .value_kind:     hidden_remainder_x
      - .offset:         348
        .size:           2
        .value_kind:     hidden_remainder_y
      - .offset:         350
        .size:           2
        .value_kind:     hidden_remainder_z
      - .offset:         368
        .size:           8
        .value_kind:     hidden_global_offset_x
      - .offset:         376
        .size:           8
        .value_kind:     hidden_global_offset_y
      - .offset:         384
        .size:           8
        .value_kind:     hidden_global_offset_z
      - .offset:         392
        .size:           2
        .value_kind:     hidden_grid_dims
    .group_segment_fixed_size: 0
    .kernarg_segment_align: 8
    .kernarg_segment_size: 584
    .language:       OpenCL C
    .language_version:
      - 2
      - 0
    .max_flat_workgroup_size: 256
    .name:           _ZN2at6native12_GLOBAL__N_143distribution_elementwise_grid_stride_kernelImLi2EZZZNS0_9templates4cuda32random_full_64_bits_range_kernelIPNS_17CUDAGeneratorImplEEEvRNS_18TensorIteratorBaseET_ENKUlvE_clEvENKUlvE3_clEvEUlP25hiprandStatePhilox4_32_10E_ZNS1_27distribution_nullary_kernelIsm15HIP_vector_typeIyLj2EES7_SF_ZZZNS5_IS7_EEvS9_SA_ENKSB_clEvENKSC_clEvEUlmE_EEvS9_T2_RKT3_T4_EUlimE0_EEvlNS_15PhiloxCudaStateET1_SK_
    .private_segment_fixed_size: 0
    .sgpr_count:     67
    .sgpr_spill_count: 0
    .symbol:         _ZN2at6native12_GLOBAL__N_143distribution_elementwise_grid_stride_kernelImLi2EZZZNS0_9templates4cuda32random_full_64_bits_range_kernelIPNS_17CUDAGeneratorImplEEEvRNS_18TensorIteratorBaseET_ENKUlvE_clEvENKUlvE3_clEvEUlP25hiprandStatePhilox4_32_10E_ZNS1_27distribution_nullary_kernelIsm15HIP_vector_typeIyLj2EES7_SF_ZZZNS5_IS7_EEvS9_SA_ENKSB_clEvENKSC_clEvEUlmE_EEvS9_T2_RKT3_T4_EUlimE0_EEvlNS_15PhiloxCudaStateET1_SK_.kd
    .uniform_work_group_size: 1
    .uses_dynamic_stack: false
    .vgpr_count:     42
    .vgpr_spill_count: 0
    .wavefront_size: 64
  - .agpr_count:     0
    .args:
      - .offset:         0
        .size:           8
        .value_kind:     by_value
      - .offset:         8
        .size:           32
        .value_kind:     by_value
      - .offset:         40
        .size:           1
        .value_kind:     by_value
      - .offset:         48
        .size:           16
        .value_kind:     by_value
      - .offset:         64
        .size:           4
        .value_kind:     hidden_block_count_x
      - .offset:         68
        .size:           4
        .value_kind:     hidden_block_count_y
      - .offset:         72
        .size:           4
        .value_kind:     hidden_block_count_z
      - .offset:         76
        .size:           2
        .value_kind:     hidden_group_size_x
      - .offset:         78
        .size:           2
        .value_kind:     hidden_group_size_y
      - .offset:         80
        .size:           2
        .value_kind:     hidden_group_size_z
      - .offset:         82
        .size:           2
        .value_kind:     hidden_remainder_x
      - .offset:         84
        .size:           2
        .value_kind:     hidden_remainder_y
      - .offset:         86
        .size:           2
        .value_kind:     hidden_remainder_z
      - .offset:         104
        .size:           8
        .value_kind:     hidden_global_offset_x
      - .offset:         112
        .size:           8
        .value_kind:     hidden_global_offset_y
      - .offset:         120
        .size:           8
        .value_kind:     hidden_global_offset_z
      - .offset:         128
        .size:           2
        .value_kind:     hidden_grid_dims
    .group_segment_fixed_size: 0
    .kernarg_segment_align: 8
    .kernarg_segment_size: 320
    .language:       OpenCL C
    .language_version:
      - 2
      - 0
    .max_flat_workgroup_size: 256
    .name:           _ZN2at6native12_GLOBAL__N_143distribution_elementwise_grid_stride_kernelImLi2EZZZNS0_9templates4cuda32random_full_64_bits_range_kernelIPNS_17CUDAGeneratorImplEEEvRNS_18TensorIteratorBaseET_ENKUlvE_clEvENKUlvE4_clEvEUlP25hiprandStatePhilox4_32_10E_ZNS1_27distribution_nullary_kernelIdm15HIP_vector_typeIyLj2EES7_SF_ZZZNS5_IS7_EEvS9_SA_ENKSB_clEvENKSC_clEvEUlmE_EEvS9_T2_RKT3_T4_EUlimE_EEvlNS_15PhiloxCudaStateET1_SK_
    .private_segment_fixed_size: 0
    .sgpr_count:     28
    .sgpr_spill_count: 0
    .symbol:         _ZN2at6native12_GLOBAL__N_143distribution_elementwise_grid_stride_kernelImLi2EZZZNS0_9templates4cuda32random_full_64_bits_range_kernelIPNS_17CUDAGeneratorImplEEEvRNS_18TensorIteratorBaseET_ENKUlvE_clEvENKUlvE4_clEvEUlP25hiprandStatePhilox4_32_10E_ZNS1_27distribution_nullary_kernelIdm15HIP_vector_typeIyLj2EES7_SF_ZZZNS5_IS7_EEvS9_SA_ENKSB_clEvENKSC_clEvEUlmE_EEvS9_T2_RKT3_T4_EUlimE_EEvlNS_15PhiloxCudaStateET1_SK_.kd
    .uniform_work_group_size: 1
    .uses_dynamic_stack: false
    .vgpr_count:     46
    .vgpr_spill_count: 0
    .wavefront_size: 64
  - .agpr_count:     0
    .args:
      - .offset:         0
        .size:           8
        .value_kind:     by_value
      - .offset:         8
        .size:           32
        .value_kind:     by_value
      - .offset:         40
        .size:           1
        .value_kind:     by_value
      - .offset:         48
        .size:           280
        .value_kind:     by_value
      - .offset:         328
        .size:           4
        .value_kind:     hidden_block_count_x
      - .offset:         332
        .size:           4
        .value_kind:     hidden_block_count_y
      - .offset:         336
        .size:           4
        .value_kind:     hidden_block_count_z
      - .offset:         340
        .size:           2
        .value_kind:     hidden_group_size_x
      - .offset:         342
        .size:           2
        .value_kind:     hidden_group_size_y
      - .offset:         344
        .size:           2
        .value_kind:     hidden_group_size_z
      - .offset:         346
        .size:           2
        .value_kind:     hidden_remainder_x
      - .offset:         348
        .size:           2
        .value_kind:     hidden_remainder_y
      - .offset:         350
        .size:           2
        .value_kind:     hidden_remainder_z
      - .offset:         368
        .size:           8
        .value_kind:     hidden_global_offset_x
      - .offset:         376
        .size:           8
        .value_kind:     hidden_global_offset_y
      - .offset:         384
        .size:           8
        .value_kind:     hidden_global_offset_z
      - .offset:         392
        .size:           2
        .value_kind:     hidden_grid_dims
    .group_segment_fixed_size: 0
    .kernarg_segment_align: 8
    .kernarg_segment_size: 584
    .language:       OpenCL C
    .language_version:
      - 2
      - 0
    .max_flat_workgroup_size: 256
    .name:           _ZN2at6native12_GLOBAL__N_143distribution_elementwise_grid_stride_kernelImLi2EZZZNS0_9templates4cuda32random_full_64_bits_range_kernelIPNS_17CUDAGeneratorImplEEEvRNS_18TensorIteratorBaseET_ENKUlvE_clEvENKUlvE4_clEvEUlP25hiprandStatePhilox4_32_10E_ZNS1_27distribution_nullary_kernelIdm15HIP_vector_typeIyLj2EES7_SF_ZZZNS5_IS7_EEvS9_SA_ENKSB_clEvENKSC_clEvEUlmE_EEvS9_T2_RKT3_T4_EUlimE0_EEvlNS_15PhiloxCudaStateET1_SK_
    .private_segment_fixed_size: 0
    .sgpr_count:     67
    .sgpr_spill_count: 0
    .symbol:         _ZN2at6native12_GLOBAL__N_143distribution_elementwise_grid_stride_kernelImLi2EZZZNS0_9templates4cuda32random_full_64_bits_range_kernelIPNS_17CUDAGeneratorImplEEEvRNS_18TensorIteratorBaseET_ENKUlvE_clEvENKUlvE4_clEvEUlP25hiprandStatePhilox4_32_10E_ZNS1_27distribution_nullary_kernelIdm15HIP_vector_typeIyLj2EES7_SF_ZZZNS5_IS7_EEvS9_SA_ENKSB_clEvENKSC_clEvEUlmE_EEvS9_T2_RKT3_T4_EUlimE0_EEvlNS_15PhiloxCudaStateET1_SK_.kd
    .uniform_work_group_size: 1
    .uses_dynamic_stack: false
    .vgpr_count:     41
    .vgpr_spill_count: 0
    .wavefront_size: 64
  - .agpr_count:     0
    .args:
      - .offset:         0
        .size:           8
        .value_kind:     by_value
      - .offset:         8
        .size:           32
        .value_kind:     by_value
      - .offset:         40
        .size:           1
        .value_kind:     by_value
      - .offset:         48
        .size:           16
        .value_kind:     by_value
      - .offset:         64
        .size:           4
        .value_kind:     hidden_block_count_x
      - .offset:         68
        .size:           4
        .value_kind:     hidden_block_count_y
      - .offset:         72
        .size:           4
        .value_kind:     hidden_block_count_z
      - .offset:         76
        .size:           2
        .value_kind:     hidden_group_size_x
      - .offset:         78
        .size:           2
        .value_kind:     hidden_group_size_y
      - .offset:         80
        .size:           2
        .value_kind:     hidden_group_size_z
      - .offset:         82
        .size:           2
        .value_kind:     hidden_remainder_x
      - .offset:         84
        .size:           2
        .value_kind:     hidden_remainder_y
      - .offset:         86
        .size:           2
        .value_kind:     hidden_remainder_z
      - .offset:         104
        .size:           8
        .value_kind:     hidden_global_offset_x
      - .offset:         112
        .size:           8
        .value_kind:     hidden_global_offset_y
      - .offset:         120
        .size:           8
        .value_kind:     hidden_global_offset_z
      - .offset:         128
        .size:           2
        .value_kind:     hidden_grid_dims
    .group_segment_fixed_size: 0
    .kernarg_segment_align: 8
    .kernarg_segment_size: 320
    .language:       OpenCL C
    .language_version:
      - 2
      - 0
    .max_flat_workgroup_size: 256
    .name:           _ZN2at6native12_GLOBAL__N_143distribution_elementwise_grid_stride_kernelImLi2EZZZNS0_9templates4cuda32random_full_64_bits_range_kernelIPNS_17CUDAGeneratorImplEEEvRNS_18TensorIteratorBaseET_ENKUlvE_clEvENKUlvE5_clEvEUlP25hiprandStatePhilox4_32_10E_ZNS1_27distribution_nullary_kernelIfm15HIP_vector_typeIyLj2EES7_SF_ZZZNS5_IS7_EEvS9_SA_ENKSB_clEvENKSC_clEvEUlmE_EEvS9_T2_RKT3_T4_EUlimE_EEvlNS_15PhiloxCudaStateET1_SK_
    .private_segment_fixed_size: 0
    .sgpr_count:     28
    .sgpr_spill_count: 0
    .symbol:         _ZN2at6native12_GLOBAL__N_143distribution_elementwise_grid_stride_kernelImLi2EZZZNS0_9templates4cuda32random_full_64_bits_range_kernelIPNS_17CUDAGeneratorImplEEEvRNS_18TensorIteratorBaseET_ENKUlvE_clEvENKUlvE5_clEvEUlP25hiprandStatePhilox4_32_10E_ZNS1_27distribution_nullary_kernelIfm15HIP_vector_typeIyLj2EES7_SF_ZZZNS5_IS7_EEvS9_SA_ENKSB_clEvENKSC_clEvEUlmE_EEvS9_T2_RKT3_T4_EUlimE_EEvlNS_15PhiloxCudaStateET1_SK_.kd
    .uniform_work_group_size: 1
    .uses_dynamic_stack: false
    .vgpr_count:     46
    .vgpr_spill_count: 0
    .wavefront_size: 64
  - .agpr_count:     0
    .args:
      - .offset:         0
        .size:           8
        .value_kind:     by_value
      - .offset:         8
        .size:           32
        .value_kind:     by_value
      - .offset:         40
        .size:           1
        .value_kind:     by_value
      - .offset:         48
        .size:           280
        .value_kind:     by_value
      - .offset:         328
        .size:           4
        .value_kind:     hidden_block_count_x
      - .offset:         332
        .size:           4
        .value_kind:     hidden_block_count_y
      - .offset:         336
        .size:           4
        .value_kind:     hidden_block_count_z
      - .offset:         340
        .size:           2
        .value_kind:     hidden_group_size_x
      - .offset:         342
        .size:           2
        .value_kind:     hidden_group_size_y
      - .offset:         344
        .size:           2
        .value_kind:     hidden_group_size_z
      - .offset:         346
        .size:           2
        .value_kind:     hidden_remainder_x
      - .offset:         348
        .size:           2
        .value_kind:     hidden_remainder_y
      - .offset:         350
        .size:           2
        .value_kind:     hidden_remainder_z
      - .offset:         368
        .size:           8
        .value_kind:     hidden_global_offset_x
      - .offset:         376
        .size:           8
        .value_kind:     hidden_global_offset_y
      - .offset:         384
        .size:           8
        .value_kind:     hidden_global_offset_z
      - .offset:         392
        .size:           2
        .value_kind:     hidden_grid_dims
    .group_segment_fixed_size: 0
    .kernarg_segment_align: 8
    .kernarg_segment_size: 584
    .language:       OpenCL C
    .language_version:
      - 2
      - 0
    .max_flat_workgroup_size: 256
    .name:           _ZN2at6native12_GLOBAL__N_143distribution_elementwise_grid_stride_kernelImLi2EZZZNS0_9templates4cuda32random_full_64_bits_range_kernelIPNS_17CUDAGeneratorImplEEEvRNS_18TensorIteratorBaseET_ENKUlvE_clEvENKUlvE5_clEvEUlP25hiprandStatePhilox4_32_10E_ZNS1_27distribution_nullary_kernelIfm15HIP_vector_typeIyLj2EES7_SF_ZZZNS5_IS7_EEvS9_SA_ENKSB_clEvENKSC_clEvEUlmE_EEvS9_T2_RKT3_T4_EUlimE0_EEvlNS_15PhiloxCudaStateET1_SK_
    .private_segment_fixed_size: 0
    .sgpr_count:     67
    .sgpr_spill_count: 0
    .symbol:         _ZN2at6native12_GLOBAL__N_143distribution_elementwise_grid_stride_kernelImLi2EZZZNS0_9templates4cuda32random_full_64_bits_range_kernelIPNS_17CUDAGeneratorImplEEEvRNS_18TensorIteratorBaseET_ENKUlvE_clEvENKUlvE5_clEvEUlP25hiprandStatePhilox4_32_10E_ZNS1_27distribution_nullary_kernelIfm15HIP_vector_typeIyLj2EES7_SF_ZZZNS5_IS7_EEvS9_SA_ENKSB_clEvENKSC_clEvEUlmE_EEvS9_T2_RKT3_T4_EUlimE0_EEvlNS_15PhiloxCudaStateET1_SK_.kd
    .uniform_work_group_size: 1
    .uses_dynamic_stack: false
    .vgpr_count:     41
    .vgpr_spill_count: 0
    .wavefront_size: 64
  - .agpr_count:     0
    .args:
      - .offset:         0
        .size:           8
        .value_kind:     by_value
      - .offset:         8
        .size:           32
        .value_kind:     by_value
      - .offset:         40
        .size:           1
        .value_kind:     by_value
      - .offset:         48
        .size:           16
        .value_kind:     by_value
      - .offset:         64
        .size:           4
        .value_kind:     hidden_block_count_x
      - .offset:         68
        .size:           4
        .value_kind:     hidden_block_count_y
      - .offset:         72
        .size:           4
        .value_kind:     hidden_block_count_z
      - .offset:         76
        .size:           2
        .value_kind:     hidden_group_size_x
      - .offset:         78
        .size:           2
        .value_kind:     hidden_group_size_y
      - .offset:         80
        .size:           2
        .value_kind:     hidden_group_size_z
      - .offset:         82
        .size:           2
        .value_kind:     hidden_remainder_x
      - .offset:         84
        .size:           2
        .value_kind:     hidden_remainder_y
      - .offset:         86
        .size:           2
        .value_kind:     hidden_remainder_z
      - .offset:         104
        .size:           8
        .value_kind:     hidden_global_offset_x
      - .offset:         112
        .size:           8
        .value_kind:     hidden_global_offset_y
      - .offset:         120
        .size:           8
        .value_kind:     hidden_global_offset_z
      - .offset:         128
        .size:           2
        .value_kind:     hidden_grid_dims
    .group_segment_fixed_size: 0
    .kernarg_segment_align: 8
    .kernarg_segment_size: 320
    .language:       OpenCL C
    .language_version:
      - 2
      - 0
    .max_flat_workgroup_size: 256
    .name:           _ZN2at6native12_GLOBAL__N_143distribution_elementwise_grid_stride_kernelImLi2EZZZNS0_9templates4cuda32random_full_64_bits_range_kernelIPNS_17CUDAGeneratorImplEEEvRNS_18TensorIteratorBaseET_ENKUlvE_clEvENKUlvE6_clEvEUlP25hiprandStatePhilox4_32_10E_ZNS1_27distribution_nullary_kernelIN3c108BFloat16Em15HIP_vector_typeIyLj2EES7_SF_ZZZNS5_IS7_EEvS9_SA_ENKSB_clEvENKSC_clEvEUlmE_EEvS9_T2_RKT3_T4_EUlimE_EEvlNS_15PhiloxCudaStateET1_SM_
    .private_segment_fixed_size: 0
    .sgpr_count:     28
    .sgpr_spill_count: 0
    .symbol:         _ZN2at6native12_GLOBAL__N_143distribution_elementwise_grid_stride_kernelImLi2EZZZNS0_9templates4cuda32random_full_64_bits_range_kernelIPNS_17CUDAGeneratorImplEEEvRNS_18TensorIteratorBaseET_ENKUlvE_clEvENKUlvE6_clEvEUlP25hiprandStatePhilox4_32_10E_ZNS1_27distribution_nullary_kernelIN3c108BFloat16Em15HIP_vector_typeIyLj2EES7_SF_ZZZNS5_IS7_EEvS9_SA_ENKSB_clEvENKSC_clEvEUlmE_EEvS9_T2_RKT3_T4_EUlimE_EEvlNS_15PhiloxCudaStateET1_SM_.kd
    .uniform_work_group_size: 1
    .uses_dynamic_stack: false
    .vgpr_count:     46
    .vgpr_spill_count: 0
    .wavefront_size: 64
  - .agpr_count:     0
    .args:
      - .offset:         0
        .size:           8
        .value_kind:     by_value
      - .offset:         8
        .size:           32
        .value_kind:     by_value
      - .offset:         40
        .size:           1
        .value_kind:     by_value
      - .offset:         48
        .size:           280
        .value_kind:     by_value
      - .offset:         328
        .size:           4
        .value_kind:     hidden_block_count_x
      - .offset:         332
        .size:           4
        .value_kind:     hidden_block_count_y
      - .offset:         336
        .size:           4
        .value_kind:     hidden_block_count_z
      - .offset:         340
        .size:           2
        .value_kind:     hidden_group_size_x
      - .offset:         342
        .size:           2
        .value_kind:     hidden_group_size_y
      - .offset:         344
        .size:           2
        .value_kind:     hidden_group_size_z
      - .offset:         346
        .size:           2
        .value_kind:     hidden_remainder_x
      - .offset:         348
        .size:           2
        .value_kind:     hidden_remainder_y
      - .offset:         350
        .size:           2
        .value_kind:     hidden_remainder_z
      - .offset:         368
        .size:           8
        .value_kind:     hidden_global_offset_x
      - .offset:         376
        .size:           8
        .value_kind:     hidden_global_offset_y
      - .offset:         384
        .size:           8
        .value_kind:     hidden_global_offset_z
      - .offset:         392
        .size:           2
        .value_kind:     hidden_grid_dims
    .group_segment_fixed_size: 0
    .kernarg_segment_align: 8
    .kernarg_segment_size: 584
    .language:       OpenCL C
    .language_version:
      - 2
      - 0
    .max_flat_workgroup_size: 256
    .name:           _ZN2at6native12_GLOBAL__N_143distribution_elementwise_grid_stride_kernelImLi2EZZZNS0_9templates4cuda32random_full_64_bits_range_kernelIPNS_17CUDAGeneratorImplEEEvRNS_18TensorIteratorBaseET_ENKUlvE_clEvENKUlvE6_clEvEUlP25hiprandStatePhilox4_32_10E_ZNS1_27distribution_nullary_kernelIN3c108BFloat16Em15HIP_vector_typeIyLj2EES7_SF_ZZZNS5_IS7_EEvS9_SA_ENKSB_clEvENKSC_clEvEUlmE_EEvS9_T2_RKT3_T4_EUlimE0_EEvlNS_15PhiloxCudaStateET1_SM_
    .private_segment_fixed_size: 0
    .sgpr_count:     68
    .sgpr_spill_count: 0
    .symbol:         _ZN2at6native12_GLOBAL__N_143distribution_elementwise_grid_stride_kernelImLi2EZZZNS0_9templates4cuda32random_full_64_bits_range_kernelIPNS_17CUDAGeneratorImplEEEvRNS_18TensorIteratorBaseET_ENKUlvE_clEvENKUlvE6_clEvEUlP25hiprandStatePhilox4_32_10E_ZNS1_27distribution_nullary_kernelIN3c108BFloat16Em15HIP_vector_typeIyLj2EES7_SF_ZZZNS5_IS7_EEvS9_SA_ENKSB_clEvENKSC_clEvEUlmE_EEvS9_T2_RKT3_T4_EUlimE0_EEvlNS_15PhiloxCudaStateET1_SM_.kd
    .uniform_work_group_size: 1
    .uses_dynamic_stack: false
    .vgpr_count:     41
    .vgpr_spill_count: 0
    .wavefront_size: 64
  - .agpr_count:     0
    .args:
      - .offset:         0
        .size:           8
        .value_kind:     by_value
      - .offset:         8
        .size:           32
        .value_kind:     by_value
      - .offset:         40
        .size:           1
        .value_kind:     by_value
      - .offset:         48
        .size:           16
        .value_kind:     by_value
      - .offset:         64
        .size:           4
        .value_kind:     hidden_block_count_x
      - .offset:         68
        .size:           4
        .value_kind:     hidden_block_count_y
      - .offset:         72
        .size:           4
        .value_kind:     hidden_block_count_z
      - .offset:         76
        .size:           2
        .value_kind:     hidden_group_size_x
      - .offset:         78
        .size:           2
        .value_kind:     hidden_group_size_y
      - .offset:         80
        .size:           2
        .value_kind:     hidden_group_size_z
      - .offset:         82
        .size:           2
        .value_kind:     hidden_remainder_x
      - .offset:         84
        .size:           2
        .value_kind:     hidden_remainder_y
      - .offset:         86
        .size:           2
        .value_kind:     hidden_remainder_z
      - .offset:         104
        .size:           8
        .value_kind:     hidden_global_offset_x
      - .offset:         112
        .size:           8
        .value_kind:     hidden_global_offset_y
      - .offset:         120
        .size:           8
        .value_kind:     hidden_global_offset_z
      - .offset:         128
        .size:           2
        .value_kind:     hidden_grid_dims
    .group_segment_fixed_size: 0
    .kernarg_segment_align: 8
    .kernarg_segment_size: 320
    .language:       OpenCL C
    .language_version:
      - 2
      - 0
    .max_flat_workgroup_size: 256
    .name:           _ZN2at6native12_GLOBAL__N_143distribution_elementwise_grid_stride_kernelImLi2EZZZNS0_9templates4cuda13random_kernelIPNS_17CUDAGeneratorImplEEEvRNS_18TensorIteratorBaseET_ENKUlvE_clEvENKUlvE_clEvEUlP25hiprandStatePhilox4_32_10E_ZNS1_27distribution_nullary_kernelIhm15HIP_vector_typeIyLj2EES7_SF_ZZZNS5_IS7_EEvS9_SA_ENKSB_clEvENKSC_clEvEUlmE_EEvS9_T2_RKT3_T4_EUlimE_EEvlNS_15PhiloxCudaStateET1_SK_
    .private_segment_fixed_size: 0
    .sgpr_count:     28
    .sgpr_spill_count: 0
    .symbol:         _ZN2at6native12_GLOBAL__N_143distribution_elementwise_grid_stride_kernelImLi2EZZZNS0_9templates4cuda13random_kernelIPNS_17CUDAGeneratorImplEEEvRNS_18TensorIteratorBaseET_ENKUlvE_clEvENKUlvE_clEvEUlP25hiprandStatePhilox4_32_10E_ZNS1_27distribution_nullary_kernelIhm15HIP_vector_typeIyLj2EES7_SF_ZZZNS5_IS7_EEvS9_SA_ENKSB_clEvENKSC_clEvEUlmE_EEvS9_T2_RKT3_T4_EUlimE_EEvlNS_15PhiloxCudaStateET1_SK_.kd
    .uniform_work_group_size: 1
    .uses_dynamic_stack: false
    .vgpr_count:     44
    .vgpr_spill_count: 0
    .wavefront_size: 64
  - .agpr_count:     0
    .args:
      - .offset:         0
        .size:           8
        .value_kind:     by_value
      - .offset:         8
        .size:           32
        .value_kind:     by_value
      - .offset:         40
        .size:           1
        .value_kind:     by_value
      - .offset:         48
        .size:           280
        .value_kind:     by_value
      - .offset:         328
        .size:           4
        .value_kind:     hidden_block_count_x
      - .offset:         332
        .size:           4
        .value_kind:     hidden_block_count_y
      - .offset:         336
        .size:           4
        .value_kind:     hidden_block_count_z
      - .offset:         340
        .size:           2
        .value_kind:     hidden_group_size_x
      - .offset:         342
        .size:           2
        .value_kind:     hidden_group_size_y
      - .offset:         344
        .size:           2
        .value_kind:     hidden_group_size_z
      - .offset:         346
        .size:           2
        .value_kind:     hidden_remainder_x
      - .offset:         348
        .size:           2
        .value_kind:     hidden_remainder_y
      - .offset:         350
        .size:           2
        .value_kind:     hidden_remainder_z
      - .offset:         368
        .size:           8
        .value_kind:     hidden_global_offset_x
      - .offset:         376
        .size:           8
        .value_kind:     hidden_global_offset_y
      - .offset:         384
        .size:           8
        .value_kind:     hidden_global_offset_z
      - .offset:         392
        .size:           2
        .value_kind:     hidden_grid_dims
    .group_segment_fixed_size: 0
    .kernarg_segment_align: 8
    .kernarg_segment_size: 584
    .language:       OpenCL C
    .language_version:
      - 2
      - 0
    .max_flat_workgroup_size: 256
    .name:           _ZN2at6native12_GLOBAL__N_143distribution_elementwise_grid_stride_kernelImLi2EZZZNS0_9templates4cuda13random_kernelIPNS_17CUDAGeneratorImplEEEvRNS_18TensorIteratorBaseET_ENKUlvE_clEvENKUlvE_clEvEUlP25hiprandStatePhilox4_32_10E_ZNS1_27distribution_nullary_kernelIhm15HIP_vector_typeIyLj2EES7_SF_ZZZNS5_IS7_EEvS9_SA_ENKSB_clEvENKSC_clEvEUlmE_EEvS9_T2_RKT3_T4_EUlimE0_EEvlNS_15PhiloxCudaStateET1_SK_
    .private_segment_fixed_size: 0
    .sgpr_count:     67
    .sgpr_spill_count: 0
    .symbol:         _ZN2at6native12_GLOBAL__N_143distribution_elementwise_grid_stride_kernelImLi2EZZZNS0_9templates4cuda13random_kernelIPNS_17CUDAGeneratorImplEEEvRNS_18TensorIteratorBaseET_ENKUlvE_clEvENKUlvE_clEvEUlP25hiprandStatePhilox4_32_10E_ZNS1_27distribution_nullary_kernelIhm15HIP_vector_typeIyLj2EES7_SF_ZZZNS5_IS7_EEvS9_SA_ENKSB_clEvENKSC_clEvEUlmE_EEvS9_T2_RKT3_T4_EUlimE0_EEvlNS_15PhiloxCudaStateET1_SK_.kd
    .uniform_work_group_size: 1
    .uses_dynamic_stack: false
    .vgpr_count:     42
    .vgpr_spill_count: 0
    .wavefront_size: 64
  - .agpr_count:     0
    .args:
      - .offset:         0
        .size:           8
        .value_kind:     by_value
      - .offset:         8
        .size:           32
        .value_kind:     by_value
      - .offset:         40
        .size:           1
        .value_kind:     by_value
      - .offset:         48
        .size:           16
        .value_kind:     by_value
      - .offset:         64
        .size:           4
        .value_kind:     hidden_block_count_x
      - .offset:         68
        .size:           4
        .value_kind:     hidden_block_count_y
      - .offset:         72
        .size:           4
        .value_kind:     hidden_block_count_z
      - .offset:         76
        .size:           2
        .value_kind:     hidden_group_size_x
      - .offset:         78
        .size:           2
        .value_kind:     hidden_group_size_y
      - .offset:         80
        .size:           2
        .value_kind:     hidden_group_size_z
      - .offset:         82
        .size:           2
        .value_kind:     hidden_remainder_x
      - .offset:         84
        .size:           2
        .value_kind:     hidden_remainder_y
      - .offset:         86
        .size:           2
        .value_kind:     hidden_remainder_z
      - .offset:         104
        .size:           8
        .value_kind:     hidden_global_offset_x
      - .offset:         112
        .size:           8
        .value_kind:     hidden_global_offset_y
      - .offset:         120
        .size:           8
        .value_kind:     hidden_global_offset_z
      - .offset:         128
        .size:           2
        .value_kind:     hidden_grid_dims
    .group_segment_fixed_size: 0
    .kernarg_segment_align: 8
    .kernarg_segment_size: 320
    .language:       OpenCL C
    .language_version:
      - 2
      - 0
    .max_flat_workgroup_size: 256
    .name:           _ZN2at6native12_GLOBAL__N_143distribution_elementwise_grid_stride_kernelIjLi4EZZZNS0_9templates4cuda13random_kernelIPNS_17CUDAGeneratorImplEEEvRNS_18TensorIteratorBaseET_ENKUlvE_clEvENKUlvE_clEvEUlP25hiprandStatePhilox4_32_10E0_ZNS1_27distribution_nullary_kernelIhj15HIP_vector_typeIjLj4EES7_SF_ZZZNS5_IS7_EEvS9_SA_ENKSB_clEvENKSC_clEvEUljE_EEvS9_T2_RKT3_T4_EUlijE_EEvlNS_15PhiloxCudaStateET1_SK_
    .private_segment_fixed_size: 0
    .sgpr_count:     28
    .sgpr_spill_count: 0
    .symbol:         _ZN2at6native12_GLOBAL__N_143distribution_elementwise_grid_stride_kernelIjLi4EZZZNS0_9templates4cuda13random_kernelIPNS_17CUDAGeneratorImplEEEvRNS_18TensorIteratorBaseET_ENKUlvE_clEvENKUlvE_clEvEUlP25hiprandStatePhilox4_32_10E0_ZNS1_27distribution_nullary_kernelIhj15HIP_vector_typeIjLj4EES7_SF_ZZZNS5_IS7_EEvS9_SA_ENKSB_clEvENKSC_clEvEUljE_EEvS9_T2_RKT3_T4_EUlijE_EEvlNS_15PhiloxCudaStateET1_SK_.kd
    .uniform_work_group_size: 1
    .uses_dynamic_stack: false
    .vgpr_count:     48
    .vgpr_spill_count: 0
    .wavefront_size: 64
  - .agpr_count:     0
    .args:
      - .offset:         0
        .size:           8
        .value_kind:     by_value
      - .offset:         8
        .size:           32
        .value_kind:     by_value
      - .offset:         40
        .size:           1
        .value_kind:     by_value
      - .offset:         48
        .size:           280
        .value_kind:     by_value
      - .offset:         328
        .size:           4
        .value_kind:     hidden_block_count_x
      - .offset:         332
        .size:           4
        .value_kind:     hidden_block_count_y
      - .offset:         336
        .size:           4
        .value_kind:     hidden_block_count_z
      - .offset:         340
        .size:           2
        .value_kind:     hidden_group_size_x
      - .offset:         342
        .size:           2
        .value_kind:     hidden_group_size_y
      - .offset:         344
        .size:           2
        .value_kind:     hidden_group_size_z
      - .offset:         346
        .size:           2
        .value_kind:     hidden_remainder_x
      - .offset:         348
        .size:           2
        .value_kind:     hidden_remainder_y
      - .offset:         350
        .size:           2
        .value_kind:     hidden_remainder_z
      - .offset:         368
        .size:           8
        .value_kind:     hidden_global_offset_x
      - .offset:         376
        .size:           8
        .value_kind:     hidden_global_offset_y
      - .offset:         384
        .size:           8
        .value_kind:     hidden_global_offset_z
      - .offset:         392
        .size:           2
        .value_kind:     hidden_grid_dims
    .group_segment_fixed_size: 0
    .kernarg_segment_align: 8
    .kernarg_segment_size: 584
    .language:       OpenCL C
    .language_version:
      - 2
      - 0
    .max_flat_workgroup_size: 256
    .name:           _ZN2at6native12_GLOBAL__N_143distribution_elementwise_grid_stride_kernelIjLi4EZZZNS0_9templates4cuda13random_kernelIPNS_17CUDAGeneratorImplEEEvRNS_18TensorIteratorBaseET_ENKUlvE_clEvENKUlvE_clEvEUlP25hiprandStatePhilox4_32_10E0_ZNS1_27distribution_nullary_kernelIhj15HIP_vector_typeIjLj4EES7_SF_ZZZNS5_IS7_EEvS9_SA_ENKSB_clEvENKSC_clEvEUljE_EEvS9_T2_RKT3_T4_EUlijE0_EEvlNS_15PhiloxCudaStateET1_SK_
    .private_segment_fixed_size: 0
    .sgpr_count:     71
    .sgpr_spill_count: 0
    .symbol:         _ZN2at6native12_GLOBAL__N_143distribution_elementwise_grid_stride_kernelIjLi4EZZZNS0_9templates4cuda13random_kernelIPNS_17CUDAGeneratorImplEEEvRNS_18TensorIteratorBaseET_ENKUlvE_clEvENKUlvE_clEvEUlP25hiprandStatePhilox4_32_10E0_ZNS1_27distribution_nullary_kernelIhj15HIP_vector_typeIjLj4EES7_SF_ZZZNS5_IS7_EEvS9_SA_ENKSB_clEvENKSC_clEvEUljE_EEvS9_T2_RKT3_T4_EUlijE0_EEvlNS_15PhiloxCudaStateET1_SK_.kd
    .uniform_work_group_size: 1
    .uses_dynamic_stack: false
    .vgpr_count:     41
    .vgpr_spill_count: 0
    .wavefront_size: 64
  - .agpr_count:     0
    .args:
      - .offset:         0
        .size:           8
        .value_kind:     by_value
      - .offset:         8
        .size:           32
        .value_kind:     by_value
      - .offset:         40
        .size:           1
        .value_kind:     by_value
      - .offset:         48
        .size:           16
        .value_kind:     by_value
      - .offset:         64
        .size:           4
        .value_kind:     hidden_block_count_x
      - .offset:         68
        .size:           4
        .value_kind:     hidden_block_count_y
      - .offset:         72
        .size:           4
        .value_kind:     hidden_block_count_z
      - .offset:         76
        .size:           2
        .value_kind:     hidden_group_size_x
      - .offset:         78
        .size:           2
        .value_kind:     hidden_group_size_y
      - .offset:         80
        .size:           2
        .value_kind:     hidden_group_size_z
      - .offset:         82
        .size:           2
        .value_kind:     hidden_remainder_x
      - .offset:         84
        .size:           2
        .value_kind:     hidden_remainder_y
      - .offset:         86
        .size:           2
        .value_kind:     hidden_remainder_z
      - .offset:         104
        .size:           8
        .value_kind:     hidden_global_offset_x
      - .offset:         112
        .size:           8
        .value_kind:     hidden_global_offset_y
      - .offset:         120
        .size:           8
        .value_kind:     hidden_global_offset_z
      - .offset:         128
        .size:           2
        .value_kind:     hidden_grid_dims
    .group_segment_fixed_size: 0
    .kernarg_segment_align: 8
    .kernarg_segment_size: 320
    .language:       OpenCL C
    .language_version:
      - 2
      - 0
    .max_flat_workgroup_size: 256
    .name:           _ZN2at6native12_GLOBAL__N_143distribution_elementwise_grid_stride_kernelImLi2EZZZNS0_9templates4cuda13random_kernelIPNS_17CUDAGeneratorImplEEEvRNS_18TensorIteratorBaseET_ENKUlvE_clEvENKUlvE0_clEvEUlP25hiprandStatePhilox4_32_10E_ZNS1_27distribution_nullary_kernelIam15HIP_vector_typeIyLj2EES7_SF_ZZZNS5_IS7_EEvS9_SA_ENKSB_clEvENKSC_clEvEUlmE_EEvS9_T2_RKT3_T4_EUlimE_EEvlNS_15PhiloxCudaStateET1_SK_
    .private_segment_fixed_size: 0
    .sgpr_count:     28
    .sgpr_spill_count: 0
    .symbol:         _ZN2at6native12_GLOBAL__N_143distribution_elementwise_grid_stride_kernelImLi2EZZZNS0_9templates4cuda13random_kernelIPNS_17CUDAGeneratorImplEEEvRNS_18TensorIteratorBaseET_ENKUlvE_clEvENKUlvE0_clEvEUlP25hiprandStatePhilox4_32_10E_ZNS1_27distribution_nullary_kernelIam15HIP_vector_typeIyLj2EES7_SF_ZZZNS5_IS7_EEvS9_SA_ENKSB_clEvENKSC_clEvEUlmE_EEvS9_T2_RKT3_T4_EUlimE_EEvlNS_15PhiloxCudaStateET1_SK_.kd
    .uniform_work_group_size: 1
    .uses_dynamic_stack: false
    .vgpr_count:     44
    .vgpr_spill_count: 0
    .wavefront_size: 64
  - .agpr_count:     0
    .args:
      - .offset:         0
        .size:           8
        .value_kind:     by_value
      - .offset:         8
        .size:           32
        .value_kind:     by_value
      - .offset:         40
        .size:           1
        .value_kind:     by_value
      - .offset:         48
        .size:           280
        .value_kind:     by_value
      - .offset:         328
        .size:           4
        .value_kind:     hidden_block_count_x
      - .offset:         332
        .size:           4
        .value_kind:     hidden_block_count_y
      - .offset:         336
        .size:           4
        .value_kind:     hidden_block_count_z
      - .offset:         340
        .size:           2
        .value_kind:     hidden_group_size_x
      - .offset:         342
        .size:           2
        .value_kind:     hidden_group_size_y
      - .offset:         344
        .size:           2
        .value_kind:     hidden_group_size_z
      - .offset:         346
        .size:           2
        .value_kind:     hidden_remainder_x
      - .offset:         348
        .size:           2
        .value_kind:     hidden_remainder_y
      - .offset:         350
        .size:           2
        .value_kind:     hidden_remainder_z
      - .offset:         368
        .size:           8
        .value_kind:     hidden_global_offset_x
      - .offset:         376
        .size:           8
        .value_kind:     hidden_global_offset_y
      - .offset:         384
        .size:           8
        .value_kind:     hidden_global_offset_z
      - .offset:         392
        .size:           2
        .value_kind:     hidden_grid_dims
    .group_segment_fixed_size: 0
    .kernarg_segment_align: 8
    .kernarg_segment_size: 584
    .language:       OpenCL C
    .language_version:
      - 2
      - 0
    .max_flat_workgroup_size: 256
    .name:           _ZN2at6native12_GLOBAL__N_143distribution_elementwise_grid_stride_kernelImLi2EZZZNS0_9templates4cuda13random_kernelIPNS_17CUDAGeneratorImplEEEvRNS_18TensorIteratorBaseET_ENKUlvE_clEvENKUlvE0_clEvEUlP25hiprandStatePhilox4_32_10E_ZNS1_27distribution_nullary_kernelIam15HIP_vector_typeIyLj2EES7_SF_ZZZNS5_IS7_EEvS9_SA_ENKSB_clEvENKSC_clEvEUlmE_EEvS9_T2_RKT3_T4_EUlimE0_EEvlNS_15PhiloxCudaStateET1_SK_
    .private_segment_fixed_size: 0
    .sgpr_count:     67
    .sgpr_spill_count: 0
    .symbol:         _ZN2at6native12_GLOBAL__N_143distribution_elementwise_grid_stride_kernelImLi2EZZZNS0_9templates4cuda13random_kernelIPNS_17CUDAGeneratorImplEEEvRNS_18TensorIteratorBaseET_ENKUlvE_clEvENKUlvE0_clEvEUlP25hiprandStatePhilox4_32_10E_ZNS1_27distribution_nullary_kernelIam15HIP_vector_typeIyLj2EES7_SF_ZZZNS5_IS7_EEvS9_SA_ENKSB_clEvENKSC_clEvEUlmE_EEvS9_T2_RKT3_T4_EUlimE0_EEvlNS_15PhiloxCudaStateET1_SK_.kd
    .uniform_work_group_size: 1
    .uses_dynamic_stack: false
    .vgpr_count:     42
    .vgpr_spill_count: 0
    .wavefront_size: 64
  - .agpr_count:     0
    .args:
      - .offset:         0
        .size:           8
        .value_kind:     by_value
      - .offset:         8
        .size:           32
        .value_kind:     by_value
      - .offset:         40
        .size:           1
        .value_kind:     by_value
      - .offset:         48
        .size:           16
        .value_kind:     by_value
      - .offset:         64
        .size:           4
        .value_kind:     hidden_block_count_x
      - .offset:         68
        .size:           4
        .value_kind:     hidden_block_count_y
      - .offset:         72
        .size:           4
        .value_kind:     hidden_block_count_z
      - .offset:         76
        .size:           2
        .value_kind:     hidden_group_size_x
      - .offset:         78
        .size:           2
        .value_kind:     hidden_group_size_y
      - .offset:         80
        .size:           2
        .value_kind:     hidden_group_size_z
      - .offset:         82
        .size:           2
        .value_kind:     hidden_remainder_x
      - .offset:         84
        .size:           2
        .value_kind:     hidden_remainder_y
      - .offset:         86
        .size:           2
        .value_kind:     hidden_remainder_z
      - .offset:         104
        .size:           8
        .value_kind:     hidden_global_offset_x
      - .offset:         112
        .size:           8
        .value_kind:     hidden_global_offset_y
      - .offset:         120
        .size:           8
        .value_kind:     hidden_global_offset_z
      - .offset:         128
        .size:           2
        .value_kind:     hidden_grid_dims
    .group_segment_fixed_size: 0
    .kernarg_segment_align: 8
    .kernarg_segment_size: 320
    .language:       OpenCL C
    .language_version:
      - 2
      - 0
    .max_flat_workgroup_size: 256
    .name:           _ZN2at6native12_GLOBAL__N_143distribution_elementwise_grid_stride_kernelIjLi4EZZZNS0_9templates4cuda13random_kernelIPNS_17CUDAGeneratorImplEEEvRNS_18TensorIteratorBaseET_ENKUlvE_clEvENKUlvE0_clEvEUlP25hiprandStatePhilox4_32_10E0_ZNS1_27distribution_nullary_kernelIaj15HIP_vector_typeIjLj4EES7_SF_ZZZNS5_IS7_EEvS9_SA_ENKSB_clEvENKSC_clEvEUljE_EEvS9_T2_RKT3_T4_EUlijE_EEvlNS_15PhiloxCudaStateET1_SK_
    .private_segment_fixed_size: 0
    .sgpr_count:     28
    .sgpr_spill_count: 0
    .symbol:         _ZN2at6native12_GLOBAL__N_143distribution_elementwise_grid_stride_kernelIjLi4EZZZNS0_9templates4cuda13random_kernelIPNS_17CUDAGeneratorImplEEEvRNS_18TensorIteratorBaseET_ENKUlvE_clEvENKUlvE0_clEvEUlP25hiprandStatePhilox4_32_10E0_ZNS1_27distribution_nullary_kernelIaj15HIP_vector_typeIjLj4EES7_SF_ZZZNS5_IS7_EEvS9_SA_ENKSB_clEvENKSC_clEvEUljE_EEvS9_T2_RKT3_T4_EUlijE_EEvlNS_15PhiloxCudaStateET1_SK_.kd
    .uniform_work_group_size: 1
    .uses_dynamic_stack: false
    .vgpr_count:     48
    .vgpr_spill_count: 0
    .wavefront_size: 64
  - .agpr_count:     0
    .args:
      - .offset:         0
        .size:           8
        .value_kind:     by_value
      - .offset:         8
        .size:           32
        .value_kind:     by_value
      - .offset:         40
        .size:           1
        .value_kind:     by_value
      - .offset:         48
        .size:           280
        .value_kind:     by_value
      - .offset:         328
        .size:           4
        .value_kind:     hidden_block_count_x
      - .offset:         332
        .size:           4
        .value_kind:     hidden_block_count_y
      - .offset:         336
        .size:           4
        .value_kind:     hidden_block_count_z
      - .offset:         340
        .size:           2
        .value_kind:     hidden_group_size_x
      - .offset:         342
        .size:           2
        .value_kind:     hidden_group_size_y
      - .offset:         344
        .size:           2
        .value_kind:     hidden_group_size_z
      - .offset:         346
        .size:           2
        .value_kind:     hidden_remainder_x
      - .offset:         348
        .size:           2
        .value_kind:     hidden_remainder_y
      - .offset:         350
        .size:           2
        .value_kind:     hidden_remainder_z
      - .offset:         368
        .size:           8
        .value_kind:     hidden_global_offset_x
      - .offset:         376
        .size:           8
        .value_kind:     hidden_global_offset_y
      - .offset:         384
        .size:           8
        .value_kind:     hidden_global_offset_z
      - .offset:         392
        .size:           2
        .value_kind:     hidden_grid_dims
    .group_segment_fixed_size: 0
    .kernarg_segment_align: 8
    .kernarg_segment_size: 584
    .language:       OpenCL C
    .language_version:
      - 2
      - 0
    .max_flat_workgroup_size: 256
    .name:           _ZN2at6native12_GLOBAL__N_143distribution_elementwise_grid_stride_kernelIjLi4EZZZNS0_9templates4cuda13random_kernelIPNS_17CUDAGeneratorImplEEEvRNS_18TensorIteratorBaseET_ENKUlvE_clEvENKUlvE0_clEvEUlP25hiprandStatePhilox4_32_10E0_ZNS1_27distribution_nullary_kernelIaj15HIP_vector_typeIjLj4EES7_SF_ZZZNS5_IS7_EEvS9_SA_ENKSB_clEvENKSC_clEvEUljE_EEvS9_T2_RKT3_T4_EUlijE0_EEvlNS_15PhiloxCudaStateET1_SK_
    .private_segment_fixed_size: 0
    .sgpr_count:     71
    .sgpr_spill_count: 0
    .symbol:         _ZN2at6native12_GLOBAL__N_143distribution_elementwise_grid_stride_kernelIjLi4EZZZNS0_9templates4cuda13random_kernelIPNS_17CUDAGeneratorImplEEEvRNS_18TensorIteratorBaseET_ENKUlvE_clEvENKUlvE0_clEvEUlP25hiprandStatePhilox4_32_10E0_ZNS1_27distribution_nullary_kernelIaj15HIP_vector_typeIjLj4EES7_SF_ZZZNS5_IS7_EEvS9_SA_ENKSB_clEvENKSC_clEvEUljE_EEvS9_T2_RKT3_T4_EUlijE0_EEvlNS_15PhiloxCudaStateET1_SK_.kd
    .uniform_work_group_size: 1
    .uses_dynamic_stack: false
    .vgpr_count:     41
    .vgpr_spill_count: 0
    .wavefront_size: 64
  - .agpr_count:     0
    .args:
      - .offset:         0
        .size:           8
        .value_kind:     by_value
      - .offset:         8
        .size:           32
        .value_kind:     by_value
      - .offset:         40
        .size:           1
        .value_kind:     by_value
      - .offset:         48
        .size:           16
        .value_kind:     by_value
      - .offset:         64
        .size:           4
        .value_kind:     hidden_block_count_x
      - .offset:         68
        .size:           4
        .value_kind:     hidden_block_count_y
      - .offset:         72
        .size:           4
        .value_kind:     hidden_block_count_z
      - .offset:         76
        .size:           2
        .value_kind:     hidden_group_size_x
      - .offset:         78
        .size:           2
        .value_kind:     hidden_group_size_y
      - .offset:         80
        .size:           2
        .value_kind:     hidden_group_size_z
      - .offset:         82
        .size:           2
        .value_kind:     hidden_remainder_x
      - .offset:         84
        .size:           2
        .value_kind:     hidden_remainder_y
      - .offset:         86
        .size:           2
        .value_kind:     hidden_remainder_z
      - .offset:         104
        .size:           8
        .value_kind:     hidden_global_offset_x
      - .offset:         112
        .size:           8
        .value_kind:     hidden_global_offset_y
      - .offset:         120
        .size:           8
        .value_kind:     hidden_global_offset_z
      - .offset:         128
        .size:           2
        .value_kind:     hidden_grid_dims
    .group_segment_fixed_size: 0
    .kernarg_segment_align: 8
    .kernarg_segment_size: 320
    .language:       OpenCL C
    .language_version:
      - 2
      - 0
    .max_flat_workgroup_size: 256
    .name:           _ZN2at6native12_GLOBAL__N_143distribution_elementwise_grid_stride_kernelImLi2EZZZNS0_9templates4cuda13random_kernelIPNS_17CUDAGeneratorImplEEEvRNS_18TensorIteratorBaseET_ENKUlvE_clEvENKUlvE1_clEvEUlP25hiprandStatePhilox4_32_10E_ZNS1_27distribution_nullary_kernelIim15HIP_vector_typeIyLj2EES7_SF_ZZZNS5_IS7_EEvS9_SA_ENKSB_clEvENKSC_clEvEUlmE_EEvS9_T2_RKT3_T4_EUlimE_EEvlNS_15PhiloxCudaStateET1_SK_
    .private_segment_fixed_size: 0
    .sgpr_count:     28
    .sgpr_spill_count: 0
    .symbol:         _ZN2at6native12_GLOBAL__N_143distribution_elementwise_grid_stride_kernelImLi2EZZZNS0_9templates4cuda13random_kernelIPNS_17CUDAGeneratorImplEEEvRNS_18TensorIteratorBaseET_ENKUlvE_clEvENKUlvE1_clEvEUlP25hiprandStatePhilox4_32_10E_ZNS1_27distribution_nullary_kernelIim15HIP_vector_typeIyLj2EES7_SF_ZZZNS5_IS7_EEvS9_SA_ENKSB_clEvENKSC_clEvEUlmE_EEvS9_T2_RKT3_T4_EUlimE_EEvlNS_15PhiloxCudaStateET1_SK_.kd
    .uniform_work_group_size: 1
    .uses_dynamic_stack: false
    .vgpr_count:     44
    .vgpr_spill_count: 0
    .wavefront_size: 64
  - .agpr_count:     0
    .args:
      - .offset:         0
        .size:           8
        .value_kind:     by_value
      - .offset:         8
        .size:           32
        .value_kind:     by_value
      - .offset:         40
        .size:           1
        .value_kind:     by_value
      - .offset:         48
        .size:           280
        .value_kind:     by_value
      - .offset:         328
        .size:           4
        .value_kind:     hidden_block_count_x
      - .offset:         332
        .size:           4
        .value_kind:     hidden_block_count_y
      - .offset:         336
        .size:           4
        .value_kind:     hidden_block_count_z
      - .offset:         340
        .size:           2
        .value_kind:     hidden_group_size_x
      - .offset:         342
        .size:           2
        .value_kind:     hidden_group_size_y
      - .offset:         344
        .size:           2
        .value_kind:     hidden_group_size_z
      - .offset:         346
        .size:           2
        .value_kind:     hidden_remainder_x
      - .offset:         348
        .size:           2
        .value_kind:     hidden_remainder_y
      - .offset:         350
        .size:           2
        .value_kind:     hidden_remainder_z
      - .offset:         368
        .size:           8
        .value_kind:     hidden_global_offset_x
      - .offset:         376
        .size:           8
        .value_kind:     hidden_global_offset_y
      - .offset:         384
        .size:           8
        .value_kind:     hidden_global_offset_z
      - .offset:         392
        .size:           2
        .value_kind:     hidden_grid_dims
    .group_segment_fixed_size: 0
    .kernarg_segment_align: 8
    .kernarg_segment_size: 584
    .language:       OpenCL C
    .language_version:
      - 2
      - 0
    .max_flat_workgroup_size: 256
    .name:           _ZN2at6native12_GLOBAL__N_143distribution_elementwise_grid_stride_kernelImLi2EZZZNS0_9templates4cuda13random_kernelIPNS_17CUDAGeneratorImplEEEvRNS_18TensorIteratorBaseET_ENKUlvE_clEvENKUlvE1_clEvEUlP25hiprandStatePhilox4_32_10E_ZNS1_27distribution_nullary_kernelIim15HIP_vector_typeIyLj2EES7_SF_ZZZNS5_IS7_EEvS9_SA_ENKSB_clEvENKSC_clEvEUlmE_EEvS9_T2_RKT3_T4_EUlimE0_EEvlNS_15PhiloxCudaStateET1_SK_
    .private_segment_fixed_size: 0
    .sgpr_count:     67
    .sgpr_spill_count: 0
    .symbol:         _ZN2at6native12_GLOBAL__N_143distribution_elementwise_grid_stride_kernelImLi2EZZZNS0_9templates4cuda13random_kernelIPNS_17CUDAGeneratorImplEEEvRNS_18TensorIteratorBaseET_ENKUlvE_clEvENKUlvE1_clEvEUlP25hiprandStatePhilox4_32_10E_ZNS1_27distribution_nullary_kernelIim15HIP_vector_typeIyLj2EES7_SF_ZZZNS5_IS7_EEvS9_SA_ENKSB_clEvENKSC_clEvEUlmE_EEvS9_T2_RKT3_T4_EUlimE0_EEvlNS_15PhiloxCudaStateET1_SK_.kd
    .uniform_work_group_size: 1
    .uses_dynamic_stack: false
    .vgpr_count:     42
    .vgpr_spill_count: 0
    .wavefront_size: 64
  - .agpr_count:     0
    .args:
      - .offset:         0
        .size:           8
        .value_kind:     by_value
      - .offset:         8
        .size:           32
        .value_kind:     by_value
      - .offset:         40
        .size:           1
        .value_kind:     by_value
      - .offset:         48
        .size:           16
        .value_kind:     by_value
      - .offset:         64
        .size:           4
        .value_kind:     hidden_block_count_x
      - .offset:         68
        .size:           4
        .value_kind:     hidden_block_count_y
      - .offset:         72
        .size:           4
        .value_kind:     hidden_block_count_z
      - .offset:         76
        .size:           2
        .value_kind:     hidden_group_size_x
      - .offset:         78
        .size:           2
        .value_kind:     hidden_group_size_y
      - .offset:         80
        .size:           2
        .value_kind:     hidden_group_size_z
      - .offset:         82
        .size:           2
        .value_kind:     hidden_remainder_x
      - .offset:         84
        .size:           2
        .value_kind:     hidden_remainder_y
      - .offset:         86
        .size:           2
        .value_kind:     hidden_remainder_z
      - .offset:         104
        .size:           8
        .value_kind:     hidden_global_offset_x
      - .offset:         112
        .size:           8
        .value_kind:     hidden_global_offset_y
      - .offset:         120
        .size:           8
        .value_kind:     hidden_global_offset_z
      - .offset:         128
        .size:           2
        .value_kind:     hidden_grid_dims
    .group_segment_fixed_size: 0
    .kernarg_segment_align: 8
    .kernarg_segment_size: 320
    .language:       OpenCL C
    .language_version:
      - 2
      - 0
    .max_flat_workgroup_size: 256
    .name:           _ZN2at6native12_GLOBAL__N_143distribution_elementwise_grid_stride_kernelIjLi4EZZZNS0_9templates4cuda13random_kernelIPNS_17CUDAGeneratorImplEEEvRNS_18TensorIteratorBaseET_ENKUlvE_clEvENKUlvE1_clEvEUlP25hiprandStatePhilox4_32_10E0_ZNS1_27distribution_nullary_kernelIij15HIP_vector_typeIjLj4EES7_SF_ZZZNS5_IS7_EEvS9_SA_ENKSB_clEvENKSC_clEvEUljE_EEvS9_T2_RKT3_T4_EUlijE_EEvlNS_15PhiloxCudaStateET1_SK_
    .private_segment_fixed_size: 0
    .sgpr_count:     28
    .sgpr_spill_count: 0
    .symbol:         _ZN2at6native12_GLOBAL__N_143distribution_elementwise_grid_stride_kernelIjLi4EZZZNS0_9templates4cuda13random_kernelIPNS_17CUDAGeneratorImplEEEvRNS_18TensorIteratorBaseET_ENKUlvE_clEvENKUlvE1_clEvEUlP25hiprandStatePhilox4_32_10E0_ZNS1_27distribution_nullary_kernelIij15HIP_vector_typeIjLj4EES7_SF_ZZZNS5_IS7_EEvS9_SA_ENKSB_clEvENKSC_clEvEUljE_EEvS9_T2_RKT3_T4_EUlijE_EEvlNS_15PhiloxCudaStateET1_SK_.kd
    .uniform_work_group_size: 1
    .uses_dynamic_stack: false
    .vgpr_count:     48
    .vgpr_spill_count: 0
    .wavefront_size: 64
  - .agpr_count:     0
    .args:
      - .offset:         0
        .size:           8
        .value_kind:     by_value
      - .offset:         8
        .size:           32
        .value_kind:     by_value
      - .offset:         40
        .size:           1
        .value_kind:     by_value
      - .offset:         48
        .size:           280
        .value_kind:     by_value
      - .offset:         328
        .size:           4
        .value_kind:     hidden_block_count_x
      - .offset:         332
        .size:           4
        .value_kind:     hidden_block_count_y
      - .offset:         336
        .size:           4
        .value_kind:     hidden_block_count_z
      - .offset:         340
        .size:           2
        .value_kind:     hidden_group_size_x
      - .offset:         342
        .size:           2
        .value_kind:     hidden_group_size_y
      - .offset:         344
        .size:           2
        .value_kind:     hidden_group_size_z
      - .offset:         346
        .size:           2
        .value_kind:     hidden_remainder_x
      - .offset:         348
        .size:           2
        .value_kind:     hidden_remainder_y
      - .offset:         350
        .size:           2
        .value_kind:     hidden_remainder_z
      - .offset:         368
        .size:           8
        .value_kind:     hidden_global_offset_x
      - .offset:         376
        .size:           8
        .value_kind:     hidden_global_offset_y
      - .offset:         384
        .size:           8
        .value_kind:     hidden_global_offset_z
      - .offset:         392
        .size:           2
        .value_kind:     hidden_grid_dims
    .group_segment_fixed_size: 0
    .kernarg_segment_align: 8
    .kernarg_segment_size: 584
    .language:       OpenCL C
    .language_version:
      - 2
      - 0
    .max_flat_workgroup_size: 256
    .name:           _ZN2at6native12_GLOBAL__N_143distribution_elementwise_grid_stride_kernelIjLi4EZZZNS0_9templates4cuda13random_kernelIPNS_17CUDAGeneratorImplEEEvRNS_18TensorIteratorBaseET_ENKUlvE_clEvENKUlvE1_clEvEUlP25hiprandStatePhilox4_32_10E0_ZNS1_27distribution_nullary_kernelIij15HIP_vector_typeIjLj4EES7_SF_ZZZNS5_IS7_EEvS9_SA_ENKSB_clEvENKSC_clEvEUljE_EEvS9_T2_RKT3_T4_EUlijE0_EEvlNS_15PhiloxCudaStateET1_SK_
    .private_segment_fixed_size: 0
    .sgpr_count:     71
    .sgpr_spill_count: 0
    .symbol:         _ZN2at6native12_GLOBAL__N_143distribution_elementwise_grid_stride_kernelIjLi4EZZZNS0_9templates4cuda13random_kernelIPNS_17CUDAGeneratorImplEEEvRNS_18TensorIteratorBaseET_ENKUlvE_clEvENKUlvE1_clEvEUlP25hiprandStatePhilox4_32_10E0_ZNS1_27distribution_nullary_kernelIij15HIP_vector_typeIjLj4EES7_SF_ZZZNS5_IS7_EEvS9_SA_ENKSB_clEvENKSC_clEvEUljE_EEvS9_T2_RKT3_T4_EUlijE0_EEvlNS_15PhiloxCudaStateET1_SK_.kd
    .uniform_work_group_size: 1
    .uses_dynamic_stack: false
    .vgpr_count:     41
    .vgpr_spill_count: 0
    .wavefront_size: 64
  - .agpr_count:     0
    .args:
      - .offset:         0
        .size:           8
        .value_kind:     by_value
      - .offset:         8
        .size:           32
        .value_kind:     by_value
      - .offset:         40
        .size:           1
        .value_kind:     by_value
      - .offset:         48
        .size:           16
        .value_kind:     by_value
      - .offset:         64
        .size:           4
        .value_kind:     hidden_block_count_x
      - .offset:         68
        .size:           4
        .value_kind:     hidden_block_count_y
      - .offset:         72
        .size:           4
        .value_kind:     hidden_block_count_z
      - .offset:         76
        .size:           2
        .value_kind:     hidden_group_size_x
      - .offset:         78
        .size:           2
        .value_kind:     hidden_group_size_y
      - .offset:         80
        .size:           2
        .value_kind:     hidden_group_size_z
      - .offset:         82
        .size:           2
        .value_kind:     hidden_remainder_x
      - .offset:         84
        .size:           2
        .value_kind:     hidden_remainder_y
      - .offset:         86
        .size:           2
        .value_kind:     hidden_remainder_z
      - .offset:         104
        .size:           8
        .value_kind:     hidden_global_offset_x
      - .offset:         112
        .size:           8
        .value_kind:     hidden_global_offset_y
      - .offset:         120
        .size:           8
        .value_kind:     hidden_global_offset_z
      - .offset:         128
        .size:           2
        .value_kind:     hidden_grid_dims
    .group_segment_fixed_size: 0
    .kernarg_segment_align: 8
    .kernarg_segment_size: 320
    .language:       OpenCL C
    .language_version:
      - 2
      - 0
    .max_flat_workgroup_size: 256
    .name:           _ZN2at6native12_GLOBAL__N_143distribution_elementwise_grid_stride_kernelImLi2EZZZNS0_9templates4cuda13random_kernelIPNS_17CUDAGeneratorImplEEEvRNS_18TensorIteratorBaseET_ENKUlvE_clEvENKUlvE2_clEvEUlP25hiprandStatePhilox4_32_10E_ZNS1_27distribution_nullary_kernelIlm15HIP_vector_typeIyLj2EES7_SF_ZZZNS5_IS7_EEvS9_SA_ENKSB_clEvENKSC_clEvEUlmE_EEvS9_T2_RKT3_T4_EUlimE_EEvlNS_15PhiloxCudaStateET1_SK_
    .private_segment_fixed_size: 0
    .sgpr_count:     28
    .sgpr_spill_count: 0
    .symbol:         _ZN2at6native12_GLOBAL__N_143distribution_elementwise_grid_stride_kernelImLi2EZZZNS0_9templates4cuda13random_kernelIPNS_17CUDAGeneratorImplEEEvRNS_18TensorIteratorBaseET_ENKUlvE_clEvENKUlvE2_clEvEUlP25hiprandStatePhilox4_32_10E_ZNS1_27distribution_nullary_kernelIlm15HIP_vector_typeIyLj2EES7_SF_ZZZNS5_IS7_EEvS9_SA_ENKSB_clEvENKSC_clEvEUlmE_EEvS9_T2_RKT3_T4_EUlimE_EEvlNS_15PhiloxCudaStateET1_SK_.kd
    .uniform_work_group_size: 1
    .uses_dynamic_stack: false
    .vgpr_count:     46
    .vgpr_spill_count: 0
    .wavefront_size: 64
  - .agpr_count:     0
    .args:
      - .offset:         0
        .size:           8
        .value_kind:     by_value
      - .offset:         8
        .size:           32
        .value_kind:     by_value
      - .offset:         40
        .size:           1
        .value_kind:     by_value
      - .offset:         48
        .size:           280
        .value_kind:     by_value
      - .offset:         328
        .size:           4
        .value_kind:     hidden_block_count_x
      - .offset:         332
        .size:           4
        .value_kind:     hidden_block_count_y
      - .offset:         336
        .size:           4
        .value_kind:     hidden_block_count_z
      - .offset:         340
        .size:           2
        .value_kind:     hidden_group_size_x
      - .offset:         342
        .size:           2
        .value_kind:     hidden_group_size_y
      - .offset:         344
        .size:           2
        .value_kind:     hidden_group_size_z
      - .offset:         346
        .size:           2
        .value_kind:     hidden_remainder_x
      - .offset:         348
        .size:           2
        .value_kind:     hidden_remainder_y
      - .offset:         350
        .size:           2
        .value_kind:     hidden_remainder_z
      - .offset:         368
        .size:           8
        .value_kind:     hidden_global_offset_x
      - .offset:         376
        .size:           8
        .value_kind:     hidden_global_offset_y
      - .offset:         384
        .size:           8
        .value_kind:     hidden_global_offset_z
      - .offset:         392
        .size:           2
        .value_kind:     hidden_grid_dims
    .group_segment_fixed_size: 0
    .kernarg_segment_align: 8
    .kernarg_segment_size: 584
    .language:       OpenCL C
    .language_version:
      - 2
      - 0
    .max_flat_workgroup_size: 256
    .name:           _ZN2at6native12_GLOBAL__N_143distribution_elementwise_grid_stride_kernelImLi2EZZZNS0_9templates4cuda13random_kernelIPNS_17CUDAGeneratorImplEEEvRNS_18TensorIteratorBaseET_ENKUlvE_clEvENKUlvE2_clEvEUlP25hiprandStatePhilox4_32_10E_ZNS1_27distribution_nullary_kernelIlm15HIP_vector_typeIyLj2EES7_SF_ZZZNS5_IS7_EEvS9_SA_ENKSB_clEvENKSC_clEvEUlmE_EEvS9_T2_RKT3_T4_EUlimE0_EEvlNS_15PhiloxCudaStateET1_SK_
    .private_segment_fixed_size: 0
    .sgpr_count:     67
    .sgpr_spill_count: 0
    .symbol:         _ZN2at6native12_GLOBAL__N_143distribution_elementwise_grid_stride_kernelImLi2EZZZNS0_9templates4cuda13random_kernelIPNS_17CUDAGeneratorImplEEEvRNS_18TensorIteratorBaseET_ENKUlvE_clEvENKUlvE2_clEvEUlP25hiprandStatePhilox4_32_10E_ZNS1_27distribution_nullary_kernelIlm15HIP_vector_typeIyLj2EES7_SF_ZZZNS5_IS7_EEvS9_SA_ENKSB_clEvENKSC_clEvEUlmE_EEvS9_T2_RKT3_T4_EUlimE0_EEvlNS_15PhiloxCudaStateET1_SK_.kd
    .uniform_work_group_size: 1
    .uses_dynamic_stack: false
    .vgpr_count:     41
    .vgpr_spill_count: 0
    .wavefront_size: 64
  - .agpr_count:     0
    .args:
      - .offset:         0
        .size:           8
        .value_kind:     by_value
      - .offset:         8
        .size:           32
        .value_kind:     by_value
      - .offset:         40
        .size:           1
        .value_kind:     by_value
      - .offset:         48
        .size:           16
        .value_kind:     by_value
      - .offset:         64
        .size:           4
        .value_kind:     hidden_block_count_x
      - .offset:         68
        .size:           4
        .value_kind:     hidden_block_count_y
      - .offset:         72
        .size:           4
        .value_kind:     hidden_block_count_z
      - .offset:         76
        .size:           2
        .value_kind:     hidden_group_size_x
      - .offset:         78
        .size:           2
        .value_kind:     hidden_group_size_y
      - .offset:         80
        .size:           2
        .value_kind:     hidden_group_size_z
      - .offset:         82
        .size:           2
        .value_kind:     hidden_remainder_x
      - .offset:         84
        .size:           2
        .value_kind:     hidden_remainder_y
      - .offset:         86
        .size:           2
        .value_kind:     hidden_remainder_z
      - .offset:         104
        .size:           8
        .value_kind:     hidden_global_offset_x
      - .offset:         112
        .size:           8
        .value_kind:     hidden_global_offset_y
      - .offset:         120
        .size:           8
        .value_kind:     hidden_global_offset_z
      - .offset:         128
        .size:           2
        .value_kind:     hidden_grid_dims
    .group_segment_fixed_size: 0
    .kernarg_segment_align: 8
    .kernarg_segment_size: 320
    .language:       OpenCL C
    .language_version:
      - 2
      - 0
    .max_flat_workgroup_size: 256
    .name:           _ZN2at6native12_GLOBAL__N_143distribution_elementwise_grid_stride_kernelIjLi4EZZZNS0_9templates4cuda13random_kernelIPNS_17CUDAGeneratorImplEEEvRNS_18TensorIteratorBaseET_ENKUlvE_clEvENKUlvE2_clEvEUlP25hiprandStatePhilox4_32_10E0_ZNS1_27distribution_nullary_kernelIlj15HIP_vector_typeIjLj4EES7_SF_ZZZNS5_IS7_EEvS9_SA_ENKSB_clEvENKSC_clEvEUljE_EEvS9_T2_RKT3_T4_EUlijE_EEvlNS_15PhiloxCudaStateET1_SK_
    .private_segment_fixed_size: 0
    .sgpr_count:     28
    .sgpr_spill_count: 0
    .symbol:         _ZN2at6native12_GLOBAL__N_143distribution_elementwise_grid_stride_kernelIjLi4EZZZNS0_9templates4cuda13random_kernelIPNS_17CUDAGeneratorImplEEEvRNS_18TensorIteratorBaseET_ENKUlvE_clEvENKUlvE2_clEvEUlP25hiprandStatePhilox4_32_10E0_ZNS1_27distribution_nullary_kernelIlj15HIP_vector_typeIjLj4EES7_SF_ZZZNS5_IS7_EEvS9_SA_ENKSB_clEvENKSC_clEvEUljE_EEvS9_T2_RKT3_T4_EUlijE_EEvlNS_15PhiloxCudaStateET1_SK_.kd
    .uniform_work_group_size: 1
    .uses_dynamic_stack: false
    .vgpr_count:     47
    .vgpr_spill_count: 0
    .wavefront_size: 64
  - .agpr_count:     0
    .args:
      - .offset:         0
        .size:           8
        .value_kind:     by_value
      - .offset:         8
        .size:           32
        .value_kind:     by_value
      - .offset:         40
        .size:           1
        .value_kind:     by_value
      - .offset:         48
        .size:           280
        .value_kind:     by_value
      - .offset:         328
        .size:           4
        .value_kind:     hidden_block_count_x
      - .offset:         332
        .size:           4
        .value_kind:     hidden_block_count_y
      - .offset:         336
        .size:           4
        .value_kind:     hidden_block_count_z
      - .offset:         340
        .size:           2
        .value_kind:     hidden_group_size_x
      - .offset:         342
        .size:           2
        .value_kind:     hidden_group_size_y
      - .offset:         344
        .size:           2
        .value_kind:     hidden_group_size_z
      - .offset:         346
        .size:           2
        .value_kind:     hidden_remainder_x
      - .offset:         348
        .size:           2
        .value_kind:     hidden_remainder_y
      - .offset:         350
        .size:           2
        .value_kind:     hidden_remainder_z
      - .offset:         368
        .size:           8
        .value_kind:     hidden_global_offset_x
      - .offset:         376
        .size:           8
        .value_kind:     hidden_global_offset_y
      - .offset:         384
        .size:           8
        .value_kind:     hidden_global_offset_z
      - .offset:         392
        .size:           2
        .value_kind:     hidden_grid_dims
    .group_segment_fixed_size: 0
    .kernarg_segment_align: 8
    .kernarg_segment_size: 584
    .language:       OpenCL C
    .language_version:
      - 2
      - 0
    .max_flat_workgroup_size: 256
    .name:           _ZN2at6native12_GLOBAL__N_143distribution_elementwise_grid_stride_kernelIjLi4EZZZNS0_9templates4cuda13random_kernelIPNS_17CUDAGeneratorImplEEEvRNS_18TensorIteratorBaseET_ENKUlvE_clEvENKUlvE2_clEvEUlP25hiprandStatePhilox4_32_10E0_ZNS1_27distribution_nullary_kernelIlj15HIP_vector_typeIjLj4EES7_SF_ZZZNS5_IS7_EEvS9_SA_ENKSB_clEvENKSC_clEvEUljE_EEvS9_T2_RKT3_T4_EUlijE0_EEvlNS_15PhiloxCudaStateET1_SK_
    .private_segment_fixed_size: 0
    .sgpr_count:     71
    .sgpr_spill_count: 0
    .symbol:         _ZN2at6native12_GLOBAL__N_143distribution_elementwise_grid_stride_kernelIjLi4EZZZNS0_9templates4cuda13random_kernelIPNS_17CUDAGeneratorImplEEEvRNS_18TensorIteratorBaseET_ENKUlvE_clEvENKUlvE2_clEvEUlP25hiprandStatePhilox4_32_10E0_ZNS1_27distribution_nullary_kernelIlj15HIP_vector_typeIjLj4EES7_SF_ZZZNS5_IS7_EEvS9_SA_ENKSB_clEvENKSC_clEvEUljE_EEvS9_T2_RKT3_T4_EUlijE0_EEvlNS_15PhiloxCudaStateET1_SK_.kd
    .uniform_work_group_size: 1
    .uses_dynamic_stack: false
    .vgpr_count:     43
    .vgpr_spill_count: 0
    .wavefront_size: 64
  - .agpr_count:     0
    .args:
      - .offset:         0
        .size:           8
        .value_kind:     by_value
      - .offset:         8
        .size:           32
        .value_kind:     by_value
      - .offset:         40
        .size:           1
        .value_kind:     by_value
      - .offset:         48
        .size:           16
        .value_kind:     by_value
      - .offset:         64
        .size:           4
        .value_kind:     hidden_block_count_x
      - .offset:         68
        .size:           4
        .value_kind:     hidden_block_count_y
      - .offset:         72
        .size:           4
        .value_kind:     hidden_block_count_z
      - .offset:         76
        .size:           2
        .value_kind:     hidden_group_size_x
      - .offset:         78
        .size:           2
        .value_kind:     hidden_group_size_y
      - .offset:         80
        .size:           2
        .value_kind:     hidden_group_size_z
      - .offset:         82
        .size:           2
        .value_kind:     hidden_remainder_x
      - .offset:         84
        .size:           2
        .value_kind:     hidden_remainder_y
      - .offset:         86
        .size:           2
        .value_kind:     hidden_remainder_z
      - .offset:         104
        .size:           8
        .value_kind:     hidden_global_offset_x
      - .offset:         112
        .size:           8
        .value_kind:     hidden_global_offset_y
      - .offset:         120
        .size:           8
        .value_kind:     hidden_global_offset_z
      - .offset:         128
        .size:           2
        .value_kind:     hidden_grid_dims
    .group_segment_fixed_size: 0
    .kernarg_segment_align: 8
    .kernarg_segment_size: 320
    .language:       OpenCL C
    .language_version:
      - 2
      - 0
    .max_flat_workgroup_size: 256
    .name:           _ZN2at6native12_GLOBAL__N_143distribution_elementwise_grid_stride_kernelImLi2EZZZNS0_9templates4cuda13random_kernelIPNS_17CUDAGeneratorImplEEEvRNS_18TensorIteratorBaseET_ENKUlvE_clEvENKUlvE3_clEvEUlP25hiprandStatePhilox4_32_10E_ZNS1_27distribution_nullary_kernelIsm15HIP_vector_typeIyLj2EES7_SF_ZZZNS5_IS7_EEvS9_SA_ENKSB_clEvENKSC_clEvEUlmE_EEvS9_T2_RKT3_T4_EUlimE_EEvlNS_15PhiloxCudaStateET1_SK_
    .private_segment_fixed_size: 0
    .sgpr_count:     28
    .sgpr_spill_count: 0
    .symbol:         _ZN2at6native12_GLOBAL__N_143distribution_elementwise_grid_stride_kernelImLi2EZZZNS0_9templates4cuda13random_kernelIPNS_17CUDAGeneratorImplEEEvRNS_18TensorIteratorBaseET_ENKUlvE_clEvENKUlvE3_clEvEUlP25hiprandStatePhilox4_32_10E_ZNS1_27distribution_nullary_kernelIsm15HIP_vector_typeIyLj2EES7_SF_ZZZNS5_IS7_EEvS9_SA_ENKSB_clEvENKSC_clEvEUlmE_EEvS9_T2_RKT3_T4_EUlimE_EEvlNS_15PhiloxCudaStateET1_SK_.kd
    .uniform_work_group_size: 1
    .uses_dynamic_stack: false
    .vgpr_count:     44
    .vgpr_spill_count: 0
    .wavefront_size: 64
  - .agpr_count:     0
    .args:
      - .offset:         0
        .size:           8
        .value_kind:     by_value
      - .offset:         8
        .size:           32
        .value_kind:     by_value
      - .offset:         40
        .size:           1
        .value_kind:     by_value
      - .offset:         48
        .size:           280
        .value_kind:     by_value
      - .offset:         328
        .size:           4
        .value_kind:     hidden_block_count_x
      - .offset:         332
        .size:           4
        .value_kind:     hidden_block_count_y
      - .offset:         336
        .size:           4
        .value_kind:     hidden_block_count_z
      - .offset:         340
        .size:           2
        .value_kind:     hidden_group_size_x
      - .offset:         342
        .size:           2
        .value_kind:     hidden_group_size_y
      - .offset:         344
        .size:           2
        .value_kind:     hidden_group_size_z
      - .offset:         346
        .size:           2
        .value_kind:     hidden_remainder_x
      - .offset:         348
        .size:           2
        .value_kind:     hidden_remainder_y
      - .offset:         350
        .size:           2
        .value_kind:     hidden_remainder_z
      - .offset:         368
        .size:           8
        .value_kind:     hidden_global_offset_x
      - .offset:         376
        .size:           8
        .value_kind:     hidden_global_offset_y
      - .offset:         384
        .size:           8
        .value_kind:     hidden_global_offset_z
      - .offset:         392
        .size:           2
        .value_kind:     hidden_grid_dims
    .group_segment_fixed_size: 0
    .kernarg_segment_align: 8
    .kernarg_segment_size: 584
    .language:       OpenCL C
    .language_version:
      - 2
      - 0
    .max_flat_workgroup_size: 256
    .name:           _ZN2at6native12_GLOBAL__N_143distribution_elementwise_grid_stride_kernelImLi2EZZZNS0_9templates4cuda13random_kernelIPNS_17CUDAGeneratorImplEEEvRNS_18TensorIteratorBaseET_ENKUlvE_clEvENKUlvE3_clEvEUlP25hiprandStatePhilox4_32_10E_ZNS1_27distribution_nullary_kernelIsm15HIP_vector_typeIyLj2EES7_SF_ZZZNS5_IS7_EEvS9_SA_ENKSB_clEvENKSC_clEvEUlmE_EEvS9_T2_RKT3_T4_EUlimE0_EEvlNS_15PhiloxCudaStateET1_SK_
    .private_segment_fixed_size: 0
    .sgpr_count:     67
    .sgpr_spill_count: 0
    .symbol:         _ZN2at6native12_GLOBAL__N_143distribution_elementwise_grid_stride_kernelImLi2EZZZNS0_9templates4cuda13random_kernelIPNS_17CUDAGeneratorImplEEEvRNS_18TensorIteratorBaseET_ENKUlvE_clEvENKUlvE3_clEvEUlP25hiprandStatePhilox4_32_10E_ZNS1_27distribution_nullary_kernelIsm15HIP_vector_typeIyLj2EES7_SF_ZZZNS5_IS7_EEvS9_SA_ENKSB_clEvENKSC_clEvEUlmE_EEvS9_T2_RKT3_T4_EUlimE0_EEvlNS_15PhiloxCudaStateET1_SK_.kd
    .uniform_work_group_size: 1
    .uses_dynamic_stack: false
    .vgpr_count:     42
    .vgpr_spill_count: 0
    .wavefront_size: 64
  - .agpr_count:     0
    .args:
      - .offset:         0
        .size:           8
        .value_kind:     by_value
      - .offset:         8
        .size:           32
        .value_kind:     by_value
      - .offset:         40
        .size:           1
        .value_kind:     by_value
      - .offset:         48
        .size:           16
        .value_kind:     by_value
      - .offset:         64
        .size:           4
        .value_kind:     hidden_block_count_x
      - .offset:         68
        .size:           4
        .value_kind:     hidden_block_count_y
      - .offset:         72
        .size:           4
        .value_kind:     hidden_block_count_z
      - .offset:         76
        .size:           2
        .value_kind:     hidden_group_size_x
      - .offset:         78
        .size:           2
        .value_kind:     hidden_group_size_y
      - .offset:         80
        .size:           2
        .value_kind:     hidden_group_size_z
      - .offset:         82
        .size:           2
        .value_kind:     hidden_remainder_x
      - .offset:         84
        .size:           2
        .value_kind:     hidden_remainder_y
      - .offset:         86
        .size:           2
        .value_kind:     hidden_remainder_z
      - .offset:         104
        .size:           8
        .value_kind:     hidden_global_offset_x
      - .offset:         112
        .size:           8
        .value_kind:     hidden_global_offset_y
      - .offset:         120
        .size:           8
        .value_kind:     hidden_global_offset_z
      - .offset:         128
        .size:           2
        .value_kind:     hidden_grid_dims
    .group_segment_fixed_size: 0
    .kernarg_segment_align: 8
    .kernarg_segment_size: 320
    .language:       OpenCL C
    .language_version:
      - 2
      - 0
    .max_flat_workgroup_size: 256
    .name:           _ZN2at6native12_GLOBAL__N_143distribution_elementwise_grid_stride_kernelIjLi4EZZZNS0_9templates4cuda13random_kernelIPNS_17CUDAGeneratorImplEEEvRNS_18TensorIteratorBaseET_ENKUlvE_clEvENKUlvE3_clEvEUlP25hiprandStatePhilox4_32_10E0_ZNS1_27distribution_nullary_kernelIsj15HIP_vector_typeIjLj4EES7_SF_ZZZNS5_IS7_EEvS9_SA_ENKSB_clEvENKSC_clEvEUljE_EEvS9_T2_RKT3_T4_EUlijE_EEvlNS_15PhiloxCudaStateET1_SK_
    .private_segment_fixed_size: 0
    .sgpr_count:     28
    .sgpr_spill_count: 0
    .symbol:         _ZN2at6native12_GLOBAL__N_143distribution_elementwise_grid_stride_kernelIjLi4EZZZNS0_9templates4cuda13random_kernelIPNS_17CUDAGeneratorImplEEEvRNS_18TensorIteratorBaseET_ENKUlvE_clEvENKUlvE3_clEvEUlP25hiprandStatePhilox4_32_10E0_ZNS1_27distribution_nullary_kernelIsj15HIP_vector_typeIjLj4EES7_SF_ZZZNS5_IS7_EEvS9_SA_ENKSB_clEvENKSC_clEvEUljE_EEvS9_T2_RKT3_T4_EUlijE_EEvlNS_15PhiloxCudaStateET1_SK_.kd
    .uniform_work_group_size: 1
    .uses_dynamic_stack: false
    .vgpr_count:     48
    .vgpr_spill_count: 0
    .wavefront_size: 64
  - .agpr_count:     0
    .args:
      - .offset:         0
        .size:           8
        .value_kind:     by_value
      - .offset:         8
        .size:           32
        .value_kind:     by_value
      - .offset:         40
        .size:           1
        .value_kind:     by_value
      - .offset:         48
        .size:           280
        .value_kind:     by_value
      - .offset:         328
        .size:           4
        .value_kind:     hidden_block_count_x
      - .offset:         332
        .size:           4
        .value_kind:     hidden_block_count_y
      - .offset:         336
        .size:           4
        .value_kind:     hidden_block_count_z
      - .offset:         340
        .size:           2
        .value_kind:     hidden_group_size_x
      - .offset:         342
        .size:           2
        .value_kind:     hidden_group_size_y
      - .offset:         344
        .size:           2
        .value_kind:     hidden_group_size_z
      - .offset:         346
        .size:           2
        .value_kind:     hidden_remainder_x
      - .offset:         348
        .size:           2
        .value_kind:     hidden_remainder_y
      - .offset:         350
        .size:           2
        .value_kind:     hidden_remainder_z
      - .offset:         368
        .size:           8
        .value_kind:     hidden_global_offset_x
      - .offset:         376
        .size:           8
        .value_kind:     hidden_global_offset_y
      - .offset:         384
        .size:           8
        .value_kind:     hidden_global_offset_z
      - .offset:         392
        .size:           2
        .value_kind:     hidden_grid_dims
    .group_segment_fixed_size: 0
    .kernarg_segment_align: 8
    .kernarg_segment_size: 584
    .language:       OpenCL C
    .language_version:
      - 2
      - 0
    .max_flat_workgroup_size: 256
    .name:           _ZN2at6native12_GLOBAL__N_143distribution_elementwise_grid_stride_kernelIjLi4EZZZNS0_9templates4cuda13random_kernelIPNS_17CUDAGeneratorImplEEEvRNS_18TensorIteratorBaseET_ENKUlvE_clEvENKUlvE3_clEvEUlP25hiprandStatePhilox4_32_10E0_ZNS1_27distribution_nullary_kernelIsj15HIP_vector_typeIjLj4EES7_SF_ZZZNS5_IS7_EEvS9_SA_ENKSB_clEvENKSC_clEvEUljE_EEvS9_T2_RKT3_T4_EUlijE0_EEvlNS_15PhiloxCudaStateET1_SK_
    .private_segment_fixed_size: 0
    .sgpr_count:     71
    .sgpr_spill_count: 0
    .symbol:         _ZN2at6native12_GLOBAL__N_143distribution_elementwise_grid_stride_kernelIjLi4EZZZNS0_9templates4cuda13random_kernelIPNS_17CUDAGeneratorImplEEEvRNS_18TensorIteratorBaseET_ENKUlvE_clEvENKUlvE3_clEvEUlP25hiprandStatePhilox4_32_10E0_ZNS1_27distribution_nullary_kernelIsj15HIP_vector_typeIjLj4EES7_SF_ZZZNS5_IS7_EEvS9_SA_ENKSB_clEvENKSC_clEvEUljE_EEvS9_T2_RKT3_T4_EUlijE0_EEvlNS_15PhiloxCudaStateET1_SK_.kd
    .uniform_work_group_size: 1
    .uses_dynamic_stack: false
    .vgpr_count:     41
    .vgpr_spill_count: 0
    .wavefront_size: 64
  - .agpr_count:     0
    .args:
      - .offset:         0
        .size:           8
        .value_kind:     by_value
      - .offset:         8
        .size:           32
        .value_kind:     by_value
      - .offset:         40
        .size:           1
        .value_kind:     by_value
      - .offset:         48
        .size:           16
        .value_kind:     by_value
      - .offset:         64
        .size:           4
        .value_kind:     hidden_block_count_x
      - .offset:         68
        .size:           4
        .value_kind:     hidden_block_count_y
      - .offset:         72
        .size:           4
        .value_kind:     hidden_block_count_z
      - .offset:         76
        .size:           2
        .value_kind:     hidden_group_size_x
      - .offset:         78
        .size:           2
        .value_kind:     hidden_group_size_y
      - .offset:         80
        .size:           2
        .value_kind:     hidden_group_size_z
      - .offset:         82
        .size:           2
        .value_kind:     hidden_remainder_x
      - .offset:         84
        .size:           2
        .value_kind:     hidden_remainder_y
      - .offset:         86
        .size:           2
        .value_kind:     hidden_remainder_z
      - .offset:         104
        .size:           8
        .value_kind:     hidden_global_offset_x
      - .offset:         112
        .size:           8
        .value_kind:     hidden_global_offset_y
      - .offset:         120
        .size:           8
        .value_kind:     hidden_global_offset_z
      - .offset:         128
        .size:           2
        .value_kind:     hidden_grid_dims
    .group_segment_fixed_size: 0
    .kernarg_segment_align: 8
    .kernarg_segment_size: 320
    .language:       OpenCL C
    .language_version:
      - 2
      - 0
    .max_flat_workgroup_size: 256
    .name:           _ZN2at6native12_GLOBAL__N_143distribution_elementwise_grid_stride_kernelImLi2EZZZNS0_9templates4cuda13random_kernelIPNS_17CUDAGeneratorImplEEEvRNS_18TensorIteratorBaseET_ENKUlvE_clEvENKUlvE4_clEvEUlP25hiprandStatePhilox4_32_10E_ZNS1_27distribution_nullary_kernelIdm15HIP_vector_typeIyLj2EES7_SF_ZZZNS5_IS7_EEvS9_SA_ENKSB_clEvENKSC_clEvEUlmE_EEvS9_T2_RKT3_T4_EUlimE_EEvlNS_15PhiloxCudaStateET1_SK_
    .private_segment_fixed_size: 0
    .sgpr_count:     31
    .sgpr_spill_count: 0
    .symbol:         _ZN2at6native12_GLOBAL__N_143distribution_elementwise_grid_stride_kernelImLi2EZZZNS0_9templates4cuda13random_kernelIPNS_17CUDAGeneratorImplEEEvRNS_18TensorIteratorBaseET_ENKUlvE_clEvENKUlvE4_clEvEUlP25hiprandStatePhilox4_32_10E_ZNS1_27distribution_nullary_kernelIdm15HIP_vector_typeIyLj2EES7_SF_ZZZNS5_IS7_EEvS9_SA_ENKSB_clEvENKSC_clEvEUlmE_EEvS9_T2_RKT3_T4_EUlimE_EEvlNS_15PhiloxCudaStateET1_SK_.kd
    .uniform_work_group_size: 1
    .uses_dynamic_stack: false
    .vgpr_count:     48
    .vgpr_spill_count: 0
    .wavefront_size: 64
  - .agpr_count:     0
    .args:
      - .offset:         0
        .size:           8
        .value_kind:     by_value
      - .offset:         8
        .size:           32
        .value_kind:     by_value
      - .offset:         40
        .size:           1
        .value_kind:     by_value
      - .offset:         48
        .size:           280
        .value_kind:     by_value
      - .offset:         328
        .size:           4
        .value_kind:     hidden_block_count_x
      - .offset:         332
        .size:           4
        .value_kind:     hidden_block_count_y
      - .offset:         336
        .size:           4
        .value_kind:     hidden_block_count_z
      - .offset:         340
        .size:           2
        .value_kind:     hidden_group_size_x
      - .offset:         342
        .size:           2
        .value_kind:     hidden_group_size_y
      - .offset:         344
        .size:           2
        .value_kind:     hidden_group_size_z
      - .offset:         346
        .size:           2
        .value_kind:     hidden_remainder_x
      - .offset:         348
        .size:           2
        .value_kind:     hidden_remainder_y
      - .offset:         350
        .size:           2
        .value_kind:     hidden_remainder_z
      - .offset:         368
        .size:           8
        .value_kind:     hidden_global_offset_x
      - .offset:         376
        .size:           8
        .value_kind:     hidden_global_offset_y
      - .offset:         384
        .size:           8
        .value_kind:     hidden_global_offset_z
      - .offset:         392
        .size:           2
        .value_kind:     hidden_grid_dims
    .group_segment_fixed_size: 0
    .kernarg_segment_align: 8
    .kernarg_segment_size: 584
    .language:       OpenCL C
    .language_version:
      - 2
      - 0
    .max_flat_workgroup_size: 256
    .name:           _ZN2at6native12_GLOBAL__N_143distribution_elementwise_grid_stride_kernelImLi2EZZZNS0_9templates4cuda13random_kernelIPNS_17CUDAGeneratorImplEEEvRNS_18TensorIteratorBaseET_ENKUlvE_clEvENKUlvE4_clEvEUlP25hiprandStatePhilox4_32_10E_ZNS1_27distribution_nullary_kernelIdm15HIP_vector_typeIyLj2EES7_SF_ZZZNS5_IS7_EEvS9_SA_ENKSB_clEvENKSC_clEvEUlmE_EEvS9_T2_RKT3_T4_EUlimE0_EEvlNS_15PhiloxCudaStateET1_SK_
    .private_segment_fixed_size: 0
    .sgpr_count:     69
    .sgpr_spill_count: 0
    .symbol:         _ZN2at6native12_GLOBAL__N_143distribution_elementwise_grid_stride_kernelImLi2EZZZNS0_9templates4cuda13random_kernelIPNS_17CUDAGeneratorImplEEEvRNS_18TensorIteratorBaseET_ENKUlvE_clEvENKUlvE4_clEvEUlP25hiprandStatePhilox4_32_10E_ZNS1_27distribution_nullary_kernelIdm15HIP_vector_typeIyLj2EES7_SF_ZZZNS5_IS7_EEvS9_SA_ENKSB_clEvENKSC_clEvEUlmE_EEvS9_T2_RKT3_T4_EUlimE0_EEvlNS_15PhiloxCudaStateET1_SK_.kd
    .uniform_work_group_size: 1
    .uses_dynamic_stack: false
    .vgpr_count:     46
    .vgpr_spill_count: 0
    .wavefront_size: 64
  - .agpr_count:     0
    .args:
      - .offset:         0
        .size:           8
        .value_kind:     by_value
      - .offset:         8
        .size:           32
        .value_kind:     by_value
      - .offset:         40
        .size:           1
        .value_kind:     by_value
      - .offset:         48
        .size:           16
        .value_kind:     by_value
      - .offset:         64
        .size:           4
        .value_kind:     hidden_block_count_x
      - .offset:         68
        .size:           4
        .value_kind:     hidden_block_count_y
      - .offset:         72
        .size:           4
        .value_kind:     hidden_block_count_z
      - .offset:         76
        .size:           2
        .value_kind:     hidden_group_size_x
      - .offset:         78
        .size:           2
        .value_kind:     hidden_group_size_y
      - .offset:         80
        .size:           2
        .value_kind:     hidden_group_size_z
      - .offset:         82
        .size:           2
        .value_kind:     hidden_remainder_x
      - .offset:         84
        .size:           2
        .value_kind:     hidden_remainder_y
      - .offset:         86
        .size:           2
        .value_kind:     hidden_remainder_z
      - .offset:         104
        .size:           8
        .value_kind:     hidden_global_offset_x
      - .offset:         112
        .size:           8
        .value_kind:     hidden_global_offset_y
      - .offset:         120
        .size:           8
        .value_kind:     hidden_global_offset_z
      - .offset:         128
        .size:           2
        .value_kind:     hidden_grid_dims
    .group_segment_fixed_size: 0
    .kernarg_segment_align: 8
    .kernarg_segment_size: 320
    .language:       OpenCL C
    .language_version:
      - 2
      - 0
    .max_flat_workgroup_size: 256
    .name:           _ZN2at6native12_GLOBAL__N_143distribution_elementwise_grid_stride_kernelIjLi4EZZZNS0_9templates4cuda13random_kernelIPNS_17CUDAGeneratorImplEEEvRNS_18TensorIteratorBaseET_ENKUlvE_clEvENKUlvE4_clEvEUlP25hiprandStatePhilox4_32_10E0_ZNS1_27distribution_nullary_kernelIdj15HIP_vector_typeIjLj4EES7_SF_ZZZNS5_IS7_EEvS9_SA_ENKSB_clEvENKSC_clEvEUljE_EEvS9_T2_RKT3_T4_EUlijE_EEvlNS_15PhiloxCudaStateET1_SK_
    .private_segment_fixed_size: 0
    .sgpr_count:     28
    .sgpr_spill_count: 0
    .symbol:         _ZN2at6native12_GLOBAL__N_143distribution_elementwise_grid_stride_kernelIjLi4EZZZNS0_9templates4cuda13random_kernelIPNS_17CUDAGeneratorImplEEEvRNS_18TensorIteratorBaseET_ENKUlvE_clEvENKUlvE4_clEvEUlP25hiprandStatePhilox4_32_10E0_ZNS1_27distribution_nullary_kernelIdj15HIP_vector_typeIjLj4EES7_SF_ZZZNS5_IS7_EEvS9_SA_ENKSB_clEvENKSC_clEvEUljE_EEvS9_T2_RKT3_T4_EUlijE_EEvlNS_15PhiloxCudaStateET1_SK_.kd
    .uniform_work_group_size: 1
    .uses_dynamic_stack: false
    .vgpr_count:     48
    .vgpr_spill_count: 0
    .wavefront_size: 64
  - .agpr_count:     0
    .args:
      - .offset:         0
        .size:           8
        .value_kind:     by_value
      - .offset:         8
        .size:           32
        .value_kind:     by_value
      - .offset:         40
        .size:           1
        .value_kind:     by_value
      - .offset:         48
        .size:           280
        .value_kind:     by_value
      - .offset:         328
        .size:           4
        .value_kind:     hidden_block_count_x
      - .offset:         332
        .size:           4
        .value_kind:     hidden_block_count_y
      - .offset:         336
        .size:           4
        .value_kind:     hidden_block_count_z
      - .offset:         340
        .size:           2
        .value_kind:     hidden_group_size_x
      - .offset:         342
        .size:           2
        .value_kind:     hidden_group_size_y
      - .offset:         344
        .size:           2
        .value_kind:     hidden_group_size_z
      - .offset:         346
        .size:           2
        .value_kind:     hidden_remainder_x
      - .offset:         348
        .size:           2
        .value_kind:     hidden_remainder_y
      - .offset:         350
        .size:           2
        .value_kind:     hidden_remainder_z
      - .offset:         368
        .size:           8
        .value_kind:     hidden_global_offset_x
      - .offset:         376
        .size:           8
        .value_kind:     hidden_global_offset_y
      - .offset:         384
        .size:           8
        .value_kind:     hidden_global_offset_z
      - .offset:         392
        .size:           2
        .value_kind:     hidden_grid_dims
    .group_segment_fixed_size: 0
    .kernarg_segment_align: 8
    .kernarg_segment_size: 584
    .language:       OpenCL C
    .language_version:
      - 2
      - 0
    .max_flat_workgroup_size: 256
    .name:           _ZN2at6native12_GLOBAL__N_143distribution_elementwise_grid_stride_kernelIjLi4EZZZNS0_9templates4cuda13random_kernelIPNS_17CUDAGeneratorImplEEEvRNS_18TensorIteratorBaseET_ENKUlvE_clEvENKUlvE4_clEvEUlP25hiprandStatePhilox4_32_10E0_ZNS1_27distribution_nullary_kernelIdj15HIP_vector_typeIjLj4EES7_SF_ZZZNS5_IS7_EEvS9_SA_ENKSB_clEvENKSC_clEvEUljE_EEvS9_T2_RKT3_T4_EUlijE0_EEvlNS_15PhiloxCudaStateET1_SK_
    .private_segment_fixed_size: 0
    .sgpr_count:     71
    .sgpr_spill_count: 0
    .symbol:         _ZN2at6native12_GLOBAL__N_143distribution_elementwise_grid_stride_kernelIjLi4EZZZNS0_9templates4cuda13random_kernelIPNS_17CUDAGeneratorImplEEEvRNS_18TensorIteratorBaseET_ENKUlvE_clEvENKUlvE4_clEvEUlP25hiprandStatePhilox4_32_10E0_ZNS1_27distribution_nullary_kernelIdj15HIP_vector_typeIjLj4EES7_SF_ZZZNS5_IS7_EEvS9_SA_ENKSB_clEvENKSC_clEvEUljE_EEvS9_T2_RKT3_T4_EUlijE0_EEvlNS_15PhiloxCudaStateET1_SK_.kd
    .uniform_work_group_size: 1
    .uses_dynamic_stack: false
    .vgpr_count:     41
    .vgpr_spill_count: 0
    .wavefront_size: 64
  - .agpr_count:     0
    .args:
      - .offset:         0
        .size:           8
        .value_kind:     by_value
      - .offset:         8
        .size:           32
        .value_kind:     by_value
      - .offset:         40
        .size:           1
        .value_kind:     by_value
      - .offset:         48
        .size:           16
        .value_kind:     by_value
      - .offset:         64
        .size:           4
        .value_kind:     hidden_block_count_x
      - .offset:         68
        .size:           4
        .value_kind:     hidden_block_count_y
      - .offset:         72
        .size:           4
        .value_kind:     hidden_block_count_z
      - .offset:         76
        .size:           2
        .value_kind:     hidden_group_size_x
      - .offset:         78
        .size:           2
        .value_kind:     hidden_group_size_y
      - .offset:         80
        .size:           2
        .value_kind:     hidden_group_size_z
      - .offset:         82
        .size:           2
        .value_kind:     hidden_remainder_x
      - .offset:         84
        .size:           2
        .value_kind:     hidden_remainder_y
      - .offset:         86
        .size:           2
        .value_kind:     hidden_remainder_z
      - .offset:         104
        .size:           8
        .value_kind:     hidden_global_offset_x
      - .offset:         112
        .size:           8
        .value_kind:     hidden_global_offset_y
      - .offset:         120
        .size:           8
        .value_kind:     hidden_global_offset_z
      - .offset:         128
        .size:           2
        .value_kind:     hidden_grid_dims
    .group_segment_fixed_size: 0
    .kernarg_segment_align: 8
    .kernarg_segment_size: 320
    .language:       OpenCL C
    .language_version:
      - 2
      - 0
    .max_flat_workgroup_size: 256
    .name:           _ZN2at6native12_GLOBAL__N_143distribution_elementwise_grid_stride_kernelImLi2EZZZNS0_9templates4cuda13random_kernelIPNS_17CUDAGeneratorImplEEEvRNS_18TensorIteratorBaseET_ENKUlvE_clEvENKUlvE5_clEvEUlP25hiprandStatePhilox4_32_10E_ZNS1_27distribution_nullary_kernelIfm15HIP_vector_typeIyLj2EES7_SF_ZZZNS5_IS7_EEvS9_SA_ENKSB_clEvENKSC_clEvEUlmE_EEvS9_T2_RKT3_T4_EUlimE_EEvlNS_15PhiloxCudaStateET1_SK_
    .private_segment_fixed_size: 0
    .sgpr_count:     31
    .sgpr_spill_count: 0
    .symbol:         _ZN2at6native12_GLOBAL__N_143distribution_elementwise_grid_stride_kernelImLi2EZZZNS0_9templates4cuda13random_kernelIPNS_17CUDAGeneratorImplEEEvRNS_18TensorIteratorBaseET_ENKUlvE_clEvENKUlvE5_clEvEUlP25hiprandStatePhilox4_32_10E_ZNS1_27distribution_nullary_kernelIfm15HIP_vector_typeIyLj2EES7_SF_ZZZNS5_IS7_EEvS9_SA_ENKSB_clEvENKSC_clEvEUlmE_EEvS9_T2_RKT3_T4_EUlimE_EEvlNS_15PhiloxCudaStateET1_SK_.kd
    .uniform_work_group_size: 1
    .uses_dynamic_stack: false
    .vgpr_count:     47
    .vgpr_spill_count: 0
    .wavefront_size: 64
  - .agpr_count:     0
    .args:
      - .offset:         0
        .size:           8
        .value_kind:     by_value
      - .offset:         8
        .size:           32
        .value_kind:     by_value
      - .offset:         40
        .size:           1
        .value_kind:     by_value
      - .offset:         48
        .size:           280
        .value_kind:     by_value
      - .offset:         328
        .size:           4
        .value_kind:     hidden_block_count_x
      - .offset:         332
        .size:           4
        .value_kind:     hidden_block_count_y
      - .offset:         336
        .size:           4
        .value_kind:     hidden_block_count_z
      - .offset:         340
        .size:           2
        .value_kind:     hidden_group_size_x
      - .offset:         342
        .size:           2
        .value_kind:     hidden_group_size_y
      - .offset:         344
        .size:           2
        .value_kind:     hidden_group_size_z
      - .offset:         346
        .size:           2
        .value_kind:     hidden_remainder_x
      - .offset:         348
        .size:           2
        .value_kind:     hidden_remainder_y
      - .offset:         350
        .size:           2
        .value_kind:     hidden_remainder_z
      - .offset:         368
        .size:           8
        .value_kind:     hidden_global_offset_x
      - .offset:         376
        .size:           8
        .value_kind:     hidden_global_offset_y
      - .offset:         384
        .size:           8
        .value_kind:     hidden_global_offset_z
      - .offset:         392
        .size:           2
        .value_kind:     hidden_grid_dims
    .group_segment_fixed_size: 0
    .kernarg_segment_align: 8
    .kernarg_segment_size: 584
    .language:       OpenCL C
    .language_version:
      - 2
      - 0
    .max_flat_workgroup_size: 256
    .name:           _ZN2at6native12_GLOBAL__N_143distribution_elementwise_grid_stride_kernelImLi2EZZZNS0_9templates4cuda13random_kernelIPNS_17CUDAGeneratorImplEEEvRNS_18TensorIteratorBaseET_ENKUlvE_clEvENKUlvE5_clEvEUlP25hiprandStatePhilox4_32_10E_ZNS1_27distribution_nullary_kernelIfm15HIP_vector_typeIyLj2EES7_SF_ZZZNS5_IS7_EEvS9_SA_ENKSB_clEvENKSC_clEvEUlmE_EEvS9_T2_RKT3_T4_EUlimE0_EEvlNS_15PhiloxCudaStateET1_SK_
    .private_segment_fixed_size: 0
    .sgpr_count:     70
    .sgpr_spill_count: 0
    .symbol:         _ZN2at6native12_GLOBAL__N_143distribution_elementwise_grid_stride_kernelImLi2EZZZNS0_9templates4cuda13random_kernelIPNS_17CUDAGeneratorImplEEEvRNS_18TensorIteratorBaseET_ENKUlvE_clEvENKUlvE5_clEvEUlP25hiprandStatePhilox4_32_10E_ZNS1_27distribution_nullary_kernelIfm15HIP_vector_typeIyLj2EES7_SF_ZZZNS5_IS7_EEvS9_SA_ENKSB_clEvENKSC_clEvEUlmE_EEvS9_T2_RKT3_T4_EUlimE0_EEvlNS_15PhiloxCudaStateET1_SK_.kd
    .uniform_work_group_size: 1
    .uses_dynamic_stack: false
    .vgpr_count:     44
    .vgpr_spill_count: 0
    .wavefront_size: 64
  - .agpr_count:     0
    .args:
      - .offset:         0
        .size:           8
        .value_kind:     by_value
      - .offset:         8
        .size:           32
        .value_kind:     by_value
      - .offset:         40
        .size:           1
        .value_kind:     by_value
      - .offset:         48
        .size:           16
        .value_kind:     by_value
      - .offset:         64
        .size:           4
        .value_kind:     hidden_block_count_x
      - .offset:         68
        .size:           4
        .value_kind:     hidden_block_count_y
      - .offset:         72
        .size:           4
        .value_kind:     hidden_block_count_z
      - .offset:         76
        .size:           2
        .value_kind:     hidden_group_size_x
      - .offset:         78
        .size:           2
        .value_kind:     hidden_group_size_y
      - .offset:         80
        .size:           2
        .value_kind:     hidden_group_size_z
      - .offset:         82
        .size:           2
        .value_kind:     hidden_remainder_x
      - .offset:         84
        .size:           2
        .value_kind:     hidden_remainder_y
      - .offset:         86
        .size:           2
        .value_kind:     hidden_remainder_z
      - .offset:         104
        .size:           8
        .value_kind:     hidden_global_offset_x
      - .offset:         112
        .size:           8
        .value_kind:     hidden_global_offset_y
      - .offset:         120
        .size:           8
        .value_kind:     hidden_global_offset_z
      - .offset:         128
        .size:           2
        .value_kind:     hidden_grid_dims
    .group_segment_fixed_size: 0
    .kernarg_segment_align: 8
    .kernarg_segment_size: 320
    .language:       OpenCL C
    .language_version:
      - 2
      - 0
    .max_flat_workgroup_size: 256
    .name:           _ZN2at6native12_GLOBAL__N_143distribution_elementwise_grid_stride_kernelIjLi4EZZZNS0_9templates4cuda13random_kernelIPNS_17CUDAGeneratorImplEEEvRNS_18TensorIteratorBaseET_ENKUlvE_clEvENKUlvE5_clEvEUlP25hiprandStatePhilox4_32_10E0_ZNS1_27distribution_nullary_kernelIfj15HIP_vector_typeIjLj4EES7_SF_ZZZNS5_IS7_EEvS9_SA_ENKSB_clEvENKSC_clEvEUljE_EEvS9_T2_RKT3_T4_EUlijE_EEvlNS_15PhiloxCudaStateET1_SK_
    .private_segment_fixed_size: 0
    .sgpr_count:     28
    .sgpr_spill_count: 0
    .symbol:         _ZN2at6native12_GLOBAL__N_143distribution_elementwise_grid_stride_kernelIjLi4EZZZNS0_9templates4cuda13random_kernelIPNS_17CUDAGeneratorImplEEEvRNS_18TensorIteratorBaseET_ENKUlvE_clEvENKUlvE5_clEvEUlP25hiprandStatePhilox4_32_10E0_ZNS1_27distribution_nullary_kernelIfj15HIP_vector_typeIjLj4EES7_SF_ZZZNS5_IS7_EEvS9_SA_ENKSB_clEvENKSC_clEvEUljE_EEvS9_T2_RKT3_T4_EUlijE_EEvlNS_15PhiloxCudaStateET1_SK_.kd
    .uniform_work_group_size: 1
    .uses_dynamic_stack: false
    .vgpr_count:     48
    .vgpr_spill_count: 0
    .wavefront_size: 64
  - .agpr_count:     0
    .args:
      - .offset:         0
        .size:           8
        .value_kind:     by_value
      - .offset:         8
        .size:           32
        .value_kind:     by_value
      - .offset:         40
        .size:           1
        .value_kind:     by_value
      - .offset:         48
        .size:           280
        .value_kind:     by_value
      - .offset:         328
        .size:           4
        .value_kind:     hidden_block_count_x
      - .offset:         332
        .size:           4
        .value_kind:     hidden_block_count_y
      - .offset:         336
        .size:           4
        .value_kind:     hidden_block_count_z
      - .offset:         340
        .size:           2
        .value_kind:     hidden_group_size_x
      - .offset:         342
        .size:           2
        .value_kind:     hidden_group_size_y
      - .offset:         344
        .size:           2
        .value_kind:     hidden_group_size_z
      - .offset:         346
        .size:           2
        .value_kind:     hidden_remainder_x
      - .offset:         348
        .size:           2
        .value_kind:     hidden_remainder_y
      - .offset:         350
        .size:           2
        .value_kind:     hidden_remainder_z
      - .offset:         368
        .size:           8
        .value_kind:     hidden_global_offset_x
      - .offset:         376
        .size:           8
        .value_kind:     hidden_global_offset_y
      - .offset:         384
        .size:           8
        .value_kind:     hidden_global_offset_z
      - .offset:         392
        .size:           2
        .value_kind:     hidden_grid_dims
    .group_segment_fixed_size: 0
    .kernarg_segment_align: 8
    .kernarg_segment_size: 584
    .language:       OpenCL C
    .language_version:
      - 2
      - 0
    .max_flat_workgroup_size: 256
    .name:           _ZN2at6native12_GLOBAL__N_143distribution_elementwise_grid_stride_kernelIjLi4EZZZNS0_9templates4cuda13random_kernelIPNS_17CUDAGeneratorImplEEEvRNS_18TensorIteratorBaseET_ENKUlvE_clEvENKUlvE5_clEvEUlP25hiprandStatePhilox4_32_10E0_ZNS1_27distribution_nullary_kernelIfj15HIP_vector_typeIjLj4EES7_SF_ZZZNS5_IS7_EEvS9_SA_ENKSB_clEvENKSC_clEvEUljE_EEvS9_T2_RKT3_T4_EUlijE0_EEvlNS_15PhiloxCudaStateET1_SK_
    .private_segment_fixed_size: 0
    .sgpr_count:     72
    .sgpr_spill_count: 0
    .symbol:         _ZN2at6native12_GLOBAL__N_143distribution_elementwise_grid_stride_kernelIjLi4EZZZNS0_9templates4cuda13random_kernelIPNS_17CUDAGeneratorImplEEEvRNS_18TensorIteratorBaseET_ENKUlvE_clEvENKUlvE5_clEvEUlP25hiprandStatePhilox4_32_10E0_ZNS1_27distribution_nullary_kernelIfj15HIP_vector_typeIjLj4EES7_SF_ZZZNS5_IS7_EEvS9_SA_ENKSB_clEvENKSC_clEvEUljE_EEvS9_T2_RKT3_T4_EUlijE0_EEvlNS_15PhiloxCudaStateET1_SK_.kd
    .uniform_work_group_size: 1
    .uses_dynamic_stack: false
    .vgpr_count:     41
    .vgpr_spill_count: 0
    .wavefront_size: 64
  - .agpr_count:     0
    .args:
      - .offset:         0
        .size:           8
        .value_kind:     by_value
      - .offset:         8
        .size:           32
        .value_kind:     by_value
      - .offset:         40
        .size:           1
        .value_kind:     by_value
      - .offset:         48
        .size:           16
        .value_kind:     by_value
      - .offset:         64
        .size:           4
        .value_kind:     hidden_block_count_x
      - .offset:         68
        .size:           4
        .value_kind:     hidden_block_count_y
      - .offset:         72
        .size:           4
        .value_kind:     hidden_block_count_z
      - .offset:         76
        .size:           2
        .value_kind:     hidden_group_size_x
      - .offset:         78
        .size:           2
        .value_kind:     hidden_group_size_y
      - .offset:         80
        .size:           2
        .value_kind:     hidden_group_size_z
      - .offset:         82
        .size:           2
        .value_kind:     hidden_remainder_x
      - .offset:         84
        .size:           2
        .value_kind:     hidden_remainder_y
      - .offset:         86
        .size:           2
        .value_kind:     hidden_remainder_z
      - .offset:         104
        .size:           8
        .value_kind:     hidden_global_offset_x
      - .offset:         112
        .size:           8
        .value_kind:     hidden_global_offset_y
      - .offset:         120
        .size:           8
        .value_kind:     hidden_global_offset_z
      - .offset:         128
        .size:           2
        .value_kind:     hidden_grid_dims
    .group_segment_fixed_size: 0
    .kernarg_segment_align: 8
    .kernarg_segment_size: 320
    .language:       OpenCL C
    .language_version:
      - 2
      - 0
    .max_flat_workgroup_size: 256
    .name:           _ZN2at6native12_GLOBAL__N_143distribution_elementwise_grid_stride_kernelImLi2EZZZNS0_9templates4cuda13random_kernelIPNS_17CUDAGeneratorImplEEEvRNS_18TensorIteratorBaseET_ENKUlvE_clEvENKUlvE6_clEvEUlP25hiprandStatePhilox4_32_10E_ZNS1_27distribution_nullary_kernelIN3c104HalfEm15HIP_vector_typeIyLj2EES7_SF_ZZZNS5_IS7_EEvS9_SA_ENKSB_clEvENKSC_clEvEUlmE_EEvS9_T2_RKT3_T4_EUlimE_EEvlNS_15PhiloxCudaStateET1_SM_
    .private_segment_fixed_size: 0
    .sgpr_count:     31
    .sgpr_spill_count: 0
    .symbol:         _ZN2at6native12_GLOBAL__N_143distribution_elementwise_grid_stride_kernelImLi2EZZZNS0_9templates4cuda13random_kernelIPNS_17CUDAGeneratorImplEEEvRNS_18TensorIteratorBaseET_ENKUlvE_clEvENKUlvE6_clEvEUlP25hiprandStatePhilox4_32_10E_ZNS1_27distribution_nullary_kernelIN3c104HalfEm15HIP_vector_typeIyLj2EES7_SF_ZZZNS5_IS7_EEvS9_SA_ENKSB_clEvENKSC_clEvEUlmE_EEvS9_T2_RKT3_T4_EUlimE_EEvlNS_15PhiloxCudaStateET1_SM_.kd
    .uniform_work_group_size: 1
    .uses_dynamic_stack: false
    .vgpr_count:     46
    .vgpr_spill_count: 0
    .wavefront_size: 64
  - .agpr_count:     0
    .args:
      - .offset:         0
        .size:           8
        .value_kind:     by_value
      - .offset:         8
        .size:           32
        .value_kind:     by_value
      - .offset:         40
        .size:           1
        .value_kind:     by_value
      - .offset:         48
        .size:           280
        .value_kind:     by_value
      - .offset:         328
        .size:           4
        .value_kind:     hidden_block_count_x
      - .offset:         332
        .size:           4
        .value_kind:     hidden_block_count_y
      - .offset:         336
        .size:           4
        .value_kind:     hidden_block_count_z
      - .offset:         340
        .size:           2
        .value_kind:     hidden_group_size_x
      - .offset:         342
        .size:           2
        .value_kind:     hidden_group_size_y
      - .offset:         344
        .size:           2
        .value_kind:     hidden_group_size_z
      - .offset:         346
        .size:           2
        .value_kind:     hidden_remainder_x
      - .offset:         348
        .size:           2
        .value_kind:     hidden_remainder_y
      - .offset:         350
        .size:           2
        .value_kind:     hidden_remainder_z
      - .offset:         368
        .size:           8
        .value_kind:     hidden_global_offset_x
      - .offset:         376
        .size:           8
        .value_kind:     hidden_global_offset_y
      - .offset:         384
        .size:           8
        .value_kind:     hidden_global_offset_z
      - .offset:         392
        .size:           2
        .value_kind:     hidden_grid_dims
    .group_segment_fixed_size: 0
    .kernarg_segment_align: 8
    .kernarg_segment_size: 584
    .language:       OpenCL C
    .language_version:
      - 2
      - 0
    .max_flat_workgroup_size: 256
    .name:           _ZN2at6native12_GLOBAL__N_143distribution_elementwise_grid_stride_kernelImLi2EZZZNS0_9templates4cuda13random_kernelIPNS_17CUDAGeneratorImplEEEvRNS_18TensorIteratorBaseET_ENKUlvE_clEvENKUlvE6_clEvEUlP25hiprandStatePhilox4_32_10E_ZNS1_27distribution_nullary_kernelIN3c104HalfEm15HIP_vector_typeIyLj2EES7_SF_ZZZNS5_IS7_EEvS9_SA_ENKSB_clEvENKSC_clEvEUlmE_EEvS9_T2_RKT3_T4_EUlimE0_EEvlNS_15PhiloxCudaStateET1_SM_
    .private_segment_fixed_size: 0
    .sgpr_count:     69
    .sgpr_spill_count: 0
    .symbol:         _ZN2at6native12_GLOBAL__N_143distribution_elementwise_grid_stride_kernelImLi2EZZZNS0_9templates4cuda13random_kernelIPNS_17CUDAGeneratorImplEEEvRNS_18TensorIteratorBaseET_ENKUlvE_clEvENKUlvE6_clEvEUlP25hiprandStatePhilox4_32_10E_ZNS1_27distribution_nullary_kernelIN3c104HalfEm15HIP_vector_typeIyLj2EES7_SF_ZZZNS5_IS7_EEvS9_SA_ENKSB_clEvENKSC_clEvEUlmE_EEvS9_T2_RKT3_T4_EUlimE0_EEvlNS_15PhiloxCudaStateET1_SM_.kd
    .uniform_work_group_size: 1
    .uses_dynamic_stack: false
    .vgpr_count:     44
    .vgpr_spill_count: 0
    .wavefront_size: 64
  - .agpr_count:     0
    .args:
      - .offset:         0
        .size:           8
        .value_kind:     by_value
      - .offset:         8
        .size:           32
        .value_kind:     by_value
      - .offset:         40
        .size:           1
        .value_kind:     by_value
      - .offset:         48
        .size:           16
        .value_kind:     by_value
      - .offset:         64
        .size:           4
        .value_kind:     hidden_block_count_x
      - .offset:         68
        .size:           4
        .value_kind:     hidden_block_count_y
      - .offset:         72
        .size:           4
        .value_kind:     hidden_block_count_z
      - .offset:         76
        .size:           2
        .value_kind:     hidden_group_size_x
      - .offset:         78
        .size:           2
        .value_kind:     hidden_group_size_y
      - .offset:         80
        .size:           2
        .value_kind:     hidden_group_size_z
      - .offset:         82
        .size:           2
        .value_kind:     hidden_remainder_x
      - .offset:         84
        .size:           2
        .value_kind:     hidden_remainder_y
      - .offset:         86
        .size:           2
        .value_kind:     hidden_remainder_z
      - .offset:         104
        .size:           8
        .value_kind:     hidden_global_offset_x
      - .offset:         112
        .size:           8
        .value_kind:     hidden_global_offset_y
      - .offset:         120
        .size:           8
        .value_kind:     hidden_global_offset_z
      - .offset:         128
        .size:           2
        .value_kind:     hidden_grid_dims
    .group_segment_fixed_size: 0
    .kernarg_segment_align: 8
    .kernarg_segment_size: 320
    .language:       OpenCL C
    .language_version:
      - 2
      - 0
    .max_flat_workgroup_size: 256
    .name:           _ZN2at6native12_GLOBAL__N_143distribution_elementwise_grid_stride_kernelIjLi4EZZZNS0_9templates4cuda13random_kernelIPNS_17CUDAGeneratorImplEEEvRNS_18TensorIteratorBaseET_ENKUlvE_clEvENKUlvE6_clEvEUlP25hiprandStatePhilox4_32_10E0_ZNS1_27distribution_nullary_kernelIN3c104HalfEj15HIP_vector_typeIjLj4EES7_SF_ZZZNS5_IS7_EEvS9_SA_ENKSB_clEvENKSC_clEvEUljE_EEvS9_T2_RKT3_T4_EUlijE_EEvlNS_15PhiloxCudaStateET1_SM_
    .private_segment_fixed_size: 0
    .sgpr_count:     28
    .sgpr_spill_count: 0
    .symbol:         _ZN2at6native12_GLOBAL__N_143distribution_elementwise_grid_stride_kernelIjLi4EZZZNS0_9templates4cuda13random_kernelIPNS_17CUDAGeneratorImplEEEvRNS_18TensorIteratorBaseET_ENKUlvE_clEvENKUlvE6_clEvEUlP25hiprandStatePhilox4_32_10E0_ZNS1_27distribution_nullary_kernelIN3c104HalfEj15HIP_vector_typeIjLj4EES7_SF_ZZZNS5_IS7_EEvS9_SA_ENKSB_clEvENKSC_clEvEUljE_EEvS9_T2_RKT3_T4_EUlijE_EEvlNS_15PhiloxCudaStateET1_SM_.kd
    .uniform_work_group_size: 1
    .uses_dynamic_stack: false
    .vgpr_count:     48
    .vgpr_spill_count: 0
    .wavefront_size: 64
  - .agpr_count:     0
    .args:
      - .offset:         0
        .size:           8
        .value_kind:     by_value
      - .offset:         8
        .size:           32
        .value_kind:     by_value
      - .offset:         40
        .size:           1
        .value_kind:     by_value
      - .offset:         48
        .size:           280
        .value_kind:     by_value
      - .offset:         328
        .size:           4
        .value_kind:     hidden_block_count_x
      - .offset:         332
        .size:           4
        .value_kind:     hidden_block_count_y
      - .offset:         336
        .size:           4
        .value_kind:     hidden_block_count_z
      - .offset:         340
        .size:           2
        .value_kind:     hidden_group_size_x
      - .offset:         342
        .size:           2
        .value_kind:     hidden_group_size_y
      - .offset:         344
        .size:           2
        .value_kind:     hidden_group_size_z
      - .offset:         346
        .size:           2
        .value_kind:     hidden_remainder_x
      - .offset:         348
        .size:           2
        .value_kind:     hidden_remainder_y
      - .offset:         350
        .size:           2
        .value_kind:     hidden_remainder_z
      - .offset:         368
        .size:           8
        .value_kind:     hidden_global_offset_x
      - .offset:         376
        .size:           8
        .value_kind:     hidden_global_offset_y
      - .offset:         384
        .size:           8
        .value_kind:     hidden_global_offset_z
      - .offset:         392
        .size:           2
        .value_kind:     hidden_grid_dims
    .group_segment_fixed_size: 0
    .kernarg_segment_align: 8
    .kernarg_segment_size: 584
    .language:       OpenCL C
    .language_version:
      - 2
      - 0
    .max_flat_workgroup_size: 256
    .name:           _ZN2at6native12_GLOBAL__N_143distribution_elementwise_grid_stride_kernelIjLi4EZZZNS0_9templates4cuda13random_kernelIPNS_17CUDAGeneratorImplEEEvRNS_18TensorIteratorBaseET_ENKUlvE_clEvENKUlvE6_clEvEUlP25hiprandStatePhilox4_32_10E0_ZNS1_27distribution_nullary_kernelIN3c104HalfEj15HIP_vector_typeIjLj4EES7_SF_ZZZNS5_IS7_EEvS9_SA_ENKSB_clEvENKSC_clEvEUljE_EEvS9_T2_RKT3_T4_EUlijE0_EEvlNS_15PhiloxCudaStateET1_SM_
    .private_segment_fixed_size: 0
    .sgpr_count:     72
    .sgpr_spill_count: 0
    .symbol:         _ZN2at6native12_GLOBAL__N_143distribution_elementwise_grid_stride_kernelIjLi4EZZZNS0_9templates4cuda13random_kernelIPNS_17CUDAGeneratorImplEEEvRNS_18TensorIteratorBaseET_ENKUlvE_clEvENKUlvE6_clEvEUlP25hiprandStatePhilox4_32_10E0_ZNS1_27distribution_nullary_kernelIN3c104HalfEj15HIP_vector_typeIjLj4EES7_SF_ZZZNS5_IS7_EEvS9_SA_ENKSB_clEvENKSC_clEvEUljE_EEvS9_T2_RKT3_T4_EUlijE0_EEvlNS_15PhiloxCudaStateET1_SM_.kd
    .uniform_work_group_size: 1
    .uses_dynamic_stack: false
    .vgpr_count:     41
    .vgpr_spill_count: 0
    .wavefront_size: 64
  - .agpr_count:     0
    .args:
      - .offset:         0
        .size:           8
        .value_kind:     by_value
      - .offset:         8
        .size:           32
        .value_kind:     by_value
      - .offset:         40
        .size:           1
        .value_kind:     by_value
      - .offset:         48
        .size:           16
        .value_kind:     by_value
      - .offset:         64
        .size:           4
        .value_kind:     hidden_block_count_x
      - .offset:         68
        .size:           4
        .value_kind:     hidden_block_count_y
      - .offset:         72
        .size:           4
        .value_kind:     hidden_block_count_z
      - .offset:         76
        .size:           2
        .value_kind:     hidden_group_size_x
      - .offset:         78
        .size:           2
        .value_kind:     hidden_group_size_y
      - .offset:         80
        .size:           2
        .value_kind:     hidden_group_size_z
      - .offset:         82
        .size:           2
        .value_kind:     hidden_remainder_x
      - .offset:         84
        .size:           2
        .value_kind:     hidden_remainder_y
      - .offset:         86
        .size:           2
        .value_kind:     hidden_remainder_z
      - .offset:         104
        .size:           8
        .value_kind:     hidden_global_offset_x
      - .offset:         112
        .size:           8
        .value_kind:     hidden_global_offset_y
      - .offset:         120
        .size:           8
        .value_kind:     hidden_global_offset_z
      - .offset:         128
        .size:           2
        .value_kind:     hidden_grid_dims
    .group_segment_fixed_size: 0
    .kernarg_segment_align: 8
    .kernarg_segment_size: 320
    .language:       OpenCL C
    .language_version:
      - 2
      - 0
    .max_flat_workgroup_size: 256
    .name:           _ZN2at6native12_GLOBAL__N_143distribution_elementwise_grid_stride_kernelImLi2EZZZNS0_9templates4cuda13random_kernelIPNS_17CUDAGeneratorImplEEEvRNS_18TensorIteratorBaseET_ENKUlvE_clEvENKUlvE7_clEvEUlP25hiprandStatePhilox4_32_10E_ZNS1_27distribution_nullary_kernelIN3c108BFloat16Em15HIP_vector_typeIyLj2EES7_SF_ZZZNS5_IS7_EEvS9_SA_ENKSB_clEvENKSC_clEvEUlmE_EEvS9_T2_RKT3_T4_EUlimE_EEvlNS_15PhiloxCudaStateET1_SM_
    .private_segment_fixed_size: 0
    .sgpr_count:     32
    .sgpr_spill_count: 0
    .symbol:         _ZN2at6native12_GLOBAL__N_143distribution_elementwise_grid_stride_kernelImLi2EZZZNS0_9templates4cuda13random_kernelIPNS_17CUDAGeneratorImplEEEvRNS_18TensorIteratorBaseET_ENKUlvE_clEvENKUlvE7_clEvEUlP25hiprandStatePhilox4_32_10E_ZNS1_27distribution_nullary_kernelIN3c108BFloat16Em15HIP_vector_typeIyLj2EES7_SF_ZZZNS5_IS7_EEvS9_SA_ENKSB_clEvENKSC_clEvEUlmE_EEvS9_T2_RKT3_T4_EUlimE_EEvlNS_15PhiloxCudaStateET1_SM_.kd
    .uniform_work_group_size: 1
    .uses_dynamic_stack: false
    .vgpr_count:     46
    .vgpr_spill_count: 0
    .wavefront_size: 64
  - .agpr_count:     0
    .args:
      - .offset:         0
        .size:           8
        .value_kind:     by_value
      - .offset:         8
        .size:           32
        .value_kind:     by_value
      - .offset:         40
        .size:           1
        .value_kind:     by_value
      - .offset:         48
        .size:           280
        .value_kind:     by_value
      - .offset:         328
        .size:           4
        .value_kind:     hidden_block_count_x
      - .offset:         332
        .size:           4
        .value_kind:     hidden_block_count_y
      - .offset:         336
        .size:           4
        .value_kind:     hidden_block_count_z
      - .offset:         340
        .size:           2
        .value_kind:     hidden_group_size_x
      - .offset:         342
        .size:           2
        .value_kind:     hidden_group_size_y
      - .offset:         344
        .size:           2
        .value_kind:     hidden_group_size_z
      - .offset:         346
        .size:           2
        .value_kind:     hidden_remainder_x
      - .offset:         348
        .size:           2
        .value_kind:     hidden_remainder_y
      - .offset:         350
        .size:           2
        .value_kind:     hidden_remainder_z
      - .offset:         368
        .size:           8
        .value_kind:     hidden_global_offset_x
      - .offset:         376
        .size:           8
        .value_kind:     hidden_global_offset_y
      - .offset:         384
        .size:           8
        .value_kind:     hidden_global_offset_z
      - .offset:         392
        .size:           2
        .value_kind:     hidden_grid_dims
    .group_segment_fixed_size: 0
    .kernarg_segment_align: 8
    .kernarg_segment_size: 584
    .language:       OpenCL C
    .language_version:
      - 2
      - 0
    .max_flat_workgroup_size: 256
    .name:           _ZN2at6native12_GLOBAL__N_143distribution_elementwise_grid_stride_kernelImLi2EZZZNS0_9templates4cuda13random_kernelIPNS_17CUDAGeneratorImplEEEvRNS_18TensorIteratorBaseET_ENKUlvE_clEvENKUlvE7_clEvEUlP25hiprandStatePhilox4_32_10E_ZNS1_27distribution_nullary_kernelIN3c108BFloat16Em15HIP_vector_typeIyLj2EES7_SF_ZZZNS5_IS7_EEvS9_SA_ENKSB_clEvENKSC_clEvEUlmE_EEvS9_T2_RKT3_T4_EUlimE0_EEvlNS_15PhiloxCudaStateET1_SM_
    .private_segment_fixed_size: 0
    .sgpr_count:     70
    .sgpr_spill_count: 0
    .symbol:         _ZN2at6native12_GLOBAL__N_143distribution_elementwise_grid_stride_kernelImLi2EZZZNS0_9templates4cuda13random_kernelIPNS_17CUDAGeneratorImplEEEvRNS_18TensorIteratorBaseET_ENKUlvE_clEvENKUlvE7_clEvEUlP25hiprandStatePhilox4_32_10E_ZNS1_27distribution_nullary_kernelIN3c108BFloat16Em15HIP_vector_typeIyLj2EES7_SF_ZZZNS5_IS7_EEvS9_SA_ENKSB_clEvENKSC_clEvEUlmE_EEvS9_T2_RKT3_T4_EUlimE0_EEvlNS_15PhiloxCudaStateET1_SM_.kd
    .uniform_work_group_size: 1
    .uses_dynamic_stack: false
    .vgpr_count:     44
    .vgpr_spill_count: 0
    .wavefront_size: 64
  - .agpr_count:     0
    .args:
      - .offset:         0
        .size:           8
        .value_kind:     by_value
      - .offset:         8
        .size:           32
        .value_kind:     by_value
      - .offset:         40
        .size:           1
        .value_kind:     by_value
      - .offset:         48
        .size:           16
        .value_kind:     by_value
      - .offset:         64
        .size:           4
        .value_kind:     hidden_block_count_x
      - .offset:         68
        .size:           4
        .value_kind:     hidden_block_count_y
      - .offset:         72
        .size:           4
        .value_kind:     hidden_block_count_z
      - .offset:         76
        .size:           2
        .value_kind:     hidden_group_size_x
      - .offset:         78
        .size:           2
        .value_kind:     hidden_group_size_y
      - .offset:         80
        .size:           2
        .value_kind:     hidden_group_size_z
      - .offset:         82
        .size:           2
        .value_kind:     hidden_remainder_x
      - .offset:         84
        .size:           2
        .value_kind:     hidden_remainder_y
      - .offset:         86
        .size:           2
        .value_kind:     hidden_remainder_z
      - .offset:         104
        .size:           8
        .value_kind:     hidden_global_offset_x
      - .offset:         112
        .size:           8
        .value_kind:     hidden_global_offset_y
      - .offset:         120
        .size:           8
        .value_kind:     hidden_global_offset_z
      - .offset:         128
        .size:           2
        .value_kind:     hidden_grid_dims
    .group_segment_fixed_size: 0
    .kernarg_segment_align: 8
    .kernarg_segment_size: 320
    .language:       OpenCL C
    .language_version:
      - 2
      - 0
    .max_flat_workgroup_size: 256
    .name:           _ZN2at6native12_GLOBAL__N_143distribution_elementwise_grid_stride_kernelIjLi4EZZZNS0_9templates4cuda13random_kernelIPNS_17CUDAGeneratorImplEEEvRNS_18TensorIteratorBaseET_ENKUlvE_clEvENKUlvE7_clEvEUlP25hiprandStatePhilox4_32_10E0_ZNS1_27distribution_nullary_kernelIN3c108BFloat16Ej15HIP_vector_typeIjLj4EES7_SF_ZZZNS5_IS7_EEvS9_SA_ENKSB_clEvENKSC_clEvEUljE_EEvS9_T2_RKT3_T4_EUlijE_EEvlNS_15PhiloxCudaStateET1_SM_
    .private_segment_fixed_size: 0
    .sgpr_count:     29
    .sgpr_spill_count: 0
    .symbol:         _ZN2at6native12_GLOBAL__N_143distribution_elementwise_grid_stride_kernelIjLi4EZZZNS0_9templates4cuda13random_kernelIPNS_17CUDAGeneratorImplEEEvRNS_18TensorIteratorBaseET_ENKUlvE_clEvENKUlvE7_clEvEUlP25hiprandStatePhilox4_32_10E0_ZNS1_27distribution_nullary_kernelIN3c108BFloat16Ej15HIP_vector_typeIjLj4EES7_SF_ZZZNS5_IS7_EEvS9_SA_ENKSB_clEvENKSC_clEvEUljE_EEvS9_T2_RKT3_T4_EUlijE_EEvlNS_15PhiloxCudaStateET1_SM_.kd
    .uniform_work_group_size: 1
    .uses_dynamic_stack: false
    .vgpr_count:     48
    .vgpr_spill_count: 0
    .wavefront_size: 64
  - .agpr_count:     0
    .args:
      - .offset:         0
        .size:           8
        .value_kind:     by_value
      - .offset:         8
        .size:           32
        .value_kind:     by_value
      - .offset:         40
        .size:           1
        .value_kind:     by_value
      - .offset:         48
        .size:           280
        .value_kind:     by_value
      - .offset:         328
        .size:           4
        .value_kind:     hidden_block_count_x
      - .offset:         332
        .size:           4
        .value_kind:     hidden_block_count_y
      - .offset:         336
        .size:           4
        .value_kind:     hidden_block_count_z
      - .offset:         340
        .size:           2
        .value_kind:     hidden_group_size_x
      - .offset:         342
        .size:           2
        .value_kind:     hidden_group_size_y
      - .offset:         344
        .size:           2
        .value_kind:     hidden_group_size_z
      - .offset:         346
        .size:           2
        .value_kind:     hidden_remainder_x
      - .offset:         348
        .size:           2
        .value_kind:     hidden_remainder_y
      - .offset:         350
        .size:           2
        .value_kind:     hidden_remainder_z
      - .offset:         368
        .size:           8
        .value_kind:     hidden_global_offset_x
      - .offset:         376
        .size:           8
        .value_kind:     hidden_global_offset_y
      - .offset:         384
        .size:           8
        .value_kind:     hidden_global_offset_z
      - .offset:         392
        .size:           2
        .value_kind:     hidden_grid_dims
    .group_segment_fixed_size: 0
    .kernarg_segment_align: 8
    .kernarg_segment_size: 584
    .language:       OpenCL C
    .language_version:
      - 2
      - 0
    .max_flat_workgroup_size: 256
    .name:           _ZN2at6native12_GLOBAL__N_143distribution_elementwise_grid_stride_kernelIjLi4EZZZNS0_9templates4cuda13random_kernelIPNS_17CUDAGeneratorImplEEEvRNS_18TensorIteratorBaseET_ENKUlvE_clEvENKUlvE7_clEvEUlP25hiprandStatePhilox4_32_10E0_ZNS1_27distribution_nullary_kernelIN3c108BFloat16Ej15HIP_vector_typeIjLj4EES7_SF_ZZZNS5_IS7_EEvS9_SA_ENKSB_clEvENKSC_clEvEUljE_EEvS9_T2_RKT3_T4_EUlijE0_EEvlNS_15PhiloxCudaStateET1_SM_
    .private_segment_fixed_size: 0
    .sgpr_count:     73
    .sgpr_spill_count: 0
    .symbol:         _ZN2at6native12_GLOBAL__N_143distribution_elementwise_grid_stride_kernelIjLi4EZZZNS0_9templates4cuda13random_kernelIPNS_17CUDAGeneratorImplEEEvRNS_18TensorIteratorBaseET_ENKUlvE_clEvENKUlvE7_clEvEUlP25hiprandStatePhilox4_32_10E0_ZNS1_27distribution_nullary_kernelIN3c108BFloat16Ej15HIP_vector_typeIjLj4EES7_SF_ZZZNS5_IS7_EEvS9_SA_ENKSB_clEvENKSC_clEvEUljE_EEvS9_T2_RKT3_T4_EUlijE0_EEvlNS_15PhiloxCudaStateET1_SM_.kd
    .uniform_work_group_size: 1
    .uses_dynamic_stack: false
    .vgpr_count:     41
    .vgpr_spill_count: 0
    .wavefront_size: 64
  - .agpr_count:     0
    .args:
      - .offset:         0
        .size:           8
        .value_kind:     by_value
      - .offset:         8
        .size:           32
        .value_kind:     by_value
      - .offset:         40
        .size:           1
        .value_kind:     by_value
      - .offset:         48
        .size:           16
        .value_kind:     by_value
      - .offset:         64
        .size:           4
        .value_kind:     hidden_block_count_x
      - .offset:         68
        .size:           4
        .value_kind:     hidden_block_count_y
      - .offset:         72
        .size:           4
        .value_kind:     hidden_block_count_z
      - .offset:         76
        .size:           2
        .value_kind:     hidden_group_size_x
      - .offset:         78
        .size:           2
        .value_kind:     hidden_group_size_y
      - .offset:         80
        .size:           2
        .value_kind:     hidden_group_size_z
      - .offset:         82
        .size:           2
        .value_kind:     hidden_remainder_x
      - .offset:         84
        .size:           2
        .value_kind:     hidden_remainder_y
      - .offset:         86
        .size:           2
        .value_kind:     hidden_remainder_z
      - .offset:         104
        .size:           8
        .value_kind:     hidden_global_offset_x
      - .offset:         112
        .size:           8
        .value_kind:     hidden_global_offset_y
      - .offset:         120
        .size:           8
        .value_kind:     hidden_global_offset_z
      - .offset:         128
        .size:           2
        .value_kind:     hidden_grid_dims
    .group_segment_fixed_size: 0
    .kernarg_segment_align: 8
    .kernarg_segment_size: 320
    .language:       OpenCL C
    .language_version:
      - 2
      - 0
    .max_flat_workgroup_size: 256
    .name:           _ZN2at6native12_GLOBAL__N_143distribution_elementwise_grid_stride_kernelImLi2EZZZNS0_9templates4cuda13random_kernelIPNS_17CUDAGeneratorImplEEEvRNS_18TensorIteratorBaseET_ENKUlvE_clEvENKUlvE8_clEvEUlP25hiprandStatePhilox4_32_10E_ZNS1_27distribution_nullary_kernelIbm15HIP_vector_typeIyLj2EES7_SF_ZZZNS5_IS7_EEvS9_SA_ENKSB_clEvENKSC_clEvEUlmE_EEvS9_T2_RKT3_T4_EUlimE_EEvlNS_15PhiloxCudaStateET1_SK_
    .private_segment_fixed_size: 0
    .sgpr_count:     28
    .sgpr_spill_count: 0
    .symbol:         _ZN2at6native12_GLOBAL__N_143distribution_elementwise_grid_stride_kernelImLi2EZZZNS0_9templates4cuda13random_kernelIPNS_17CUDAGeneratorImplEEEvRNS_18TensorIteratorBaseET_ENKUlvE_clEvENKUlvE8_clEvEUlP25hiprandStatePhilox4_32_10E_ZNS1_27distribution_nullary_kernelIbm15HIP_vector_typeIyLj2EES7_SF_ZZZNS5_IS7_EEvS9_SA_ENKSB_clEvENKSC_clEvEUlmE_EEvS9_T2_RKT3_T4_EUlimE_EEvlNS_15PhiloxCudaStateET1_SK_.kd
    .uniform_work_group_size: 1
    .uses_dynamic_stack: false
    .vgpr_count:     44
    .vgpr_spill_count: 0
    .wavefront_size: 64
  - .agpr_count:     0
    .args:
      - .offset:         0
        .size:           8
        .value_kind:     by_value
      - .offset:         8
        .size:           32
        .value_kind:     by_value
      - .offset:         40
        .size:           1
        .value_kind:     by_value
      - .offset:         48
        .size:           280
        .value_kind:     by_value
      - .offset:         328
        .size:           4
        .value_kind:     hidden_block_count_x
      - .offset:         332
        .size:           4
        .value_kind:     hidden_block_count_y
      - .offset:         336
        .size:           4
        .value_kind:     hidden_block_count_z
      - .offset:         340
        .size:           2
        .value_kind:     hidden_group_size_x
      - .offset:         342
        .size:           2
        .value_kind:     hidden_group_size_y
      - .offset:         344
        .size:           2
        .value_kind:     hidden_group_size_z
      - .offset:         346
        .size:           2
        .value_kind:     hidden_remainder_x
      - .offset:         348
        .size:           2
        .value_kind:     hidden_remainder_y
      - .offset:         350
        .size:           2
        .value_kind:     hidden_remainder_z
      - .offset:         368
        .size:           8
        .value_kind:     hidden_global_offset_x
      - .offset:         376
        .size:           8
        .value_kind:     hidden_global_offset_y
      - .offset:         384
        .size:           8
        .value_kind:     hidden_global_offset_z
      - .offset:         392
        .size:           2
        .value_kind:     hidden_grid_dims
    .group_segment_fixed_size: 0
    .kernarg_segment_align: 8
    .kernarg_segment_size: 584
    .language:       OpenCL C
    .language_version:
      - 2
      - 0
    .max_flat_workgroup_size: 256
    .name:           _ZN2at6native12_GLOBAL__N_143distribution_elementwise_grid_stride_kernelImLi2EZZZNS0_9templates4cuda13random_kernelIPNS_17CUDAGeneratorImplEEEvRNS_18TensorIteratorBaseET_ENKUlvE_clEvENKUlvE8_clEvEUlP25hiprandStatePhilox4_32_10E_ZNS1_27distribution_nullary_kernelIbm15HIP_vector_typeIyLj2EES7_SF_ZZZNS5_IS7_EEvS9_SA_ENKSB_clEvENKSC_clEvEUlmE_EEvS9_T2_RKT3_T4_EUlimE0_EEvlNS_15PhiloxCudaStateET1_SK_
    .private_segment_fixed_size: 0
    .sgpr_count:     67
    .sgpr_spill_count: 0
    .symbol:         _ZN2at6native12_GLOBAL__N_143distribution_elementwise_grid_stride_kernelImLi2EZZZNS0_9templates4cuda13random_kernelIPNS_17CUDAGeneratorImplEEEvRNS_18TensorIteratorBaseET_ENKUlvE_clEvENKUlvE8_clEvEUlP25hiprandStatePhilox4_32_10E_ZNS1_27distribution_nullary_kernelIbm15HIP_vector_typeIyLj2EES7_SF_ZZZNS5_IS7_EEvS9_SA_ENKSB_clEvENKSC_clEvEUlmE_EEvS9_T2_RKT3_T4_EUlimE0_EEvlNS_15PhiloxCudaStateET1_SK_.kd
    .uniform_work_group_size: 1
    .uses_dynamic_stack: false
    .vgpr_count:     42
    .vgpr_spill_count: 0
    .wavefront_size: 64
  - .agpr_count:     0
    .args:
      - .offset:         0
        .size:           8
        .value_kind:     by_value
      - .offset:         8
        .size:           32
        .value_kind:     by_value
      - .offset:         40
        .size:           1
        .value_kind:     by_value
      - .offset:         48
        .size:           16
        .value_kind:     by_value
      - .offset:         64
        .size:           4
        .value_kind:     hidden_block_count_x
      - .offset:         68
        .size:           4
        .value_kind:     hidden_block_count_y
      - .offset:         72
        .size:           4
        .value_kind:     hidden_block_count_z
      - .offset:         76
        .size:           2
        .value_kind:     hidden_group_size_x
      - .offset:         78
        .size:           2
        .value_kind:     hidden_group_size_y
      - .offset:         80
        .size:           2
        .value_kind:     hidden_group_size_z
      - .offset:         82
        .size:           2
        .value_kind:     hidden_remainder_x
      - .offset:         84
        .size:           2
        .value_kind:     hidden_remainder_y
      - .offset:         86
        .size:           2
        .value_kind:     hidden_remainder_z
      - .offset:         104
        .size:           8
        .value_kind:     hidden_global_offset_x
      - .offset:         112
        .size:           8
        .value_kind:     hidden_global_offset_y
      - .offset:         120
        .size:           8
        .value_kind:     hidden_global_offset_z
      - .offset:         128
        .size:           2
        .value_kind:     hidden_grid_dims
    .group_segment_fixed_size: 0
    .kernarg_segment_align: 8
    .kernarg_segment_size: 320
    .language:       OpenCL C
    .language_version:
      - 2
      - 0
    .max_flat_workgroup_size: 256
    .name:           _ZN2at6native12_GLOBAL__N_143distribution_elementwise_grid_stride_kernelIjLi4EZZZNS0_9templates4cuda13random_kernelIPNS_17CUDAGeneratorImplEEEvRNS_18TensorIteratorBaseET_ENKUlvE_clEvENKUlvE8_clEvEUlP25hiprandStatePhilox4_32_10E0_ZNS1_27distribution_nullary_kernelIbj15HIP_vector_typeIjLj4EES7_SF_ZZZNS5_IS7_EEvS9_SA_ENKSB_clEvENKSC_clEvEUljE_EEvS9_T2_RKT3_T4_EUlijE_EEvlNS_15PhiloxCudaStateET1_SK_
    .private_segment_fixed_size: 0
    .sgpr_count:     28
    .sgpr_spill_count: 0
    .symbol:         _ZN2at6native12_GLOBAL__N_143distribution_elementwise_grid_stride_kernelIjLi4EZZZNS0_9templates4cuda13random_kernelIPNS_17CUDAGeneratorImplEEEvRNS_18TensorIteratorBaseET_ENKUlvE_clEvENKUlvE8_clEvEUlP25hiprandStatePhilox4_32_10E0_ZNS1_27distribution_nullary_kernelIbj15HIP_vector_typeIjLj4EES7_SF_ZZZNS5_IS7_EEvS9_SA_ENKSB_clEvENKSC_clEvEUljE_EEvS9_T2_RKT3_T4_EUlijE_EEvlNS_15PhiloxCudaStateET1_SK_.kd
    .uniform_work_group_size: 1
    .uses_dynamic_stack: false
    .vgpr_count:     48
    .vgpr_spill_count: 0
    .wavefront_size: 64
  - .agpr_count:     0
    .args:
      - .offset:         0
        .size:           8
        .value_kind:     by_value
      - .offset:         8
        .size:           32
        .value_kind:     by_value
      - .offset:         40
        .size:           1
        .value_kind:     by_value
      - .offset:         48
        .size:           280
        .value_kind:     by_value
      - .offset:         328
        .size:           4
        .value_kind:     hidden_block_count_x
      - .offset:         332
        .size:           4
        .value_kind:     hidden_block_count_y
      - .offset:         336
        .size:           4
        .value_kind:     hidden_block_count_z
      - .offset:         340
        .size:           2
        .value_kind:     hidden_group_size_x
      - .offset:         342
        .size:           2
        .value_kind:     hidden_group_size_y
      - .offset:         344
        .size:           2
        .value_kind:     hidden_group_size_z
      - .offset:         346
        .size:           2
        .value_kind:     hidden_remainder_x
      - .offset:         348
        .size:           2
        .value_kind:     hidden_remainder_y
      - .offset:         350
        .size:           2
        .value_kind:     hidden_remainder_z
      - .offset:         368
        .size:           8
        .value_kind:     hidden_global_offset_x
      - .offset:         376
        .size:           8
        .value_kind:     hidden_global_offset_y
      - .offset:         384
        .size:           8
        .value_kind:     hidden_global_offset_z
      - .offset:         392
        .size:           2
        .value_kind:     hidden_grid_dims
    .group_segment_fixed_size: 0
    .kernarg_segment_align: 8
    .kernarg_segment_size: 584
    .language:       OpenCL C
    .language_version:
      - 2
      - 0
    .max_flat_workgroup_size: 256
    .name:           _ZN2at6native12_GLOBAL__N_143distribution_elementwise_grid_stride_kernelIjLi4EZZZNS0_9templates4cuda13random_kernelIPNS_17CUDAGeneratorImplEEEvRNS_18TensorIteratorBaseET_ENKUlvE_clEvENKUlvE8_clEvEUlP25hiprandStatePhilox4_32_10E0_ZNS1_27distribution_nullary_kernelIbj15HIP_vector_typeIjLj4EES7_SF_ZZZNS5_IS7_EEvS9_SA_ENKSB_clEvENKSC_clEvEUljE_EEvS9_T2_RKT3_T4_EUlijE0_EEvlNS_15PhiloxCudaStateET1_SK_
    .private_segment_fixed_size: 0
    .sgpr_count:     71
    .sgpr_spill_count: 0
    .symbol:         _ZN2at6native12_GLOBAL__N_143distribution_elementwise_grid_stride_kernelIjLi4EZZZNS0_9templates4cuda13random_kernelIPNS_17CUDAGeneratorImplEEEvRNS_18TensorIteratorBaseET_ENKUlvE_clEvENKUlvE8_clEvEUlP25hiprandStatePhilox4_32_10E0_ZNS1_27distribution_nullary_kernelIbj15HIP_vector_typeIjLj4EES7_SF_ZZZNS5_IS7_EEvS9_SA_ENKSB_clEvENKSC_clEvEUljE_EEvS9_T2_RKT3_T4_EUlijE0_EEvlNS_15PhiloxCudaStateET1_SK_.kd
    .uniform_work_group_size: 1
    .uses_dynamic_stack: false
    .vgpr_count:     41
    .vgpr_spill_count: 0
    .wavefront_size: 64
amdhsa.target:   amdgcn-amd-amdhsa--gfx90a
amdhsa.version:
  - 1
  - 2
...

	.end_amdgpu_metadata
